;; amdgpu-corpus repo=pytorch/pytorch kind=compiled arch=gfx1100 opt=O3
	.text
	.amdgcn_target "amdgcn-amd-amdhsa--gfx1100"
	.amdhsa_code_object_version 6
	.p2align	2                               ; -- Begin function _Z17bessel_j1_forwardIdET_S0_
	.type	_Z17bessel_j1_forwardIdET_S0_,@function
_Z17bessel_j1_forwardIdET_S0_:          ; @_Z17bessel_j1_forwardIdET_S0_
; %bb.0:
	s_waitcnt vmcnt(0) expcnt(0) lgkmcnt(0)
	s_mov_b32 s0, s33
	s_mov_b32 s33, s32
	s_or_saveexec_b32 s1, -1
	scratch_store_b32 off, v40, s33         ; 4-byte Folded Spill
	s_mov_b32 exec_lo, s1
	v_writelane_b32 v40, s0, 3
	s_add_i32 s32, s32, 16
	v_writelane_b32 v40, s34, 0
	v_writelane_b32 v40, s30, 1
	;; [unrolled: 1-line block ×3, first 2 shown]
                                        ; implicit-def: $vgpr2_vgpr3
	s_mov_b32 s0, exec_lo
	v_cmpx_ngt_f64_e32 0, v[0:1]
	s_xor_b32 s3, exec_lo, s0
	s_cbranch_execz .LBB0_14
; %bb.1:
	s_mov_b32 s0, exec_lo
                                        ; implicit-def: $vgpr2_vgpr3
	v_cmpx_ge_f64_e32 0x40140000, v[0:1]
	s_xor_b32 s0, exec_lo, s0
	s_cbranch_execz .LBB0_3
; %bb.2:
	v_mul_f64 v[2:3], v[0:1], v[0:1]
	s_mov_b32 s4, 0x1b7086e7
	s_mov_b32 s5, 0x408366b1
	;; [unrolled: 1-line block ×4, first 2 shown]
	s_delay_alu instid0(VALU_DEP_1)
	v_fma_f64 v[4:5], v[2:3], 0, s[4:5]
	s_mov_b32 s4, 0xdd701b2
	s_mov_b32 s5, 0x410f5eda
	s_delay_alu instid0(VALU_DEP_1) | instid1(SALU_CYCLE_1)
	v_fma_f64 v[4:5], v[2:3], v[4:5], s[4:5]
	s_mov_b32 s4, 0xdc92a1b1
	s_mov_b32 s5, 0x4193e954
	s_delay_alu instid0(VALU_DEP_1) | instid1(SALU_CYCLE_1)
	;; [unrolled: 4-line block ×3, first 2 shown]
	v_fma_f64 v[4:5], v[2:3], v[4:5], s[4:5]
	s_mov_b32 s4, 0x4cda4fc5
	s_mov_b32 s5, 0xc1cad23c
	s_delay_alu instid0(SALU_CYCLE_1) | instskip(SKIP_2) | instid1(VALU_DEP_2)
	v_fma_f64 v[6:7], v[2:3], 0, s[4:5]
	s_mov_b32 s4, 0xd438c6b
	s_mov_b32 s5, 0x425a52ba
	v_fma_f64 v[4:5], v[2:3], v[4:5], s[6:7]
	s_mov_b32 s6, 0x3eccf45f
	s_mov_b32 s7, 0x43064b0a
	s_delay_alu instid0(VALU_DEP_2) | instskip(SKIP_2) | instid1(VALU_DEP_2)
	v_fma_f64 v[6:7], v[2:3], v[6:7], s[4:5]
	s_mov_b32 s4, 0xe6ccf175
	s_mov_b32 s5, 0xc2d08a92
	v_fma_f64 v[4:5], v[2:3], v[4:5], s[6:7]
	s_mov_b32 s6, 0xf4653f81
	s_mov_b32 s7, 0x4373e0bf
	s_delay_alu instid0(VALU_DEP_2) | instskip(SKIP_2) | instid1(VALU_DEP_2)
	;; [unrolled: 7-line block ×3, first 2 shown]
	v_fma_f64 v[6:7], v[2:3], v[6:7], s[4:5]
	s_mov_b32 s4, 0x4189822c
	s_mov_b32 s5, 0xc02d5d2b
	v_fma_f64 v[2:3], v[2:3], v[4:5], s[6:7]
	s_delay_alu instid0(VALU_DEP_1) | instskip(SKIP_1) | instid1(VALU_DEP_2)
	v_div_scale_f64 v[4:5], null, v[2:3], v[2:3], v[6:7]
	v_div_scale_f64 v[12:13], vcc_lo, v[6:7], v[2:3], v[6:7]
	v_rcp_f64_e32 v[8:9], v[4:5]
	s_waitcnt_depctr 0xfff
	v_fma_f64 v[10:11], -v[4:5], v[8:9], 1.0
	s_delay_alu instid0(VALU_DEP_1) | instskip(NEXT) | instid1(VALU_DEP_1)
	v_fma_f64 v[8:9], v[8:9], v[10:11], v[8:9]
	v_fma_f64 v[10:11], -v[4:5], v[8:9], 1.0
	s_delay_alu instid0(VALU_DEP_1) | instskip(NEXT) | instid1(VALU_DEP_1)
	v_fma_f64 v[8:9], v[8:9], v[10:11], v[8:9]
	v_mul_f64 v[10:11], v[12:13], v[8:9]
	s_delay_alu instid0(VALU_DEP_1) | instskip(NEXT) | instid1(VALU_DEP_1)
	v_fma_f64 v[4:5], -v[4:5], v[10:11], v[12:13]
	v_div_fmas_f64 v[4:5], v[4:5], v[8:9], v[10:11]
	s_delay_alu instid0(VALU_DEP_1) | instskip(SKIP_3) | instid1(VALU_DEP_2)
	v_div_fixup_f64 v[2:3], v[4:5], v[2:3], v[6:7]
	v_fma_f64 v[4:5], v[0:1], v[0:1], s[4:5]
	s_mov_b32 s4, 0x6072a432
	s_mov_b32 s5, 0xc0489bf6
	v_mul_f64 v[2:3], v[2:3], v[0:1]
	v_fma_f64 v[0:1], v[0:1], v[0:1], s[4:5]
	s_delay_alu instid0(VALU_DEP_2) | instskip(NEXT) | instid1(VALU_DEP_1)
	v_mul_f64 v[2:3], v[4:5], v[2:3]
	v_mul_f64 v[2:3], v[0:1], v[2:3]
                                        ; implicit-def: $vgpr0_vgpr1
.LBB0_3:
	s_and_not1_saveexec_b32 s4, s0
	s_cbranch_execz .LBB0_13
; %bb.4:
	s_mov_b32 s0, 0x7f3321d2
	s_mov_b32 s1, 0xc002d97c
                                        ; implicit-def: $vgpr20
                                        ; implicit-def: $vgpr4_vgpr5
                                        ; implicit-def: $vgpr6_vgpr7
	s_delay_alu instid0(SALU_CYCLE_1) | instskip(NEXT) | instid1(VALU_DEP_1)
	v_add_f64 v[2:3], v[0:1], s[0:1]
	v_cmp_ngt_f64_e64 s1, 0x41d00000, |v[2:3]|
	v_trig_preop_f64 v[16:17], |v[2:3]|, 0
	v_trig_preop_f64 v[14:15], |v[2:3]|, 1
	v_ldexp_f64 v[18:19], |v[2:3]|, 0xffffff80
	v_trig_preop_f64 v[12:13], |v[2:3]|, 2
	v_and_b32_e32 v22, 0x7fffffff, v3
	s_and_saveexec_b32 s0, s1
	s_delay_alu instid0(SALU_CYCLE_1)
	s_xor_b32 s2, exec_lo, s0
	s_cbranch_execz .LBB0_6
; %bb.5:
	v_cmp_le_f64_e64 vcc_lo, 0x7b000000, |v[2:3]|
	v_mov_b32_e32 v33, 0
	s_mov_b32 s6, 0x54442d18
	s_mov_b32 s7, 0x3ff921fb
	s_mov_b32 s8, 0x33145c07
	s_mov_b32 s9, 0x3c91a626
	v_cndmask_b32_e32 v5, v22, v19, vcc_lo
	v_cndmask_b32_e32 v4, v2, v18, vcc_lo
	s_delay_alu instid0(VALU_DEP_1) | instskip(SKIP_1) | instid1(VALU_DEP_2)
	v_mul_f64 v[6:7], v[16:17], v[4:5]
	v_mul_f64 v[8:9], v[14:15], v[4:5]
	v_fma_f64 v[10:11], v[16:17], v[4:5], -v[6:7]
	s_delay_alu instid0(VALU_DEP_2) | instskip(NEXT) | instid1(VALU_DEP_2)
	v_fma_f64 v[31:32], v[14:15], v[4:5], -v[8:9]
	v_add_f64 v[20:21], v[8:9], v[10:11]
	s_delay_alu instid0(VALU_DEP_1) | instskip(SKIP_1) | instid1(VALU_DEP_2)
	v_add_f64 v[23:24], v[20:21], -v[8:9]
	v_add_f64 v[27:28], v[6:7], v[20:21]
	v_add_f64 v[25:26], v[20:21], -v[23:24]
	v_add_f64 v[10:11], v[10:11], -v[23:24]
	s_delay_alu instid0(VALU_DEP_3) | instskip(SKIP_1) | instid1(VALU_DEP_4)
	v_ldexp_f64 v[23:24], v[27:28], -2
	v_add_f64 v[6:7], v[27:28], -v[6:7]
	v_add_f64 v[8:9], v[8:9], -v[25:26]
	s_delay_alu instid0(VALU_DEP_3) | instskip(NEXT) | instid1(VALU_DEP_3)
	v_cmp_neq_f64_e64 vcc_lo, 0x7ff00000, |v[23:24]|
	v_add_f64 v[6:7], v[20:21], -v[6:7]
	s_delay_alu instid0(VALU_DEP_3) | instskip(SKIP_1) | instid1(VALU_DEP_1)
	v_add_f64 v[8:9], v[10:11], v[8:9]
	v_fract_f64_e32 v[10:11], v[23:24]
	v_dual_cndmask_b32 v11, 0, v11 :: v_dual_cndmask_b32 v10, 0, v10
	v_mul_f64 v[29:30], v[12:13], v[4:5]
	s_delay_alu instid0(VALU_DEP_2) | instskip(NEXT) | instid1(VALU_DEP_2)
	v_ldexp_f64 v[10:11], v[10:11], 2
	v_add_f64 v[25:26], v[29:30], v[31:32]
	v_fma_f64 v[4:5], v[12:13], v[4:5], -v[29:30]
	s_delay_alu instid0(VALU_DEP_2) | instskip(NEXT) | instid1(VALU_DEP_1)
	v_add_f64 v[20:21], v[25:26], v[8:9]
	v_add_f64 v[23:24], v[6:7], v[20:21]
	s_delay_alu instid0(VALU_DEP_1) | instskip(SKIP_1) | instid1(VALU_DEP_2)
	v_add_f64 v[27:28], v[23:24], v[10:11]
	v_add_f64 v[6:7], v[23:24], -v[6:7]
	v_cmp_gt_f64_e32 vcc_lo, 0, v[27:28]
	v_add_f64 v[27:28], v[25:26], -v[29:30]
	s_delay_alu instid0(VALU_DEP_3) | instskip(SKIP_1) | instid1(VALU_DEP_3)
	v_add_f64 v[6:7], v[20:21], -v[6:7]
	v_cndmask_b32_e64 v34, 0, 0x40100000, vcc_lo
	v_add_f64 v[38:39], v[25:26], -v[27:28]
	v_add_f64 v[27:28], v[31:32], -v[27:28]
	s_delay_alu instid0(VALU_DEP_3) | instskip(SKIP_1) | instid1(VALU_DEP_4)
	v_add_f64 v[10:11], v[10:11], v[33:34]
	v_add_f64 v[34:35], v[20:21], -v[25:26]
	v_add_f64 v[31:32], v[29:30], -v[38:39]
	s_delay_alu instid0(VALU_DEP_3) | instskip(NEXT) | instid1(VALU_DEP_3)
	v_add_f64 v[36:37], v[23:24], v[10:11]
	v_add_f64 v[48:49], v[20:21], -v[34:35]
	v_add_f64 v[8:9], v[8:9], -v[34:35]
	s_delay_alu instid0(VALU_DEP_4) | instskip(NEXT) | instid1(VALU_DEP_4)
	v_add_f64 v[27:28], v[27:28], v[31:32]
	v_cvt_i32_f64_e32 v36, v[36:37]
	s_delay_alu instid0(VALU_DEP_4) | instskip(NEXT) | instid1(VALU_DEP_2)
	v_add_f64 v[25:26], v[25:26], -v[48:49]
	v_cvt_f64_i32_e32 v[34:35], v36
	s_delay_alu instid0(VALU_DEP_2) | instskip(NEXT) | instid1(VALU_DEP_2)
	v_add_f64 v[8:9], v[8:9], v[25:26]
	v_add_f64 v[10:11], v[10:11], -v[34:35]
	s_delay_alu instid0(VALU_DEP_2) | instskip(NEXT) | instid1(VALU_DEP_2)
	v_add_f64 v[8:9], v[27:28], v[8:9]
	v_add_f64 v[25:26], v[23:24], v[10:11]
	s_delay_alu instid0(VALU_DEP_2) | instskip(NEXT) | instid1(VALU_DEP_2)
	v_add_f64 v[4:5], v[4:5], v[8:9]
	v_add_f64 v[8:9], v[25:26], -v[10:11]
	v_cmp_le_f64_e32 vcc_lo, 0.5, v[25:26]
	s_delay_alu instid0(VALU_DEP_3) | instskip(NEXT) | instid1(VALU_DEP_3)
	v_add_f64 v[4:5], v[6:7], v[4:5]
	v_add_f64 v[6:7], v[23:24], -v[8:9]
	v_cndmask_b32_e64 v34, 0, 0x3ff00000, vcc_lo
	v_add_co_ci_u32_e64 v20, s0, 0, v36, vcc_lo
	s_delay_alu instid0(VALU_DEP_3) | instskip(NEXT) | instid1(VALU_DEP_3)
	v_add_f64 v[4:5], v[4:5], v[6:7]
	v_add_f64 v[6:7], v[25:26], -v[33:34]
	s_delay_alu instid0(VALU_DEP_1) | instskip(NEXT) | instid1(VALU_DEP_1)
	v_add_f64 v[8:9], v[6:7], v[4:5]
	v_mul_f64 v[10:11], v[8:9], s[6:7]
	v_add_f64 v[6:7], v[8:9], -v[6:7]
	s_delay_alu instid0(VALU_DEP_2) | instskip(NEXT) | instid1(VALU_DEP_2)
	v_fma_f64 v[23:24], v[8:9], s[6:7], -v[10:11]
	v_add_f64 v[4:5], v[4:5], -v[6:7]
	s_delay_alu instid0(VALU_DEP_2) | instskip(NEXT) | instid1(VALU_DEP_1)
	v_fma_f64 v[6:7], v[8:9], s[8:9], v[23:24]
	v_fma_f64 v[6:7], v[4:5], s[6:7], v[6:7]
	s_delay_alu instid0(VALU_DEP_1) | instskip(NEXT) | instid1(VALU_DEP_1)
	v_add_f64 v[4:5], v[10:11], v[6:7]
	v_add_f64 v[8:9], v[4:5], -v[10:11]
	s_delay_alu instid0(VALU_DEP_1)
	v_add_f64 v[6:7], v[6:7], -v[8:9]
	s_and_not1_saveexec_b32 s0, s2
	s_cbranch_execz .LBB0_8
	s_branch .LBB0_7
.LBB0_6:
	s_and_not1_saveexec_b32 s0, s2
	s_cbranch_execz .LBB0_8
.LBB0_7:
	s_mov_b32 s6, 0x6dc9c883
	s_mov_b32 s7, 0x3fe45f30
	;; [unrolled: 1-line block ×3, first 2 shown]
	v_mul_f64 v[4:5], |v[2:3]|, s[6:7]
	s_mov_b32 s6, 0x54442d18
	s_mov_b32 s7, 0xbff921fb
	;; [unrolled: 1-line block ×3, first 2 shown]
	s_delay_alu instid0(VALU_DEP_1) | instskip(NEXT) | instid1(VALU_DEP_1)
	v_rndne_f64_e32 v[8:9], v[4:5]
	v_fma_f64 v[4:5], v[8:9], s[6:7], |v[2:3]|
	v_mul_f64 v[6:7], v[8:9], s[8:9]
	s_mov_b32 s6, 0x252049c0
	s_mov_b32 s7, 0xb97b839a
	s_delay_alu instid0(VALU_DEP_2) | instskip(NEXT) | instid1(VALU_DEP_2)
	v_fma_f64 v[20:21], v[8:9], s[8:9], v[4:5]
	v_add_f64 v[10:11], v[4:5], v[6:7]
	s_mov_b32 s9, 0x3c91a626
	s_delay_alu instid0(VALU_DEP_1) | instskip(NEXT) | instid1(VALU_DEP_3)
	v_add_f64 v[4:5], v[4:5], -v[10:11]
	v_add_f64 v[10:11], v[10:11], -v[20:21]
	s_delay_alu instid0(VALU_DEP_2) | instskip(SKIP_1) | instid1(VALU_DEP_2)
	v_add_f64 v[4:5], v[4:5], v[6:7]
	v_fma_f64 v[6:7], v[8:9], s[8:9], v[6:7]
	v_add_f64 v[4:5], v[10:11], v[4:5]
	s_delay_alu instid0(VALU_DEP_1) | instskip(NEXT) | instid1(VALU_DEP_1)
	v_add_f64 v[4:5], v[4:5], -v[6:7]
	v_fma_f64 v[6:7], v[8:9], s[6:7], v[4:5]
	s_delay_alu instid0(VALU_DEP_1) | instskip(NEXT) | instid1(VALU_DEP_1)
	v_add_f64 v[4:5], v[20:21], v[6:7]
	v_add_f64 v[10:11], v[4:5], -v[20:21]
	v_cvt_i32_f64_e32 v20, v[8:9]
	s_delay_alu instid0(VALU_DEP_2)
	v_add_f64 v[6:7], v[6:7], -v[10:11]
.LBB0_8:
	s_or_b32 exec_lo, exec_lo, s0
                                        ; implicit-def: $vgpr21
                                        ; implicit-def: $vgpr8_vgpr9
                                        ; implicit-def: $vgpr10_vgpr11
	s_and_saveexec_b32 s0, s1
	s_delay_alu instid0(SALU_CYCLE_1)
	s_xor_b32 s1, exec_lo, s0
	s_cbranch_execz .LBB0_10
; %bb.9:
	v_cmp_le_f64_e64 vcc_lo, 0x7b000000, |v[2:3]|
	v_mov_b32_e32 v31, 0
	s_mov_b32 s6, 0x54442d18
	s_mov_b32 s7, 0x3ff921fb
	;; [unrolled: 1-line block ×4, first 2 shown]
	v_cndmask_b32_e32 v9, v22, v19, vcc_lo
	v_cndmask_b32_e32 v8, v2, v18, vcc_lo
	s_delay_alu instid0(VALU_DEP_1) | instskip(SKIP_1) | instid1(VALU_DEP_2)
	v_mul_f64 v[10:11], v[16:17], v[8:9]
	v_mul_f64 v[18:19], v[14:15], v[8:9]
	v_fma_f64 v[16:17], v[16:17], v[8:9], -v[10:11]
	s_delay_alu instid0(VALU_DEP_2) | instskip(NEXT) | instid1(VALU_DEP_2)
	v_fma_f64 v[14:15], v[14:15], v[8:9], -v[18:19]
	v_add_f64 v[21:22], v[18:19], v[16:17]
	s_delay_alu instid0(VALU_DEP_1) | instskip(SKIP_1) | instid1(VALU_DEP_2)
	v_add_f64 v[23:24], v[21:22], -v[18:19]
	v_add_f64 v[27:28], v[10:11], v[21:22]
	v_add_f64 v[25:26], v[21:22], -v[23:24]
	v_add_f64 v[16:17], v[16:17], -v[23:24]
	s_delay_alu instid0(VALU_DEP_3) | instskip(SKIP_1) | instid1(VALU_DEP_4)
	v_ldexp_f64 v[23:24], v[27:28], -2
	v_add_f64 v[10:11], v[27:28], -v[10:11]
	v_add_f64 v[18:19], v[18:19], -v[25:26]
	s_delay_alu instid0(VALU_DEP_3) | instskip(NEXT) | instid1(VALU_DEP_3)
	v_cmp_neq_f64_e64 vcc_lo, 0x7ff00000, |v[23:24]|
	v_add_f64 v[10:11], v[21:22], -v[10:11]
	s_delay_alu instid0(VALU_DEP_3) | instskip(SKIP_1) | instid1(VALU_DEP_1)
	v_add_f64 v[16:17], v[16:17], v[18:19]
	v_fract_f64_e32 v[18:19], v[23:24]
	v_dual_cndmask_b32 v19, 0, v19 :: v_dual_cndmask_b32 v18, 0, v18
	v_mul_f64 v[29:30], v[12:13], v[8:9]
	s_delay_alu instid0(VALU_DEP_2) | instskip(NEXT) | instid1(VALU_DEP_2)
	v_ldexp_f64 v[18:19], v[18:19], 2
	v_add_f64 v[25:26], v[29:30], v[14:15]
	v_fma_f64 v[8:9], v[12:13], v[8:9], -v[29:30]
	s_delay_alu instid0(VALU_DEP_2) | instskip(NEXT) | instid1(VALU_DEP_1)
	v_add_f64 v[21:22], v[25:26], v[16:17]
	v_add_f64 v[23:24], v[10:11], v[21:22]
	s_delay_alu instid0(VALU_DEP_1) | instskip(SKIP_1) | instid1(VALU_DEP_2)
	v_add_f64 v[27:28], v[23:24], v[18:19]
	v_add_f64 v[10:11], v[23:24], -v[10:11]
	v_cmp_gt_f64_e32 vcc_lo, 0, v[27:28]
	v_add_f64 v[27:28], v[25:26], -v[29:30]
	s_delay_alu instid0(VALU_DEP_3) | instskip(SKIP_1) | instid1(VALU_DEP_3)
	v_add_f64 v[10:11], v[21:22], -v[10:11]
	v_cndmask_b32_e64 v32, 0, 0x40100000, vcc_lo
	v_add_f64 v[36:37], v[25:26], -v[27:28]
	v_add_f64 v[14:15], v[14:15], -v[27:28]
	s_delay_alu instid0(VALU_DEP_3) | instskip(SKIP_1) | instid1(VALU_DEP_4)
	v_add_f64 v[18:19], v[18:19], v[31:32]
	v_add_f64 v[32:33], v[21:22], -v[25:26]
	v_add_f64 v[27:28], v[29:30], -v[36:37]
	s_delay_alu instid0(VALU_DEP_3) | instskip(NEXT) | instid1(VALU_DEP_3)
	v_add_f64 v[34:35], v[23:24], v[18:19]
	v_add_f64 v[38:39], v[21:22], -v[32:33]
	v_add_f64 v[16:17], v[16:17], -v[32:33]
	s_delay_alu instid0(VALU_DEP_4) | instskip(NEXT) | instid1(VALU_DEP_4)
	v_add_f64 v[14:15], v[14:15], v[27:28]
	v_cvt_i32_f64_e32 v34, v[34:35]
	s_delay_alu instid0(VALU_DEP_4) | instskip(NEXT) | instid1(VALU_DEP_2)
	v_add_f64 v[25:26], v[25:26], -v[38:39]
	v_cvt_f64_i32_e32 v[32:33], v34
	s_delay_alu instid0(VALU_DEP_2) | instskip(NEXT) | instid1(VALU_DEP_2)
	v_add_f64 v[16:17], v[16:17], v[25:26]
	v_add_f64 v[18:19], v[18:19], -v[32:33]
	s_delay_alu instid0(VALU_DEP_2) | instskip(NEXT) | instid1(VALU_DEP_2)
	v_add_f64 v[12:13], v[14:15], v[16:17]
	v_add_f64 v[14:15], v[23:24], v[18:19]
	s_delay_alu instid0(VALU_DEP_2) | instskip(NEXT) | instid1(VALU_DEP_2)
	v_add_f64 v[8:9], v[8:9], v[12:13]
	v_add_f64 v[12:13], v[14:15], -v[18:19]
	v_cmp_le_f64_e32 vcc_lo, 0.5, v[14:15]
	s_delay_alu instid0(VALU_DEP_3) | instskip(NEXT) | instid1(VALU_DEP_3)
	v_add_f64 v[8:9], v[10:11], v[8:9]
	v_add_f64 v[10:11], v[23:24], -v[12:13]
	v_cndmask_b32_e64 v32, 0, 0x3ff00000, vcc_lo
	v_add_co_ci_u32_e64 v21, s0, 0, v34, vcc_lo
	s_delay_alu instid0(VALU_DEP_3) | instskip(NEXT) | instid1(VALU_DEP_3)
	v_add_f64 v[8:9], v[8:9], v[10:11]
	v_add_f64 v[10:11], v[14:15], -v[31:32]
	s_delay_alu instid0(VALU_DEP_1) | instskip(NEXT) | instid1(VALU_DEP_1)
	v_add_f64 v[12:13], v[10:11], v[8:9]
	v_mul_f64 v[14:15], v[12:13], s[6:7]
	v_add_f64 v[10:11], v[12:13], -v[10:11]
	s_delay_alu instid0(VALU_DEP_2) | instskip(NEXT) | instid1(VALU_DEP_2)
	v_fma_f64 v[16:17], v[12:13], s[6:7], -v[14:15]
	v_add_f64 v[8:9], v[8:9], -v[10:11]
	s_delay_alu instid0(VALU_DEP_2) | instskip(NEXT) | instid1(VALU_DEP_1)
	v_fma_f64 v[10:11], v[12:13], s[8:9], v[16:17]
	v_fma_f64 v[10:11], v[8:9], s[6:7], v[10:11]
	s_delay_alu instid0(VALU_DEP_1) | instskip(NEXT) | instid1(VALU_DEP_1)
	v_add_f64 v[8:9], v[14:15], v[10:11]
	v_add_f64 v[12:13], v[8:9], -v[14:15]
	s_delay_alu instid0(VALU_DEP_1)
	v_add_f64 v[10:11], v[10:11], -v[12:13]
	s_and_not1_saveexec_b32 s0, s1
	s_cbranch_execnz .LBB0_11
	s_branch .LBB0_12
.LBB0_10:
	s_and_not1_saveexec_b32 s0, s1
	s_cbranch_execz .LBB0_12
.LBB0_11:
	s_mov_b32 s6, 0x6dc9c883
	s_mov_b32 s7, 0x3fe45f30
	s_mov_b32 s9, 0xbc91a626
	v_mul_f64 v[8:9], |v[2:3]|, s[6:7]
	s_mov_b32 s6, 0x54442d18
	s_mov_b32 s7, 0xbff921fb
	;; [unrolled: 1-line block ×3, first 2 shown]
	s_delay_alu instid0(VALU_DEP_1) | instskip(NEXT) | instid1(VALU_DEP_1)
	v_rndne_f64_e32 v[12:13], v[8:9]
	v_fma_f64 v[8:9], v[12:13], s[6:7], |v[2:3]|
	v_mul_f64 v[10:11], v[12:13], s[8:9]
	s_mov_b32 s6, 0x252049c0
	s_mov_b32 s7, 0xb97b839a
	v_cvt_i32_f64_e32 v21, v[12:13]
	s_delay_alu instid0(VALU_DEP_3) | instskip(NEXT) | instid1(VALU_DEP_3)
	v_fma_f64 v[16:17], v[12:13], s[8:9], v[8:9]
	v_add_f64 v[14:15], v[8:9], v[10:11]
	s_mov_b32 s9, 0x3c91a626
	s_delay_alu instid0(VALU_DEP_1) | instskip(NEXT) | instid1(VALU_DEP_3)
	v_add_f64 v[8:9], v[8:9], -v[14:15]
	v_add_f64 v[14:15], v[14:15], -v[16:17]
	s_delay_alu instid0(VALU_DEP_2) | instskip(SKIP_1) | instid1(VALU_DEP_2)
	v_add_f64 v[8:9], v[8:9], v[10:11]
	v_fma_f64 v[10:11], v[12:13], s[8:9], v[10:11]
	v_add_f64 v[8:9], v[14:15], v[8:9]
	s_delay_alu instid0(VALU_DEP_1) | instskip(NEXT) | instid1(VALU_DEP_1)
	v_add_f64 v[8:9], v[8:9], -v[10:11]
	v_fma_f64 v[10:11], v[12:13], s[6:7], v[8:9]
	s_delay_alu instid0(VALU_DEP_1) | instskip(NEXT) | instid1(VALU_DEP_1)
	v_add_f64 v[8:9], v[16:17], v[10:11]
	v_add_f64 v[14:15], v[8:9], -v[16:17]
	s_delay_alu instid0(VALU_DEP_1)
	v_add_f64 v[10:11], v[10:11], -v[14:15]
.LBB0_12:
	s_or_b32 exec_lo, exec_lo, s0
	v_div_scale_f64 v[12:13], null, v[0:1], v[0:1], 0x40140000
	v_div_scale_f64 v[18:19], vcc_lo, 0x40140000, v[0:1], 0x40140000
	s_mov_b32 s0, 0x6b70ba40
	s_mov_b32 s1, 0x3faa27fa
	;; [unrolled: 1-line block ×6, first 2 shown]
	v_mul_f64 v[28:29], v[4:5], v[4:5]
	v_mul_f64 v[34:35], v[8:9], v[8:9]
	s_mov_b32 s10, 0x796cde01
	s_mov_b32 s11, 0x3ec71de3
	v_mul_f64 v[82:83], v[6:7], 0.5
	v_rcp_f64_e32 v[14:15], v[12:13]
	s_delay_alu instid0(VALU_DEP_3) | instskip(SKIP_1) | instid1(VALU_DEP_4)
	v_mul_f64 v[54:55], v[28:29], 0.5
	v_mul_f64 v[84:85], v[4:5], -v[28:29]
	v_mul_f64 v[98:99], v[8:9], -v[34:35]
	s_waitcnt_depctr 0xfff
	v_fma_f64 v[16:17], -v[12:13], v[14:15], 1.0
	s_delay_alu instid0(VALU_DEP_1) | instskip(NEXT) | instid1(VALU_DEP_1)
	v_fma_f64 v[14:15], v[14:15], v[16:17], v[14:15]
	v_fma_f64 v[16:17], -v[12:13], v[14:15], 1.0
	s_delay_alu instid0(VALU_DEP_1) | instskip(NEXT) | instid1(VALU_DEP_1)
	v_fma_f64 v[14:15], v[14:15], v[16:17], v[14:15]
	v_mul_f64 v[16:17], v[18:19], v[14:15]
	s_delay_alu instid0(VALU_DEP_1) | instskip(NEXT) | instid1(VALU_DEP_1)
	v_fma_f64 v[12:13], -v[12:13], v[16:17], v[18:19]
	v_div_fmas_f64 v[12:13], v[12:13], v[14:15], v[16:17]
	s_delay_alu instid0(VALU_DEP_1) | instskip(NEXT) | instid1(VALU_DEP_1)
	v_div_fixup_f64 v[12:13], v[12:13], v[0:1], 0x40140000
	v_mul_f64 v[14:15], v[12:13], v[12:13]
	s_delay_alu instid0(VALU_DEP_1)
	v_fma_f64 v[16:17], v[14:15], 0, s[0:1]
	s_mov_b32 s0, 0x4c6c651b
	s_mov_b32 s1, 0x3f48f92c
	v_fma_f64 v[18:19], v[14:15], 0, s[6:7]
	v_fma_f64 v[22:23], v[14:15], 0, s[0:1]
	s_mov_b32 s0, 0xc66d8fd6
	s_mov_b32 s1, 0x4013edb5
	v_fma_f64 v[24:25], v[14:15], 0, s[8:9]
	s_mov_b32 s6, 0x5948aa83
	s_mov_b32 s7, 0x3fb19fdd
	s_mov_b32 s8, 0xa20e5f6f
	s_mov_b32 s9, 0x409081cb
	s_delay_alu instid0(VALU_DEP_4) | instskip(SKIP_2) | instid1(VALU_DEP_4)
	v_fma_f64 v[16:17], v[14:15], v[16:17], s[0:1]
	s_mov_b32 s0, 0xa3fec4b6
	s_mov_b32 s1, 0x3fb2b948
	v_fma_f64 v[18:19], v[14:15], v[18:19], s[6:7]
	s_delay_alu instid0(VALU_DEP_4) | instskip(SKIP_2) | instid1(VALU_DEP_4)
	v_fma_f64 v[22:23], v[14:15], v[22:23], s[0:1]
	s_mov_b32 s0, 0x9acf1c67
	s_mov_b32 s1, 0x4052f4b9
	v_fma_f64 v[24:25], v[14:15], v[24:25], s[8:9]
	s_mov_b32 s6, 0xb850eed6
	s_mov_b32 s7, 0x3ff1aea9
	s_mov_b32 s8, 0x1bfdfe81
	s_mov_b32 s9, 0x40b37a69
	s_delay_alu instid0(VALU_DEP_4) | instskip(SKIP_2) | instid1(VALU_DEP_4)
	v_fma_f64 v[16:17], v[14:15], v[16:17], s[0:1]
	s_mov_b32 s0, 0xc21596d6
	s_mov_b32 s1, 0x3ff208fe
	v_fma_f64 v[18:19], v[14:15], v[18:19], s[6:7]
	s_delay_alu instid0(VALU_DEP_4) | instskip(SKIP_2) | instid1(VALU_DEP_4)
	;; [unrolled: 14-line block ×5, first 2 shown]
	v_fma_f64 v[22:23], v[14:15], v[22:23], s[0:1]
	s_mov_b32 s0, 0x4c54bb0b
	s_mov_b32 s1, 0x406a760a
	v_fma_f64 v[24:25], v[14:15], v[24:25], s[8:9]
	s_mov_b32 s6, 0x4d159eb5
	s_mov_b32 s7, 0x403934ff
	;; [unrolled: 1-line block ×4, first 2 shown]
	s_delay_alu instid0(VALU_DEP_4) | instskip(SKIP_2) | instid1(VALU_DEP_4)
	v_fma_f64 v[16:17], v[14:15], v[16:17], s[0:1]
	s_mov_b32 s0, 0x6ae75997
	s_mov_b32 s1, 0x4075017f
	v_fma_f64 v[18:19], v[14:15], v[18:19], 1.0
	s_delay_alu instid0(VALU_DEP_4) | instskip(NEXT) | instid1(VALU_DEP_4)
	v_fma_f64 v[22:23], v[14:15], v[22:23], 1.0
	v_fma_f64 v[24:25], v[14:15], v[24:25], s[0:1]
	s_mov_b32 s0, 0xb42fdfa7
	s_mov_b32 s1, 0xbe5ae600
	s_delay_alu instid0(VALU_DEP_4) | instskip(SKIP_2) | instid1(VALU_DEP_3)
	v_fma_f64 v[14:15], v[14:15], v[16:17], s[6:7]
	s_mov_b32 s6, 0xf9a43bb8
	s_mov_b32 s7, 0x3de5e0b2
	v_div_scale_f64 v[16:17], null, v[18:19], v[18:19], v[22:23]
	v_fma_f64 v[36:37], v[28:29], s[6:7], s[0:1]
	v_fma_f64 v[50:51], v[34:35], s[6:7], s[0:1]
	v_cmp_gt_f64_e64 s0, 0x10000000, v[0:1]
	s_mov_b32 s6, 0x9037ab78
	s_mov_b32 s7, 0x3e21eeb6
	v_div_scale_f64 v[96:97], vcc_lo, v[22:23], v[18:19], v[22:23]
	v_fma_f64 v[52:53], v[28:29], s[8:9], s[6:7]
	v_div_scale_f64 v[26:27], null, v[24:25], v[24:25], v[14:15]
	v_rcp_f64_e32 v[30:31], v[16:17]
	v_fma_f64 v[36:37], v[28:29], v[36:37], s[10:11]
	v_fma_f64 v[50:51], v[34:35], v[50:51], s[10:11]
	s_delay_alu instid0(VALU_DEP_3) | instskip(SKIP_3) | instid1(VALU_DEP_2)
	v_rcp_f64_e32 v[32:33], v[26:27]
	s_waitcnt_depctr 0xfff
	v_fma_f64 v[38:39], -v[16:17], v[30:31], 1.0
	v_fma_f64 v[48:49], -v[26:27], v[32:33], 1.0
	v_fma_f64 v[30:31], v[30:31], v[38:39], v[30:31]
	v_cndmask_b32_e64 v38, 0, 1, s0
	s_delay_alu instid0(VALU_DEP_1) | instskip(SKIP_1) | instid1(VALU_DEP_2)
	v_lshlrev_b32_e32 v64, 8, v38
	v_mul_f64 v[38:39], v[34:35], 0.5
	v_ldexp_f64 v[0:1], v[0:1], v64
	v_add_f64 v[64:65], -v[54:55], 1.0
	v_fma_f64 v[32:33], v[32:33], v[48:49], v[32:33]
	v_fma_f64 v[48:49], v[34:35], s[8:9], s[6:7]
	s_mov_b32 s8, 0x19e83e5c
	s_mov_b32 s9, 0xbf2a01a0
	v_fma_f64 v[66:67], -v[16:17], v[30:31], 1.0
	v_fma_f64 v[36:37], v[28:29], v[36:37], s[8:9]
	s_mov_b32 s6, 0xa17f65f6
	s_mov_b32 s7, 0xbe927e4f
	v_fma_f64 v[50:51], v[34:35], v[50:51], s[8:9]
	v_fma_f64 v[52:53], v[28:29], v[52:53], s[6:7]
	s_mov_b32 s8, 0x11110bb3
	v_add_f64 v[70:71], -v[38:39], 1.0
	s_mov_b32 s9, 0x3f811111
	v_rsq_f64_e32 v[80:81], v[0:1]
	v_add_f64 v[86:87], -v[64:65], 1.0
	v_fma_f64 v[68:69], -v[26:27], v[32:33], 1.0
	v_fma_f64 v[48:49], v[34:35], v[48:49], s[6:7]
	s_mov_b32 s6, 0x19f4ec90
	s_mov_b32 s7, 0x3efa01a0
	v_fma_f64 v[30:31], v[30:31], v[66:67], v[30:31]
	v_fma_f64 v[36:37], v[28:29], v[36:37], s[8:9]
	v_div_scale_f64 v[66:67], s1, v[14:15], v[24:25], v[14:15]
	v_fma_f64 v[50:51], v[34:35], v[50:51], s[8:9]
	v_fma_f64 v[52:53], v[28:29], v[52:53], s[6:7]
	v_add_f64 v[100:101], -v[70:71], 1.0
	v_add_f64 v[54:55], v[86:87], -v[54:55]
	s_delay_alu instid0(TRANS32_DEP_1)
	v_mul_f64 v[102:103], v[0:1], v[80:81]
	v_mul_f64 v[80:81], v[80:81], 0.5
	v_fma_f64 v[32:33], v[32:33], v[68:69], v[32:33]
	v_mul_f64 v[68:69], v[10:11], 0.5
	v_fma_f64 v[48:49], v[34:35], v[48:49], s[6:7]
	s_mov_b32 s6, 0x16c16967
	s_mov_b32 s7, 0xbf56c16c
	v_fma_f64 v[36:37], v[84:85], v[36:37], v[82:83]
	v_mul_f64 v[82:83], v[96:97], v[30:31]
	v_fma_f64 v[52:53], v[28:29], v[52:53], s[6:7]
	v_add_f64 v[38:39], v[100:101], -v[38:39]
	v_fma_f64 v[54:55], v[4:5], -v[6:7], v[54:55]
	v_fma_f64 v[100:101], -v[80:81], v[102:103], 0.5
	v_mul_f64 v[86:87], v[66:67], v[32:33]
	v_fma_f64 v[50:51], v[98:99], v[50:51], v[68:69]
	v_fma_f64 v[48:49], v[34:35], v[48:49], s[6:7]
	s_mov_b32 s6, 0x55555555
	s_mov_b32 s7, 0x3fa55555
	v_fma_f64 v[6:7], v[28:29], v[36:37], -v[6:7]
	v_fma_f64 v[16:17], -v[16:17], v[82:83], v[96:97]
	v_mul_f64 v[68:69], v[28:29], v[28:29]
	v_fma_f64 v[52:53], v[28:29], v[52:53], s[6:7]
	v_mul_f64 v[28:29], v[34:35], v[34:35]
	v_fma_f64 v[38:39], v[8:9], -v[10:11], v[38:39]
	v_fma_f64 v[26:27], -v[26:27], v[86:87], v[66:67]
	v_fma_f64 v[10:11], v[34:35], v[50:51], -v[10:11]
	v_fma_f64 v[36:37], v[34:35], v[48:49], s[6:7]
	v_fma_f64 v[34:35], v[102:103], v[100:101], v[102:103]
	s_mov_b32 s7, 0xbfc55555
	v_div_fmas_f64 v[16:17], v[16:17], v[30:31], v[82:83]
	s_mov_b32 vcc_lo, s1
	v_fma_f64 v[6:7], v[84:85], s[6:7], v[6:7]
	v_fma_f64 v[30:31], v[80:81], v[100:101], v[80:81]
	;; [unrolled: 1-line block ×3, first 2 shown]
	v_cmp_class_f64_e64 s1, v[2:3], 0x1f8
	v_lshlrev_b32_e32 v2, 30, v21
	s_delay_alu instid0(VALU_DEP_1) | instskip(NEXT) | instid1(VALU_DEP_1)
	v_xor_b32_e32 v2, v2, v3
	v_and_b32_e32 v2, 0x80000000, v2
	v_div_fmas_f64 v[26:27], v[26:27], v[32:33], v[86:87]
	v_fma_f64 v[10:11], v[98:99], s[6:7], v[10:11]
	v_fma_f64 v[28:29], v[28:29], v[36:37], v[38:39]
	v_fma_f64 v[32:33], -v[34:35], v[34:35], v[0:1]
	v_add_f64 v[4:5], v[4:5], -v[6:7]
	v_add_f64 v[36:37], v[64:65], v[48:49]
	v_div_fixup_f64 v[6:7], v[26:27], v[24:25], v[14:15]
	v_add_f64 v[8:9], v[8:9], -v[10:11]
	v_add_f64 v[14:15], v[70:71], v[28:29]
	v_fma_f64 v[10:11], v[32:33], v[30:31], v[34:35]
	v_and_b32_e32 v24, 1, v20
	v_xor_b32_e32 v5, 0x80000000, v5
	s_delay_alu instid0(VALU_DEP_2) | instskip(NEXT) | instid1(VALU_DEP_2)
	v_cmp_eq_u32_e32 vcc_lo, 0, v24
	v_dual_cndmask_b32 v5, v5, v37 :: v_dual_cndmask_b32 v4, v4, v36
	v_cmp_class_f64_e64 vcc_lo, v[0:1], 0x260
	s_delay_alu instid0(VALU_DEP_2) | instskip(SKIP_2) | instid1(VALU_DEP_1)
	v_cndmask_b32_e64 v4, 0, v4, s1
	v_mul_f64 v[6:7], v[12:13], v[6:7]
	v_and_b32_e32 v12, 1, v21
	v_cmp_eq_u32_e64 s2, 0, v12
	v_div_fixup_f64 v[12:13], v[16:17], v[18:19], v[22:23]
	s_delay_alu instid0(VALU_DEP_2) | instskip(SKIP_1) | instid1(VALU_DEP_2)
	v_cndmask_b32_e64 v3, v15, v9, s2
	v_cndmask_b32_e64 v8, v14, v8, s2
	v_xor_b32_e32 v9, v3, v2
	v_fma_f64 v[2:3], -v[10:11], v[10:11], v[0:1]
	s_delay_alu instid0(VALU_DEP_3) | instskip(NEXT) | instid1(VALU_DEP_3)
	v_cndmask_b32_e64 v8, 0, v8, s1
	v_cndmask_b32_e64 v9, 0x7ff80000, v9, s1
	s_delay_alu instid0(VALU_DEP_1) | instskip(SKIP_1) | instid1(VALU_DEP_1)
	v_mul_f64 v[6:7], v[6:7], v[8:9]
	v_lshlrev_b32_e32 v8, 30, v20
	v_and_b32_e32 v8, 0x80000000, v8
	s_delay_alu instid0(VALU_DEP_1) | instskip(NEXT) | instid1(VALU_DEP_1)
	v_xor_b32_e32 v5, v5, v8
	v_cndmask_b32_e64 v5, 0x7ff80000, v5, s1
	v_fma_f64 v[2:3], v[2:3], v[30:31], v[10:11]
	s_delay_alu instid0(VALU_DEP_2) | instskip(SKIP_3) | instid1(VALU_DEP_1)
	v_fma_f64 v[4:5], v[12:13], v[4:5], -v[6:7]
	v_cndmask_b32_e64 v6, 0, 0xffffff80, s0
	s_mov_b32 s0, 0x33d43651
	s_mov_b32 s1, 0x3fe98845
	v_ldexp_f64 v[2:3], v[2:3], v6
	s_delay_alu instid0(VALU_DEP_3) | instskip(NEXT) | instid1(VALU_DEP_2)
	v_mul_f64 v[4:5], v[4:5], s[0:1]
	v_dual_cndmask_b32 v1, v3, v1 :: v_dual_cndmask_b32 v0, v2, v0
	s_delay_alu instid0(VALU_DEP_1) | instskip(NEXT) | instid1(VALU_DEP_1)
	v_div_scale_f64 v[2:3], null, v[0:1], v[0:1], v[4:5]
	v_rcp_f64_e32 v[6:7], v[2:3]
	s_waitcnt_depctr 0xfff
	v_fma_f64 v[8:9], -v[2:3], v[6:7], 1.0
	s_delay_alu instid0(VALU_DEP_1) | instskip(NEXT) | instid1(VALU_DEP_1)
	v_fma_f64 v[6:7], v[6:7], v[8:9], v[6:7]
	v_fma_f64 v[8:9], -v[2:3], v[6:7], 1.0
	s_delay_alu instid0(VALU_DEP_1) | instskip(SKIP_1) | instid1(VALU_DEP_1)
	v_fma_f64 v[6:7], v[6:7], v[8:9], v[6:7]
	v_div_scale_f64 v[8:9], vcc_lo, v[4:5], v[0:1], v[4:5]
	v_mul_f64 v[10:11], v[8:9], v[6:7]
	s_delay_alu instid0(VALU_DEP_1) | instskip(NEXT) | instid1(VALU_DEP_1)
	v_fma_f64 v[2:3], -v[2:3], v[10:11], v[8:9]
	v_div_fmas_f64 v[2:3], v[2:3], v[6:7], v[10:11]
	s_delay_alu instid0(VALU_DEP_1)
	v_div_fixup_f64 v[2:3], v[2:3], v[0:1], v[4:5]
.LBB0_13:
	s_or_b32 exec_lo, exec_lo, s4
                                        ; implicit-def: $vgpr0_vgpr1
.LBB0_14:
	s_and_not1_saveexec_b32 s34, s3
	s_cbranch_execz .LBB0_16
; %bb.15:
	v_xor_b32_e32 v1, 0x80000000, v1
	s_getpc_b64 s[0:1]
	s_add_u32 s0, s0, _Z17bessel_j1_forwardIdET_S0_@rel32@lo+4
	s_addc_u32 s1, s1, _Z17bessel_j1_forwardIdET_S0_@rel32@hi+12
	s_delay_alu instid0(SALU_CYCLE_1)
	s_swappc_b64 s[30:31], s[0:1]
	v_mov_b32_e32 v2, v0
	v_xor_b32_e32 v3, 0x80000000, v1
.LBB0_16:
	s_or_b32 exec_lo, exec_lo, s34
	v_readlane_b32 s30, v40, 1
	s_delay_alu instid0(VALU_DEP_2)
	v_dual_mov_b32 v0, v2 :: v_dual_mov_b32 v1, v3
	v_readlane_b32 s31, v40, 2
	v_readlane_b32 s34, v40, 0
	;; [unrolled: 1-line block ×3, first 2 shown]
	s_or_saveexec_b32 s1, -1
	scratch_load_b32 v40, off, s33          ; 4-byte Folded Reload
	s_mov_b32 exec_lo, s1
	s_add_i32 s32, s32, -16
	s_mov_b32 s33, s0
	s_waitcnt vmcnt(0)
	s_setpc_b64 s[30:31]
.Lfunc_end0:
	.size	_Z17bessel_j1_forwardIdET_S0_, .Lfunc_end0-_Z17bessel_j1_forwardIdET_S0_
                                        ; -- End function
	.section	.AMDGPU.csdata,"",@progbits
; Function info:
; codeLenInByte = 4776
; NumSgprs: 37
; NumVgprs: 104
; ScratchSize: 16
; MemoryBound: 0
	.text
	.p2align	2                               ; -- Begin function _ZN2at6native25elementwise_kernel_helperILb0EZZZNS0_12_GLOBAL__N_121bessel_y1_kernel_cudaERNS_18TensorIteratorBaseEENKUlvE_clEvENKUlvE_clEvEUldE_NS0_6memory8policies11unroll_baseILi256ESt5arrayIPcLm2EE23TrivialOffsetCalculatorILi1EjESF_NS8_15LoadWithoutCastENS8_16StoreWithoutCastELi4ELi1EEEEEvT0_T1_
	.type	_ZN2at6native25elementwise_kernel_helperILb0EZZZNS0_12_GLOBAL__N_121bessel_y1_kernel_cudaERNS_18TensorIteratorBaseEENKUlvE_clEvENKUlvE_clEvEUldE_NS0_6memory8policies11unroll_baseILi256ESt5arrayIPcLm2EE23TrivialOffsetCalculatorILi1EjESF_NS8_15LoadWithoutCastENS8_16StoreWithoutCastELi4ELi1EEEEEvT0_T1_,@function
_ZN2at6native25elementwise_kernel_helperILb0EZZZNS0_12_GLOBAL__N_121bessel_y1_kernel_cudaERNS_18TensorIteratorBaseEENKUlvE_clEvENKUlvE_clEvEUldE_NS0_6memory8policies11unroll_baseILi256ESt5arrayIPcLm2EE23TrivialOffsetCalculatorILi1EjESF_NS8_15LoadWithoutCastENS8_16StoreWithoutCastELi4ELi1EEEEEvT0_T1_: ; @_ZN2at6native25elementwise_kernel_helperILb0EZZZNS0_12_GLOBAL__N_121bessel_y1_kernel_cudaERNS_18TensorIteratorBaseEENKUlvE_clEvENKUlvE_clEvEUldE_NS0_6memory8policies11unroll_baseILi256ESt5arrayIPcLm2EE23TrivialOffsetCalculatorILi1EjESF_NS8_15LoadWithoutCastENS8_16StoreWithoutCastELi4ELi1EEEEEvT0_T1_
; %bb.0:
	s_waitcnt vmcnt(0) expcnt(0) lgkmcnt(0)
	s_mov_b32 s0, s33
	s_mov_b32 s33, s32
	s_or_saveexec_b32 s1, -1
	scratch_store_b32 off, v63, s33 offset:92 ; 4-byte Folded Spill
	s_mov_b32 exec_lo, s1
	v_writelane_b32 v63, s0, 9
	s_addk_i32 s32, 0x70
	s_clause 0x16
	scratch_store_b32 off, v40, s33 offset:88
	; meta instruction
	scratch_store_b32 off, v41, s33 offset:84
	; meta instruction
	;; [unrolled: 2-line block ×22, first 2 shown]
	scratch_store_b32 off, v79, s33
	v_writelane_b32 v63, s34, 0
	v_writelane_b32 v63, s35, 1
	;; [unrolled: 1-line block ×9, first 2 shown]
	v_and_b32_e32 v47, 0x3ff, v31
	v_mov_b32_e32 v45, 0
	v_mov_b32_e32 v46, 0
	s_lshl_b32 s36, s12, 10
	s_delay_alu instid0(VALU_DEP_3) | instskip(SKIP_4) | instid1(VALU_DEP_4)
	v_add_nc_u32_e32 v60, 0x100, v47
	v_cmp_lt_i32_e64 s35, v47, v4
	v_or_b32_e32 v58, s36, v47
	v_dual_mov_b32 v57, v46 :: v_dual_mov_b32 v56, v45
	v_mov_b32_e32 v5, v47
	s_and_saveexec_b32 s0, s35
	s_cbranch_execz .LBB1_2
; %bb.1:
	v_mov_b32_e32 v59, 0
	s_delay_alu instid0(VALU_DEP_1) | instskip(NEXT) | instid1(VALU_DEP_1)
	v_lshlrev_b64 v[5:6], 3, v[58:59]
	v_add_co_u32 v5, vcc_lo, v2, v5
	s_delay_alu instid0(VALU_DEP_2)
	v_add_co_ci_u32_e32 v6, vcc_lo, v3, v6, vcc_lo
	flat_load_b64 v[56:57], v[5:6]
	v_add_nc_u32_e32 v5, 0x100, v47
.LBB1_2:
	s_or_b32 exec_lo, exec_lo, s0
	s_delay_alu instid0(SALU_CYCLE_1) | instskip(NEXT) | instid1(VALU_DEP_1)
	s_mov_b32 s0, exec_lo
	v_cmpx_lt_i32_e64 v5, v4
	s_cbranch_execz .LBB1_4
; %bb.3:
	v_dual_mov_b32 v7, 0 :: v_dual_add_nc_u32 v6, s36, v5
	v_add_nc_u32_e32 v5, 0x100, v5
	s_delay_alu instid0(VALU_DEP_2) | instskip(NEXT) | instid1(VALU_DEP_1)
	v_lshlrev_b64 v[6:7], 3, v[6:7]
	v_add_co_u32 v6, vcc_lo, v2, v6
	s_delay_alu instid0(VALU_DEP_2)
	v_add_co_ci_u32_e32 v7, vcc_lo, v3, v7, vcc_lo
	flat_load_b64 v[45:46], v[6:7]
.LBB1_4:
	s_or_b32 exec_lo, exec_lo, s0
	v_mov_b32_e32 v41, 0
	v_mov_b32_e32 v42, 0
	s_mov_b32 s0, exec_lo
	s_delay_alu instid0(VALU_DEP_1)
	v_dual_mov_b32 v44, v42 :: v_dual_mov_b32 v43, v41
	v_cmpx_lt_i32_e64 v5, v4
	s_cbranch_execz .LBB1_16
; %bb.5:
	v_dual_mov_b32 v7, 0 :: v_dual_add_nc_u32 v6, s36, v5
	v_add_nc_u32_e32 v5, 0x100, v5
	s_delay_alu instid0(VALU_DEP_2) | instskip(NEXT) | instid1(VALU_DEP_1)
	v_lshlrev_b64 v[6:7], 3, v[6:7]
	v_add_co_u32 v6, vcc_lo, v2, v6
	s_delay_alu instid0(VALU_DEP_2) | instskip(SKIP_2) | instid1(SALU_CYCLE_1)
	v_add_co_ci_u32_e32 v7, vcc_lo, v3, v7, vcc_lo
	flat_load_b64 v[43:44], v[6:7]
	s_or_b32 exec_lo, exec_lo, s0
	s_mov_b32 s0, exec_lo
	v_cmpx_lt_i32_e64 v5, v4
	s_cbranch_execnz .LBB1_17
.LBB1_6:
	s_or_b32 exec_lo, exec_lo, s0
                                        ; implicit-def: $vgpr72_vgpr73_vgpr74_vgpr75_vgpr76_vgpr77_vgpr78_vgpr79
	s_and_saveexec_b32 s37, s35
	s_cbranch_execz .LBB1_18
.LBB1_7:
                                        ; implicit-def: $vgpr72_vgpr73
	s_mov_b32 s0, exec_lo
	s_waitcnt vmcnt(0) lgkmcnt(0)
	v_cmpx_ge_f64_e32 0x40140000, v[56:57]
	s_xor_b32 s38, exec_lo, s0
	s_cbranch_execz .LBB1_13
; %bb.8:
	v_mov_b32_e32 v72, 0
	v_mov_b32_e32 v73, 0xfff00000
	s_mov_b32 s39, exec_lo
	v_cmpx_neq_f64_e32 0, v[56:57]
	s_cbranch_execz .LBB1_12
; %bb.9:
	v_mov_b32_e32 v72, 0
	v_mov_b32_e32 v73, 0x7ff80000
	s_mov_b32 s40, exec_lo
	v_cmpx_nge_f64_e32 0, v[56:57]
	s_cbranch_execz .LBB1_11
; %bb.10:
	v_mul_f64 v[2:3], v[56:57], v[56:57]
	s_mov_b32 s0, 0xa93f7ac2
	s_mov_b32 s1, 0x40829269
	;; [unrolled: 1-line block ×4, first 2 shown]
	v_mov_b32_e32 v61, v0
	v_dual_mov_b32 v0, v56 :: v_dual_mov_b32 v59, v1
	v_dual_mov_b32 v1, v57 :: v_dual_mov_b32 v62, v4
	s_delay_alu instid0(VALU_DEP_4)
	v_fma_f64 v[5:6], v[2:3], 0, s[0:1]
	s_mov_b32 s0, 0xbe58ef7f
	s_mov_b32 s1, 0x410cc160
	s_delay_alu instid0(VALU_DEP_1) | instid1(SALU_CYCLE_1)
	v_fma_f64 v[5:6], v[2:3], v[5:6], s[0:1]
	s_mov_b32 s0, 0x62f9b6c5
	s_mov_b32 s1, 0x41d2d2be
	s_delay_alu instid0(SALU_CYCLE_1) | instskip(SKIP_2) | instid1(VALU_DEP_2)
	v_fma_f64 v[7:8], v[2:3], 0, s[0:1]
	s_mov_b32 s0, 0x58836521
	s_mov_b32 s1, 0xc262d72d
	v_fma_f64 v[5:6], v[2:3], v[5:6], s[2:3]
	s_mov_b32 s2, 0x906b7b83
	s_mov_b32 s3, 0x421178c3
	s_delay_alu instid0(VALU_DEP_2) | instskip(SKIP_2) | instid1(VALU_DEP_2)
	v_fma_f64 v[7:8], v[2:3], v[7:8], s[0:1]
	s_mov_b32 s0, 0xb0910fef
	s_mov_b32 s1, 0x42da0954
	v_fma_f64 v[5:6], v[2:3], v[5:6], s[2:3]
	s_mov_b32 s2, 0xfda99316
	s_mov_b32 s3, 0x428c3f5e
	s_delay_alu instid0(VALU_DEP_2) | instskip(SKIP_2) | instid1(VALU_DEP_2)
	;; [unrolled: 7-line block ×4, first 2 shown]
	v_fma_f64 v[7:8], v[2:3], v[7:8], s[0:1]
	s_mov_b32 s0, 0x5dde2b17
	s_mov_b32 s1, 0xc3a59e41
	v_fma_f64 v[5:6], v[2:3], v[5:6], s[2:3]
	s_mov_b32 s2, 0x90f6747f
	s_mov_b32 s3, 0x43cb90f1
	s_delay_alu instid0(VALU_DEP_2) | instskip(SKIP_3) | instid1(VALU_DEP_2)
	v_fma_f64 v[7:8], v[2:3], v[7:8], s[0:1]
	s_getpc_b64 s[0:1]
	s_add_u32 s0, s0, _Z17bessel_j1_forwardIdET_S0_@rel32@lo+4
	s_addc_u32 s1, s1, _Z17bessel_j1_forwardIdET_S0_@rel32@hi+12
	v_fma_f64 v[2:3], v[2:3], v[5:6], s[2:3]
	s_delay_alu instid0(VALU_DEP_1) | instskip(NEXT) | instid1(VALU_DEP_1)
	v_div_scale_f64 v[5:6], null, v[2:3], v[2:3], v[7:8]
	v_rcp_f64_e32 v[9:10], v[5:6]
	s_waitcnt_depctr 0xfff
	v_fma_f64 v[11:12], -v[5:6], v[9:10], 1.0
	s_delay_alu instid0(VALU_DEP_1) | instskip(NEXT) | instid1(VALU_DEP_1)
	v_fma_f64 v[9:10], v[9:10], v[11:12], v[9:10]
	v_fma_f64 v[11:12], -v[5:6], v[9:10], 1.0
	s_delay_alu instid0(VALU_DEP_1) | instskip(SKIP_1) | instid1(VALU_DEP_1)
	v_fma_f64 v[9:10], v[9:10], v[11:12], v[9:10]
	v_div_scale_f64 v[11:12], vcc_lo, v[7:8], v[2:3], v[7:8]
	v_mul_f64 v[13:14], v[11:12], v[9:10]
	s_delay_alu instid0(VALU_DEP_1) | instskip(NEXT) | instid1(VALU_DEP_1)
	v_fma_f64 v[5:6], -v[5:6], v[13:14], v[11:12]
	v_div_fmas_f64 v[5:6], v[5:6], v[9:10], v[13:14]
	s_delay_alu instid0(VALU_DEP_1)
	v_div_fixup_f64 v[72:73], v[5:6], v[2:3], v[7:8]
	s_swappc_b64 s[30:31], s[0:1]
	v_frexp_mant_f64_e32 v[5:6], v[56:57]
	s_mov_b32 s1, 0x3fe55555
	s_mov_b32 s0, 0x55555555
	v_mov_b32_e32 v2, v0
	v_dual_mov_b32 v0, v61 :: v_dual_mov_b32 v7, 0
	s_mov_b32 s2, 0x6b47b09a
	s_mov_b32 s4, 0xbf559e2b
	;; [unrolled: 1-line block ×4, first 2 shown]
	v_div_scale_f64 v[21:22], null, v[56:57], v[56:57], -1.0
	v_dual_mov_b32 v4, v62 :: v_dual_mov_b32 v3, v1
	v_mov_b32_e32 v1, v59
	v_cmp_gt_f64_e32 vcc_lo, s[0:1], v[5:6]
	s_mov_b32 s0, 0x55555780
	s_delay_alu instid0(VALU_DEP_4) | instskip(SKIP_1) | instid1(VALU_DEP_1)
	v_rcp_f64_e32 v[25:26], v[21:22]
	v_cndmask_b32_e64 v8, 0x3ff00000, 2.0, vcc_lo
	v_mul_f64 v[5:6], v[5:6], v[7:8]
	s_delay_alu instid0(VALU_DEP_1) | instskip(SKIP_1) | instid1(VALU_DEP_2)
	v_add_f64 v[7:8], v[5:6], 1.0
	v_add_f64 v[13:14], v[5:6], -1.0
	v_rcp_f64_e32 v[9:10], v[7:8]
	v_add_f64 v[15:16], v[7:8], -1.0
	s_delay_alu instid0(VALU_DEP_1) | instskip(SKIP_2) | instid1(VALU_DEP_1)
	v_add_f64 v[5:6], v[5:6], -v[15:16]
	s_waitcnt_depctr 0xfff
	v_fma_f64 v[11:12], -v[7:8], v[9:10], 1.0
	v_fma_f64 v[9:10], v[11:12], v[9:10], v[9:10]
	s_delay_alu instid0(VALU_DEP_1) | instskip(NEXT) | instid1(VALU_DEP_1)
	v_fma_f64 v[11:12], -v[7:8], v[9:10], 1.0
	v_fma_f64 v[9:10], v[11:12], v[9:10], v[9:10]
	s_delay_alu instid0(VALU_DEP_1) | instskip(NEXT) | instid1(VALU_DEP_1)
	v_mul_f64 v[11:12], v[13:14], v[9:10]
	v_mul_f64 v[17:18], v[7:8], v[11:12]
	s_delay_alu instid0(VALU_DEP_1) | instskip(NEXT) | instid1(VALU_DEP_1)
	v_fma_f64 v[7:8], v[11:12], v[7:8], -v[17:18]
	v_fma_f64 v[5:6], v[11:12], v[5:6], v[7:8]
	s_delay_alu instid0(VALU_DEP_1) | instskip(NEXT) | instid1(VALU_DEP_1)
	v_add_f64 v[7:8], v[17:18], v[5:6]
	v_add_f64 v[15:16], v[13:14], -v[7:8]
	v_add_f64 v[17:18], v[7:8], -v[17:18]
	s_delay_alu instid0(VALU_DEP_2) | instskip(NEXT) | instid1(VALU_DEP_2)
	v_add_f64 v[13:14], v[13:14], -v[15:16]
	v_add_f64 v[5:6], v[17:18], -v[5:6]
	v_frexp_exp_i32_f64_e32 v17, v[56:57]
	s_delay_alu instid0(VALU_DEP_3) | instskip(NEXT) | instid1(VALU_DEP_1)
	v_add_f64 v[7:8], v[13:14], -v[7:8]
	v_add_f64 v[5:6], v[5:6], v[7:8]
	s_delay_alu instid0(VALU_DEP_1) | instskip(NEXT) | instid1(VALU_DEP_1)
	v_add_f64 v[5:6], v[15:16], v[5:6]
	v_mul_f64 v[5:6], v[9:10], v[5:6]
	s_delay_alu instid0(VALU_DEP_1) | instskip(NEXT) | instid1(VALU_DEP_1)
	v_add_f64 v[7:8], v[11:12], v[5:6]
	v_mul_f64 v[9:10], v[7:8], v[7:8]
	s_delay_alu instid0(VALU_DEP_1) | instskip(SKIP_3) | instid1(VALU_DEP_2)
	v_fma_f64 v[13:14], v[9:10], s[4:5], s[2:3]
	s_mov_b32 s2, 0xd7f4df2e
	s_mov_b32 s3, 0x3fc7474d
	v_mul_f64 v[15:16], v[7:8], v[9:10]
	v_fma_f64 v[13:14], v[9:10], v[13:14], s[2:3]
	s_mov_b32 s2, 0x16291751
	s_mov_b32 s3, 0x3fcc71c0
	s_delay_alu instid0(VALU_DEP_1) | instid1(SALU_CYCLE_1)
	v_fma_f64 v[13:14], v[9:10], v[13:14], s[2:3]
	s_mov_b32 s2, 0x9b27acf1
	s_mov_b32 s3, 0x3fd24924
	s_delay_alu instid0(VALU_DEP_1) | instid1(SALU_CYCLE_1)
	v_fma_f64 v[13:14], v[9:10], v[13:14], s[2:3]
	s_mov_b32 s2, 0x998ef7b6
	s_mov_b32 s3, 0x3fd99999
	s_delay_alu instid0(VALU_DEP_1) | instid1(SALU_CYCLE_1)
	v_fma_f64 v[13:14], v[9:10], v[13:14], s[2:3]
	s_delay_alu instid0(VALU_DEP_1) | instskip(SKIP_4) | instid1(VALU_DEP_3)
	v_fma_f64 v[9:10], v[9:10], v[13:14], s[0:1]
	v_ldexp_f64 v[13:14], v[7:8], 1
	v_add_f64 v[7:8], v[7:8], -v[11:12]
	s_mov_b32 s0, 0xfefa39ef
	s_mov_b32 s1, 0x3fe62e42
	v_mul_f64 v[9:10], v[15:16], v[9:10]
	v_subrev_co_ci_u32_e32 v15, vcc_lo, 0, v17, vcc_lo
	s_delay_alu instid0(VALU_DEP_3) | instskip(NEXT) | instid1(VALU_DEP_2)
	v_add_f64 v[5:6], v[5:6], -v[7:8]
	v_cvt_f64_i32_e32 v[15:16], v15
	s_delay_alu instid0(VALU_DEP_4) | instskip(NEXT) | instid1(VALU_DEP_3)
	v_add_f64 v[11:12], v[13:14], v[9:10]
	v_ldexp_f64 v[5:6], v[5:6], 1
	s_delay_alu instid0(VALU_DEP_3) | instskip(NEXT) | instid1(VALU_DEP_3)
	v_mul_f64 v[17:18], v[15:16], s[0:1]
	v_add_f64 v[7:8], v[11:12], -v[13:14]
	s_delay_alu instid0(VALU_DEP_2) | instskip(SKIP_2) | instid1(VALU_DEP_2)
	v_fma_f64 v[13:14], v[15:16], s[0:1], -v[17:18]
	s_mov_b32 s0, 0x3b39803f
	s_mov_b32 s1, 0x3c7abc9e
	v_add_f64 v[7:8], v[9:10], -v[7:8]
	s_delay_alu instid0(VALU_DEP_2) | instskip(SKIP_2) | instid1(VALU_DEP_2)
	v_fma_f64 v[9:10], v[15:16], s[0:1], v[13:14]
	s_mov_b32 s0, 0x6dc9c883
	s_mov_b32 s1, 0x3fe45f30
	v_add_f64 v[5:6], v[5:6], v[7:8]
	s_delay_alu instid0(VALU_DEP_2) | instskip(NEXT) | instid1(VALU_DEP_2)
	v_add_f64 v[7:8], v[17:18], v[9:10]
	v_add_f64 v[13:14], v[11:12], v[5:6]
	s_delay_alu instid0(VALU_DEP_2) | instskip(NEXT) | instid1(VALU_DEP_2)
	v_add_f64 v[17:18], v[7:8], -v[17:18]
	v_add_f64 v[15:16], v[7:8], v[13:14]
	v_add_f64 v[11:12], v[13:14], -v[11:12]
	s_delay_alu instid0(VALU_DEP_3) | instskip(NEXT) | instid1(VALU_DEP_3)
	v_add_f64 v[9:10], v[9:10], -v[17:18]
	v_add_f64 v[19:20], v[15:16], -v[7:8]
	s_delay_alu instid0(VALU_DEP_3) | instskip(NEXT) | instid1(VALU_DEP_2)
	v_add_f64 v[5:6], v[5:6], -v[11:12]
	v_add_f64 v[23:24], v[15:16], -v[19:20]
	;; [unrolled: 1-line block ×3, first 2 shown]
	v_fma_f64 v[13:14], -v[21:22], v[25:26], 1.0
	s_delay_alu instid0(VALU_DEP_4) | instskip(NEXT) | instid1(VALU_DEP_4)
	v_add_f64 v[17:18], v[9:10], v[5:6]
	v_add_f64 v[7:8], v[7:8], -v[23:24]
	s_delay_alu instid0(VALU_DEP_1) | instskip(NEXT) | instid1(VALU_DEP_4)
	v_add_f64 v[7:8], v[11:12], v[7:8]
	v_fma_f64 v[11:12], v[25:26], v[13:14], v[25:26]
	s_delay_alu instid0(VALU_DEP_4) | instskip(SKIP_1) | instid1(VALU_DEP_4)
	v_add_f64 v[13:14], v[17:18], -v[9:10]
	v_div_scale_f64 v[25:26], vcc_lo, -1.0, v[56:57], -1.0
	v_add_f64 v[7:8], v[17:18], v[7:8]
	s_delay_alu instid0(VALU_DEP_4) | instskip(NEXT) | instid1(VALU_DEP_4)
	v_fma_f64 v[19:20], -v[21:22], v[11:12], 1.0
	v_add_f64 v[17:18], v[17:18], -v[13:14]
	v_add_f64 v[5:6], v[5:6], -v[13:14]
	s_delay_alu instid0(VALU_DEP_4) | instskip(NEXT) | instid1(VALU_DEP_4)
	v_add_f64 v[23:24], v[15:16], v[7:8]
	v_fma_f64 v[11:12], v[11:12], v[19:20], v[11:12]
	s_delay_alu instid0(VALU_DEP_4) | instskip(NEXT) | instid1(VALU_DEP_3)
	v_add_f64 v[9:10], v[9:10], -v[17:18]
	v_add_f64 v[13:14], v[23:24], -v[15:16]
	s_delay_alu instid0(VALU_DEP_3) | instskip(NEXT) | instid1(VALU_DEP_3)
	v_mul_f64 v[15:16], v[25:26], v[11:12]
	v_add_f64 v[5:6], v[5:6], v[9:10]
	s_delay_alu instid0(VALU_DEP_3) | instskip(NEXT) | instid1(VALU_DEP_3)
	v_add_f64 v[7:8], v[7:8], -v[13:14]
	v_fma_f64 v[9:10], -v[21:22], v[15:16], v[25:26]
	s_delay_alu instid0(VALU_DEP_2) | instskip(NEXT) | instid1(VALU_DEP_2)
	v_add_f64 v[5:6], v[5:6], v[7:8]
	v_div_fmas_f64 v[7:8], v[9:10], v[11:12], v[15:16]
	s_delay_alu instid0(VALU_DEP_2) | instskip(NEXT) | instid1(VALU_DEP_2)
	v_add_f64 v[5:6], v[23:24], v[5:6]
	v_div_fixup_f64 v[7:8], v[7:8], v[56:57], -1.0
	s_delay_alu instid0(VALU_DEP_1) | instskip(NEXT) | instid1(VALU_DEP_1)
	v_fma_f64 v[2:3], v[5:6], v[2:3], v[7:8]
	v_mul_f64 v[2:3], v[2:3], s[0:1]
	s_delay_alu instid0(VALU_DEP_1)
	v_fma_f64 v[72:73], v[56:57], v[72:73], v[2:3]
.LBB1_11:
	s_or_b32 exec_lo, exec_lo, s40
.LBB1_12:
	s_delay_alu instid0(SALU_CYCLE_1)
	s_or_b32 exec_lo, exec_lo, s39
                                        ; implicit-def: $vgpr56_vgpr57
.LBB1_13:
	s_and_not1_saveexec_b32 s3, s38
	s_cbranch_execz .LBB1_26
; %bb.14:
	s_mov_b32 s0, 0x7f3321d2
	s_mov_b32 s1, 0xc002d97c
                                        ; implicit-def: $vgpr21
                                        ; implicit-def: $vgpr5_vgpr6
                                        ; implicit-def: $vgpr7_vgpr8
	s_delay_alu instid0(SALU_CYCLE_1) | instskip(NEXT) | instid1(VALU_DEP_1)
	v_add_f64 v[2:3], v[56:57], s[0:1]
	v_cmp_ngt_f64_e64 s1, 0x41d00000, |v[2:3]|
	v_trig_preop_f64 v[17:18], |v[2:3]|, 0
	v_trig_preop_f64 v[15:16], |v[2:3]|, 1
	v_ldexp_f64 v[19:20], |v[2:3]|, 0xffffff80
	v_trig_preop_f64 v[13:14], |v[2:3]|, 2
	v_and_b32_e32 v23, 0x7fffffff, v3
	s_and_saveexec_b32 s0, s1
	s_delay_alu instid0(SALU_CYCLE_1)
	s_xor_b32 s2, exec_lo, s0
	s_cbranch_execz .LBB1_19
; %bb.15:
	v_cmp_le_f64_e64 vcc_lo, 0x7b000000, |v[2:3]|
	v_mov_b32_e32 v34, 0
	s_mov_b32 s4, 0x54442d18
	s_mov_b32 s5, 0x3ff921fb
	;; [unrolled: 1-line block ×4, first 2 shown]
	v_dual_cndmask_b32 v6, v23, v20 :: v_dual_cndmask_b32 v5, v2, v19
	s_delay_alu instid0(VALU_DEP_1) | instskip(SKIP_2) | instid1(VALU_DEP_3)
	v_mul_f64 v[7:8], v[17:18], v[5:6]
	v_mul_f64 v[9:10], v[15:16], v[5:6]
	;; [unrolled: 1-line block ×3, first 2 shown]
	v_fma_f64 v[11:12], v[17:18], v[5:6], -v[7:8]
	s_delay_alu instid0(VALU_DEP_3) | instskip(NEXT) | instid1(VALU_DEP_3)
	v_fma_f64 v[32:33], v[15:16], v[5:6], -v[9:10]
	v_fma_f64 v[5:6], v[13:14], v[5:6], -v[30:31]
	s_delay_alu instid0(VALU_DEP_3) | instskip(NEXT) | instid1(VALU_DEP_1)
	v_add_f64 v[21:22], v[9:10], v[11:12]
	v_add_f64 v[24:25], v[21:22], -v[9:10]
	v_add_f64 v[28:29], v[7:8], v[21:22]
	s_delay_alu instid0(VALU_DEP_2) | instskip(SKIP_1) | instid1(VALU_DEP_3)
	v_add_f64 v[26:27], v[21:22], -v[24:25]
	v_add_f64 v[11:12], v[11:12], -v[24:25]
	v_ldexp_f64 v[24:25], v[28:29], -2
	v_add_f64 v[7:8], v[28:29], -v[7:8]
	s_delay_alu instid0(VALU_DEP_4) | instskip(SKIP_1) | instid1(VALU_DEP_4)
	v_add_f64 v[9:10], v[9:10], -v[26:27]
	v_add_f64 v[26:27], v[30:31], v[32:33]
	v_cmp_neq_f64_e64 vcc_lo, 0x7ff00000, |v[24:25]|
	s_delay_alu instid0(VALU_DEP_4) | instskip(NEXT) | instid1(VALU_DEP_4)
	v_add_f64 v[7:8], v[21:22], -v[7:8]
	v_add_f64 v[9:10], v[11:12], v[9:10]
	v_fract_f64_e32 v[11:12], v[24:25]
	s_delay_alu instid0(VALU_DEP_2) | instskip(NEXT) | instid1(VALU_DEP_2)
	v_add_f64 v[21:22], v[26:27], v[9:10]
	v_dual_cndmask_b32 v12, 0, v12 :: v_dual_cndmask_b32 v11, 0, v11
	s_delay_alu instid0(VALU_DEP_1) | instskip(NEXT) | instid1(VALU_DEP_3)
	v_ldexp_f64 v[11:12], v[11:12], 2
	v_add_f64 v[24:25], v[7:8], v[21:22]
	s_delay_alu instid0(VALU_DEP_1) | instskip(SKIP_1) | instid1(VALU_DEP_2)
	v_add_f64 v[28:29], v[24:25], v[11:12]
	v_add_f64 v[7:8], v[24:25], -v[7:8]
	v_cmp_gt_f64_e32 vcc_lo, 0, v[28:29]
	v_add_f64 v[28:29], v[26:27], -v[30:31]
	s_delay_alu instid0(VALU_DEP_3) | instskip(SKIP_1) | instid1(VALU_DEP_3)
	v_add_f64 v[7:8], v[21:22], -v[7:8]
	v_cndmask_b32_e64 v35, 0, 0x40100000, vcc_lo
	v_add_f64 v[48:49], v[26:27], -v[28:29]
	v_add_f64 v[28:29], v[32:33], -v[28:29]
	s_delay_alu instid0(VALU_DEP_3) | instskip(SKIP_1) | instid1(VALU_DEP_4)
	v_add_f64 v[11:12], v[11:12], v[34:35]
	v_add_f64 v[35:36], v[21:22], -v[26:27]
	v_add_f64 v[32:33], v[30:31], -v[48:49]
	s_delay_alu instid0(VALU_DEP_3) | instskip(NEXT) | instid1(VALU_DEP_3)
	v_add_f64 v[37:38], v[24:25], v[11:12]
	v_add_f64 v[50:51], v[21:22], -v[35:36]
	v_add_f64 v[9:10], v[9:10], -v[35:36]
	s_delay_alu instid0(VALU_DEP_4) | instskip(NEXT) | instid1(VALU_DEP_4)
	v_add_f64 v[28:29], v[28:29], v[32:33]
	v_cvt_i32_f64_e32 v37, v[37:38]
	s_delay_alu instid0(VALU_DEP_4) | instskip(NEXT) | instid1(VALU_DEP_2)
	v_add_f64 v[26:27], v[26:27], -v[50:51]
	v_cvt_f64_i32_e32 v[35:36], v37
	s_delay_alu instid0(VALU_DEP_2) | instskip(NEXT) | instid1(VALU_DEP_2)
	v_add_f64 v[9:10], v[9:10], v[26:27]
	v_add_f64 v[11:12], v[11:12], -v[35:36]
	s_delay_alu instid0(VALU_DEP_2) | instskip(NEXT) | instid1(VALU_DEP_2)
	v_add_f64 v[9:10], v[28:29], v[9:10]
	v_add_f64 v[26:27], v[24:25], v[11:12]
	s_delay_alu instid0(VALU_DEP_2) | instskip(NEXT) | instid1(VALU_DEP_2)
	v_add_f64 v[5:6], v[5:6], v[9:10]
	v_add_f64 v[9:10], v[26:27], -v[11:12]
	v_cmp_le_f64_e32 vcc_lo, 0.5, v[26:27]
	s_delay_alu instid0(VALU_DEP_3) | instskip(NEXT) | instid1(VALU_DEP_3)
	v_add_f64 v[5:6], v[7:8], v[5:6]
	v_add_f64 v[7:8], v[24:25], -v[9:10]
	v_cndmask_b32_e64 v35, 0, 0x3ff00000, vcc_lo
	v_add_co_ci_u32_e64 v21, s0, 0, v37, vcc_lo
	s_delay_alu instid0(VALU_DEP_3) | instskip(NEXT) | instid1(VALU_DEP_3)
	v_add_f64 v[5:6], v[5:6], v[7:8]
	v_add_f64 v[7:8], v[26:27], -v[34:35]
	s_delay_alu instid0(VALU_DEP_1) | instskip(NEXT) | instid1(VALU_DEP_1)
	v_add_f64 v[9:10], v[7:8], v[5:6]
	v_mul_f64 v[11:12], v[9:10], s[4:5]
	v_add_f64 v[7:8], v[9:10], -v[7:8]
	s_delay_alu instid0(VALU_DEP_2) | instskip(NEXT) | instid1(VALU_DEP_2)
	v_fma_f64 v[24:25], v[9:10], s[4:5], -v[11:12]
	v_add_f64 v[5:6], v[5:6], -v[7:8]
	s_delay_alu instid0(VALU_DEP_2) | instskip(NEXT) | instid1(VALU_DEP_1)
	v_fma_f64 v[7:8], v[9:10], s[6:7], v[24:25]
	v_fma_f64 v[7:8], v[5:6], s[4:5], v[7:8]
	s_delay_alu instid0(VALU_DEP_1) | instskip(NEXT) | instid1(VALU_DEP_1)
	v_add_f64 v[5:6], v[11:12], v[7:8]
	v_add_f64 v[9:10], v[5:6], -v[11:12]
	s_delay_alu instid0(VALU_DEP_1)
	v_add_f64 v[7:8], v[7:8], -v[9:10]
	s_and_not1_saveexec_b32 s0, s2
	s_cbranch_execz .LBB1_21
	s_branch .LBB1_20
.LBB1_16:
	s_or_b32 exec_lo, exec_lo, s0
	s_delay_alu instid0(SALU_CYCLE_1)
	s_mov_b32 s0, exec_lo
	v_cmpx_lt_i32_e64 v5, v4
	s_cbranch_execz .LBB1_6
.LBB1_17:
	v_dual_mov_b32 v6, 0 :: v_dual_add_nc_u32 v5, s36, v5
	s_delay_alu instid0(VALU_DEP_1) | instskip(NEXT) | instid1(VALU_DEP_1)
	v_lshlrev_b64 v[5:6], 3, v[5:6]
	v_add_co_u32 v2, vcc_lo, v2, v5
	s_delay_alu instid0(VALU_DEP_2)
	v_add_co_ci_u32_e32 v3, vcc_lo, v3, v6, vcc_lo
	flat_load_b64 v[41:42], v[2:3]
	s_or_b32 exec_lo, exec_lo, s0
                                        ; implicit-def: $vgpr72_vgpr73_vgpr74_vgpr75_vgpr76_vgpr77_vgpr78_vgpr79
	s_and_saveexec_b32 s37, s35
	s_cbranch_execnz .LBB1_7
.LBB1_18:
	s_or_b32 exec_lo, exec_lo, s37
	s_delay_alu instid0(SALU_CYCLE_1)
	s_mov_b32 s37, exec_lo
	v_cmpx_lt_i32_e64 v60, v4
	s_cbranch_execnz .LBB1_27
	s_branch .LBB1_44
.LBB1_19:
	s_and_not1_saveexec_b32 s0, s2
	s_cbranch_execz .LBB1_21
.LBB1_20:
	s_mov_b32 s4, 0x6dc9c883
	s_mov_b32 s5, 0x3fe45f30
	;; [unrolled: 1-line block ×3, first 2 shown]
	v_mul_f64 v[5:6], |v[2:3]|, s[4:5]
	s_mov_b32 s4, 0x54442d18
	s_mov_b32 s5, 0xbff921fb
	;; [unrolled: 1-line block ×3, first 2 shown]
	s_delay_alu instid0(VALU_DEP_1) | instskip(NEXT) | instid1(VALU_DEP_1)
	v_rndne_f64_e32 v[9:10], v[5:6]
	v_fma_f64 v[5:6], v[9:10], s[4:5], |v[2:3]|
	v_mul_f64 v[7:8], v[9:10], s[6:7]
	s_mov_b32 s4, 0x252049c0
	s_mov_b32 s5, 0xb97b839a
	s_delay_alu instid0(VALU_DEP_2) | instskip(NEXT) | instid1(VALU_DEP_2)
	v_fma_f64 v[21:22], v[9:10], s[6:7], v[5:6]
	v_add_f64 v[11:12], v[5:6], v[7:8]
	s_mov_b32 s7, 0x3c91a626
	s_delay_alu instid0(VALU_DEP_1) | instskip(NEXT) | instid1(VALU_DEP_3)
	v_add_f64 v[5:6], v[5:6], -v[11:12]
	v_add_f64 v[11:12], v[11:12], -v[21:22]
	s_delay_alu instid0(VALU_DEP_2) | instskip(SKIP_1) | instid1(VALU_DEP_2)
	v_add_f64 v[5:6], v[5:6], v[7:8]
	v_fma_f64 v[7:8], v[9:10], s[6:7], v[7:8]
	v_add_f64 v[5:6], v[11:12], v[5:6]
	s_delay_alu instid0(VALU_DEP_1) | instskip(NEXT) | instid1(VALU_DEP_1)
	v_add_f64 v[5:6], v[5:6], -v[7:8]
	v_fma_f64 v[7:8], v[9:10], s[4:5], v[5:6]
	s_delay_alu instid0(VALU_DEP_1) | instskip(NEXT) | instid1(VALU_DEP_1)
	v_add_f64 v[5:6], v[21:22], v[7:8]
	v_add_f64 v[11:12], v[5:6], -v[21:22]
	v_cvt_i32_f64_e32 v21, v[9:10]
	s_delay_alu instid0(VALU_DEP_2)
	v_add_f64 v[7:8], v[7:8], -v[11:12]
.LBB1_21:
	s_or_b32 exec_lo, exec_lo, s0
                                        ; implicit-def: $vgpr22
                                        ; implicit-def: $vgpr9_vgpr10
                                        ; implicit-def: $vgpr11_vgpr12
	s_and_saveexec_b32 s0, s1
	s_delay_alu instid0(SALU_CYCLE_1)
	s_xor_b32 s1, exec_lo, s0
	s_cbranch_execz .LBB1_23
; %bb.22:
	v_cmp_le_f64_e64 vcc_lo, 0x7b000000, |v[2:3]|
	v_mov_b32_e32 v32, 0
	s_mov_b32 s4, 0x54442d18
	s_mov_b32 s5, 0x3ff921fb
	s_mov_b32 s6, 0x33145c07
	s_mov_b32 s7, 0x3c91a626
	v_dual_cndmask_b32 v10, v23, v20 :: v_dual_cndmask_b32 v9, v2, v19
	s_delay_alu instid0(VALU_DEP_1) | instskip(SKIP_2) | instid1(VALU_DEP_3)
	v_mul_f64 v[11:12], v[17:18], v[9:10]
	v_mul_f64 v[19:20], v[15:16], v[9:10]
	;; [unrolled: 1-line block ×3, first 2 shown]
	v_fma_f64 v[17:18], v[17:18], v[9:10], -v[11:12]
	s_delay_alu instid0(VALU_DEP_3) | instskip(NEXT) | instid1(VALU_DEP_3)
	v_fma_f64 v[15:16], v[15:16], v[9:10], -v[19:20]
	v_fma_f64 v[9:10], v[13:14], v[9:10], -v[30:31]
	s_delay_alu instid0(VALU_DEP_3) | instskip(NEXT) | instid1(VALU_DEP_1)
	v_add_f64 v[22:23], v[19:20], v[17:18]
	v_add_f64 v[24:25], v[22:23], -v[19:20]
	v_add_f64 v[28:29], v[11:12], v[22:23]
	s_delay_alu instid0(VALU_DEP_2) | instskip(SKIP_1) | instid1(VALU_DEP_3)
	v_add_f64 v[26:27], v[22:23], -v[24:25]
	v_add_f64 v[17:18], v[17:18], -v[24:25]
	v_ldexp_f64 v[24:25], v[28:29], -2
	v_add_f64 v[11:12], v[28:29], -v[11:12]
	s_delay_alu instid0(VALU_DEP_4) | instskip(SKIP_1) | instid1(VALU_DEP_4)
	v_add_f64 v[19:20], v[19:20], -v[26:27]
	v_add_f64 v[26:27], v[30:31], v[15:16]
	v_cmp_neq_f64_e64 vcc_lo, 0x7ff00000, |v[24:25]|
	s_delay_alu instid0(VALU_DEP_4) | instskip(NEXT) | instid1(VALU_DEP_4)
	v_add_f64 v[11:12], v[22:23], -v[11:12]
	v_add_f64 v[17:18], v[17:18], v[19:20]
	v_fract_f64_e32 v[19:20], v[24:25]
	s_delay_alu instid0(VALU_DEP_2) | instskip(NEXT) | instid1(VALU_DEP_2)
	v_add_f64 v[22:23], v[26:27], v[17:18]
	v_dual_cndmask_b32 v20, 0, v20 :: v_dual_cndmask_b32 v19, 0, v19
	s_delay_alu instid0(VALU_DEP_1) | instskip(NEXT) | instid1(VALU_DEP_3)
	v_ldexp_f64 v[19:20], v[19:20], 2
	v_add_f64 v[24:25], v[11:12], v[22:23]
	s_delay_alu instid0(VALU_DEP_1) | instskip(SKIP_1) | instid1(VALU_DEP_2)
	v_add_f64 v[28:29], v[24:25], v[19:20]
	v_add_f64 v[11:12], v[24:25], -v[11:12]
	v_cmp_gt_f64_e32 vcc_lo, 0, v[28:29]
	v_add_f64 v[28:29], v[26:27], -v[30:31]
	s_delay_alu instid0(VALU_DEP_3) | instskip(SKIP_1) | instid1(VALU_DEP_3)
	v_add_f64 v[11:12], v[22:23], -v[11:12]
	v_cndmask_b32_e64 v33, 0, 0x40100000, vcc_lo
	v_add_f64 v[37:38], v[26:27], -v[28:29]
	v_add_f64 v[15:16], v[15:16], -v[28:29]
	s_delay_alu instid0(VALU_DEP_3) | instskip(SKIP_1) | instid1(VALU_DEP_4)
	v_add_f64 v[19:20], v[19:20], v[32:33]
	v_add_f64 v[33:34], v[22:23], -v[26:27]
	v_add_f64 v[28:29], v[30:31], -v[37:38]
	s_delay_alu instid0(VALU_DEP_3) | instskip(NEXT) | instid1(VALU_DEP_3)
	v_add_f64 v[35:36], v[24:25], v[19:20]
	v_add_f64 v[48:49], v[22:23], -v[33:34]
	v_add_f64 v[17:18], v[17:18], -v[33:34]
	s_delay_alu instid0(VALU_DEP_4) | instskip(NEXT) | instid1(VALU_DEP_4)
	v_add_f64 v[15:16], v[15:16], v[28:29]
	v_cvt_i32_f64_e32 v35, v[35:36]
	s_delay_alu instid0(VALU_DEP_4) | instskip(NEXT) | instid1(VALU_DEP_2)
	v_add_f64 v[26:27], v[26:27], -v[48:49]
	v_cvt_f64_i32_e32 v[33:34], v35
	s_delay_alu instid0(VALU_DEP_2) | instskip(NEXT) | instid1(VALU_DEP_2)
	v_add_f64 v[17:18], v[17:18], v[26:27]
	v_add_f64 v[19:20], v[19:20], -v[33:34]
	s_delay_alu instid0(VALU_DEP_2) | instskip(NEXT) | instid1(VALU_DEP_2)
	v_add_f64 v[13:14], v[15:16], v[17:18]
	v_add_f64 v[15:16], v[24:25], v[19:20]
	s_delay_alu instid0(VALU_DEP_2) | instskip(NEXT) | instid1(VALU_DEP_2)
	v_add_f64 v[9:10], v[9:10], v[13:14]
	v_add_f64 v[13:14], v[15:16], -v[19:20]
	v_cmp_le_f64_e32 vcc_lo, 0.5, v[15:16]
	s_delay_alu instid0(VALU_DEP_3) | instskip(NEXT) | instid1(VALU_DEP_3)
	v_add_f64 v[9:10], v[11:12], v[9:10]
	v_add_f64 v[11:12], v[24:25], -v[13:14]
	v_cndmask_b32_e64 v33, 0, 0x3ff00000, vcc_lo
	v_add_co_ci_u32_e64 v22, s0, 0, v35, vcc_lo
	s_delay_alu instid0(VALU_DEP_3) | instskip(NEXT) | instid1(VALU_DEP_3)
	v_add_f64 v[9:10], v[9:10], v[11:12]
	v_add_f64 v[11:12], v[15:16], -v[32:33]
	s_delay_alu instid0(VALU_DEP_1) | instskip(NEXT) | instid1(VALU_DEP_1)
	v_add_f64 v[13:14], v[11:12], v[9:10]
	v_mul_f64 v[15:16], v[13:14], s[4:5]
	v_add_f64 v[11:12], v[13:14], -v[11:12]
	s_delay_alu instid0(VALU_DEP_2) | instskip(NEXT) | instid1(VALU_DEP_2)
	v_fma_f64 v[17:18], v[13:14], s[4:5], -v[15:16]
	v_add_f64 v[9:10], v[9:10], -v[11:12]
	s_delay_alu instid0(VALU_DEP_2) | instskip(NEXT) | instid1(VALU_DEP_1)
	v_fma_f64 v[11:12], v[13:14], s[6:7], v[17:18]
	v_fma_f64 v[11:12], v[9:10], s[4:5], v[11:12]
	s_delay_alu instid0(VALU_DEP_1) | instskip(NEXT) | instid1(VALU_DEP_1)
	v_add_f64 v[9:10], v[15:16], v[11:12]
	v_add_f64 v[13:14], v[9:10], -v[15:16]
	s_delay_alu instid0(VALU_DEP_1)
	v_add_f64 v[11:12], v[11:12], -v[13:14]
	s_and_not1_saveexec_b32 s0, s1
	s_cbranch_execnz .LBB1_24
	s_branch .LBB1_25
.LBB1_23:
	s_and_not1_saveexec_b32 s0, s1
	s_cbranch_execz .LBB1_25
.LBB1_24:
	s_mov_b32 s4, 0x6dc9c883
	s_mov_b32 s5, 0x3fe45f30
	;; [unrolled: 1-line block ×3, first 2 shown]
	v_mul_f64 v[9:10], |v[2:3]|, s[4:5]
	s_mov_b32 s4, 0x54442d18
	s_mov_b32 s5, 0xbff921fb
	;; [unrolled: 1-line block ×3, first 2 shown]
	s_delay_alu instid0(VALU_DEP_1) | instskip(NEXT) | instid1(VALU_DEP_1)
	v_rndne_f64_e32 v[13:14], v[9:10]
	v_fma_f64 v[9:10], v[13:14], s[4:5], |v[2:3]|
	v_mul_f64 v[11:12], v[13:14], s[6:7]
	s_mov_b32 s4, 0x252049c0
	s_mov_b32 s5, 0xb97b839a
	v_cvt_i32_f64_e32 v22, v[13:14]
	s_delay_alu instid0(VALU_DEP_3) | instskip(NEXT) | instid1(VALU_DEP_3)
	v_fma_f64 v[17:18], v[13:14], s[6:7], v[9:10]
	v_add_f64 v[15:16], v[9:10], v[11:12]
	s_mov_b32 s7, 0x3c91a626
	s_delay_alu instid0(VALU_DEP_1) | instskip(NEXT) | instid1(VALU_DEP_3)
	v_add_f64 v[9:10], v[9:10], -v[15:16]
	v_add_f64 v[15:16], v[15:16], -v[17:18]
	s_delay_alu instid0(VALU_DEP_2) | instskip(SKIP_1) | instid1(VALU_DEP_2)
	v_add_f64 v[9:10], v[9:10], v[11:12]
	v_fma_f64 v[11:12], v[13:14], s[6:7], v[11:12]
	v_add_f64 v[9:10], v[15:16], v[9:10]
	s_delay_alu instid0(VALU_DEP_1) | instskip(NEXT) | instid1(VALU_DEP_1)
	v_add_f64 v[9:10], v[9:10], -v[11:12]
	v_fma_f64 v[11:12], v[13:14], s[4:5], v[9:10]
	s_delay_alu instid0(VALU_DEP_1) | instskip(NEXT) | instid1(VALU_DEP_1)
	v_add_f64 v[9:10], v[17:18], v[11:12]
	v_add_f64 v[15:16], v[9:10], -v[17:18]
	s_delay_alu instid0(VALU_DEP_1)
	v_add_f64 v[11:12], v[11:12], -v[15:16]
.LBB1_25:
	s_or_b32 exec_lo, exec_lo, s0
	v_div_scale_f64 v[13:14], null, v[56:57], v[56:57], 0x40140000
	v_div_scale_f64 v[19:20], vcc_lo, 0x40140000, v[56:57], 0x40140000
	s_mov_b32 s0, 0x6b70ba40
	s_mov_b32 s1, 0x3faa27fa
	;; [unrolled: 1-line block ×6, first 2 shown]
	v_mul_f64 v[29:30], v[5:6], v[5:6]
	v_mul_f64 v[35:36], v[9:10], v[9:10]
	s_mov_b32 s8, 0x796cde01
	s_mov_b32 s9, 0x3ec71de3
	v_mul_f64 v[86:87], v[7:8], 0.5
	v_rcp_f64_e32 v[15:16], v[13:14]
	s_delay_alu instid0(VALU_DEP_3) | instskip(SKIP_1) | instid1(VALU_DEP_4)
	v_mul_f64 v[64:65], v[29:30], 0.5
	v_mul_f64 v[96:97], v[5:6], -v[29:30]
	v_mul_f64 v[102:103], v[9:10], -v[35:36]
	s_waitcnt_depctr 0xfff
	v_fma_f64 v[17:18], -v[13:14], v[15:16], 1.0
	v_add_f64 v[68:69], -v[64:65], 1.0
	s_delay_alu instid0(VALU_DEP_2) | instskip(NEXT) | instid1(VALU_DEP_2)
	v_fma_f64 v[15:16], v[15:16], v[17:18], v[15:16]
	v_add_f64 v[98:99], -v[68:69], 1.0
	s_delay_alu instid0(VALU_DEP_2) | instskip(NEXT) | instid1(VALU_DEP_2)
	v_fma_f64 v[17:18], -v[13:14], v[15:16], 1.0
	v_add_f64 v[64:65], v[98:99], -v[64:65]
	s_delay_alu instid0(VALU_DEP_2) | instskip(NEXT) | instid1(VALU_DEP_2)
	v_fma_f64 v[15:16], v[15:16], v[17:18], v[15:16]
	v_fma_f64 v[64:65], v[5:6], -v[7:8], v[64:65]
	s_delay_alu instid0(VALU_DEP_2) | instskip(NEXT) | instid1(VALU_DEP_1)
	v_mul_f64 v[17:18], v[19:20], v[15:16]
	v_fma_f64 v[13:14], -v[13:14], v[17:18], v[19:20]
	s_delay_alu instid0(VALU_DEP_1) | instskip(NEXT) | instid1(VALU_DEP_1)
	v_div_fmas_f64 v[13:14], v[13:14], v[15:16], v[17:18]
	v_div_fixup_f64 v[13:14], v[13:14], v[56:57], 0x40140000
	s_delay_alu instid0(VALU_DEP_1) | instskip(NEXT) | instid1(VALU_DEP_1)
	v_mul_f64 v[15:16], v[13:14], v[13:14]
	v_fma_f64 v[17:18], v[15:16], 0, s[0:1]
	s_mov_b32 s0, 0x4c6c651b
	s_mov_b32 s1, 0x3f48f92c
	v_fma_f64 v[19:20], v[15:16], 0, s[4:5]
	v_fma_f64 v[23:24], v[15:16], 0, s[0:1]
	s_mov_b32 s0, 0xc66d8fd6
	s_mov_b32 s1, 0x4013edb5
	v_fma_f64 v[25:26], v[15:16], 0, s[6:7]
	s_mov_b32 s4, 0x5948aa83
	s_mov_b32 s5, 0x3fb19fdd
	s_mov_b32 s6, 0xa20e5f6f
	s_mov_b32 s7, 0x409081cb
	s_delay_alu instid0(VALU_DEP_4) | instskip(SKIP_2) | instid1(VALU_DEP_4)
	v_fma_f64 v[17:18], v[15:16], v[17:18], s[0:1]
	s_mov_b32 s0, 0xa3fec4b6
	s_mov_b32 s1, 0x3fb2b948
	v_fma_f64 v[19:20], v[15:16], v[19:20], s[4:5]
	s_delay_alu instid0(VALU_DEP_4) | instskip(SKIP_2) | instid1(VALU_DEP_4)
	v_fma_f64 v[23:24], v[15:16], v[23:24], s[0:1]
	s_mov_b32 s0, 0x9acf1c67
	s_mov_b32 s1, 0x4052f4b9
	v_fma_f64 v[25:26], v[15:16], v[25:26], s[6:7]
	s_mov_b32 s4, 0xb850eed6
	s_mov_b32 s5, 0x3ff1aea9
	s_mov_b32 s6, 0x1bfdfe81
	s_mov_b32 s7, 0x40b37a69
	s_delay_alu instid0(VALU_DEP_4) | instskip(SKIP_2) | instid1(VALU_DEP_4)
	v_fma_f64 v[17:18], v[15:16], v[17:18], s[0:1]
	s_mov_b32 s0, 0xc21596d6
	s_mov_b32 s1, 0x3ff208fe
	v_fma_f64 v[19:20], v[15:16], v[19:20], s[4:5]
	s_delay_alu instid0(VALU_DEP_4) | instskip(SKIP_2) | instid1(VALU_DEP_4)
	;; [unrolled: 14-line block ×5, first 2 shown]
	v_fma_f64 v[23:24], v[15:16], v[23:24], s[0:1]
	s_mov_b32 s0, 0x4c54bb0b
	s_mov_b32 s1, 0x406a760a
	v_fma_f64 v[25:26], v[15:16], v[25:26], s[6:7]
	s_mov_b32 s4, 0x4d159eb5
	s_mov_b32 s5, 0x403934ff
	;; [unrolled: 1-line block ×4, first 2 shown]
	s_delay_alu instid0(VALU_DEP_4) | instskip(SKIP_2) | instid1(VALU_DEP_4)
	v_fma_f64 v[17:18], v[15:16], v[17:18], s[0:1]
	s_mov_b32 s0, 0x6ae75997
	s_mov_b32 s1, 0x4075017f
	v_fma_f64 v[19:20], v[15:16], v[19:20], 1.0
	s_delay_alu instid0(VALU_DEP_4) | instskip(NEXT) | instid1(VALU_DEP_4)
	v_fma_f64 v[23:24], v[15:16], v[23:24], 1.0
	v_fma_f64 v[25:26], v[15:16], v[25:26], s[0:1]
	s_mov_b32 s0, 0xb42fdfa7
	s_mov_b32 s1, 0xbe5ae600
	s_delay_alu instid0(VALU_DEP_4) | instskip(SKIP_2) | instid1(VALU_DEP_3)
	v_fma_f64 v[15:16], v[15:16], v[17:18], s[4:5]
	s_mov_b32 s4, 0xf9a43bb8
	s_mov_b32 s5, 0x3de5e0b2
	v_div_scale_f64 v[17:18], null, v[19:20], v[19:20], v[23:24]
	v_fma_f64 v[37:38], v[29:30], s[4:5], s[0:1]
	v_fma_f64 v[52:53], v[35:36], s[4:5], s[0:1]
	v_cmp_gt_f64_e64 s0, 0x10000000, v[56:57]
	s_mov_b32 s4, 0x9037ab78
	s_mov_b32 s5, 0x3e21eeb6
	v_div_scale_f64 v[100:101], vcc_lo, v[23:24], v[19:20], v[23:24]
	v_fma_f64 v[54:55], v[29:30], s[6:7], s[4:5]
	v_div_scale_f64 v[27:28], null, v[25:26], v[25:26], v[15:16]
	v_rcp_f64_e32 v[31:32], v[17:18]
	v_fma_f64 v[37:38], v[29:30], v[37:38], s[8:9]
	v_cndmask_b32_e64 v39, 0, 1, s0
	s_delay_alu instid0(VALU_DEP_1) | instskip(NEXT) | instid1(VALU_DEP_1)
	v_lshlrev_b32_e32 v39, 8, v39
	v_ldexp_f64 v[66:67], v[56:57], v39
	v_rcp_f64_e32 v[33:34], v[27:28]
	s_waitcnt_depctr 0xfff
	v_fma_f64 v[48:49], -v[17:18], v[31:32], 1.0
	v_rsq_f64_e32 v[84:85], v[66:67]
	v_fma_f64 v[50:51], -v[27:28], v[33:34], 1.0
	s_delay_alu instid0(VALU_DEP_2)
	v_fma_f64 v[31:32], v[31:32], v[48:49], v[31:32]
	v_fma_f64 v[48:49], v[35:36], v[52:53], s[8:9]
	;; [unrolled: 1-line block ×3, first 2 shown]
	s_mov_b32 s6, 0x19e83e5c
	s_mov_b32 s7, 0xbf2a01a0
	;; [unrolled: 1-line block ×3, first 2 shown]
	v_fma_f64 v[37:38], v[29:30], v[37:38], s[6:7]
	s_mov_b32 s5, 0xbe927e4f
	s_delay_alu instid0(SALU_CYCLE_1) | instskip(NEXT) | instid1(TRANS32_DEP_1)
	v_fma_f64 v[54:55], v[29:30], v[54:55], s[4:5]
	v_mul_f64 v[114:115], v[66:67], v[84:85]
	v_mul_f64 v[84:85], v[84:85], 0.5
	v_fma_f64 v[33:34], v[33:34], v[50:51], v[33:34]
	v_mul_f64 v[50:51], v[35:36], 0.5
	v_fma_f64 v[70:71], -v[17:18], v[31:32], 1.0
	v_fma_f64 v[48:49], v[35:36], v[48:49], s[6:7]
	v_fma_f64 v[52:53], v[35:36], v[52:53], s[4:5]
	s_mov_b32 s6, 0x11110bb3
	s_mov_b32 s7, 0x3f811111
	;; [unrolled: 1-line block ×3, first 2 shown]
	v_fma_f64 v[37:38], v[29:30], v[37:38], s[6:7]
	s_mov_b32 s5, 0x3efa01a0
	s_delay_alu instid0(SALU_CYCLE_1)
	v_fma_f64 v[54:55], v[29:30], v[54:55], s[4:5]
	v_fma_f64 v[80:81], -v[27:28], v[33:34], 1.0
	v_add_f64 v[82:83], -v[50:51], 1.0
	v_fma_f64 v[31:32], v[31:32], v[70:71], v[31:32]
	v_div_scale_f64 v[70:71], s1, v[15:16], v[25:26], v[15:16]
	v_fma_f64 v[48:49], v[35:36], v[48:49], s[6:7]
	v_fma_f64 v[52:53], v[35:36], v[52:53], s[4:5]
	s_mov_b32 s4, 0x16c16967
	v_fma_f64 v[37:38], v[96:97], v[37:38], v[86:87]
	s_mov_b32 s5, 0xbf56c16c
	s_delay_alu instid0(SALU_CYCLE_1)
	v_fma_f64 v[54:55], v[29:30], v[54:55], s[4:5]
	v_fma_f64 v[33:34], v[33:34], v[80:81], v[33:34]
	v_mul_f64 v[80:81], v[11:12], 0.5
	v_add_f64 v[112:113], -v[82:83], 1.0
	v_mul_f64 v[86:87], v[100:101], v[31:32]
	v_fma_f64 v[52:53], v[35:36], v[52:53], s[4:5]
	s_mov_b32 s4, 0x55555555
	v_fma_f64 v[7:8], v[29:30], v[37:38], -v[7:8]
	s_mov_b32 s5, 0x3fa55555
	v_mul_f64 v[37:38], v[35:36], v[35:36]
	v_fma_f64 v[54:55], v[29:30], v[54:55], s[4:5]
	v_mul_f64 v[98:99], v[70:71], v[33:34]
	v_fma_f64 v[48:49], v[102:103], v[48:49], v[80:81]
	v_add_f64 v[50:51], v[112:113], -v[50:51]
	v_fma_f64 v[112:113], -v[84:85], v[114:115], 0.5
	v_fma_f64 v[17:18], -v[17:18], v[86:87], v[100:101]
	v_mul_f64 v[80:81], v[29:30], v[29:30]
	v_fma_f64 v[27:28], -v[27:28], v[98:99], v[70:71]
	v_fma_f64 v[29:30], v[35:36], v[48:49], -v[11:12]
	v_fma_f64 v[35:36], v[35:36], v[52:53], s[4:5]
	v_fma_f64 v[11:12], v[9:10], -v[11:12], v[50:51]
	v_fma_f64 v[48:49], v[114:115], v[112:113], v[114:115]
	s_mov_b32 s5, 0xbfc55555
	v_div_fmas_f64 v[17:18], v[17:18], v[31:32], v[86:87]
	s_mov_b32 vcc_lo, s1
	v_fma_f64 v[7:8], v[96:97], s[4:5], v[7:8]
	v_fma_f64 v[50:51], v[80:81], v[54:55], v[64:65]
	;; [unrolled: 1-line block ×3, first 2 shown]
	v_cmp_class_f64_e64 s1, v[2:3], 0x1f8
	v_and_b32_e32 v2, 1, v22
	s_delay_alu instid0(VALU_DEP_1)
	v_cmp_eq_u32_e64 s2, 0, v2
	v_div_fmas_f64 v[27:28], v[27:28], v[33:34], v[98:99]
	v_fma_f64 v[29:30], v[102:103], s[4:5], v[29:30]
	v_fma_f64 v[11:12], v[37:38], v[35:36], v[11:12]
	v_fma_f64 v[33:34], -v[48:49], v[48:49], v[66:67]
	v_add_f64 v[5:6], v[5:6], -v[7:8]
	v_add_f64 v[35:36], v[68:69], v[50:51]
	v_div_fixup_f64 v[7:8], v[27:28], v[25:26], v[15:16]
	v_add_f64 v[9:10], v[9:10], -v[29:30]
	v_and_b32_e32 v25, 1, v21
	v_add_f64 v[11:12], v[82:83], v[11:12]
	v_fma_f64 v[15:16], v[33:34], v[31:32], v[48:49]
	s_delay_alu instid0(VALU_DEP_3)
	v_cmp_eq_u32_e32 vcc_lo, 0, v25
	v_cndmask_b32_e32 v5, v35, v5, vcc_lo
	v_mul_f64 v[7:8], v[13:14], v[7:8]
	v_lshlrev_b32_e32 v13, 30, v22
	v_xor_b32_e32 v10, 0x80000000, v10
	v_cndmask_b32_e64 v11, v9, v11, s2
	s_delay_alu instid0(VALU_DEP_3) | instskip(NEXT) | instid1(VALU_DEP_3)
	v_and_b32_e32 v2, 0x80000000, v13
	v_cndmask_b32_e64 v9, v10, v12, s2
	s_delay_alu instid0(VALU_DEP_3) | instskip(SKIP_1) | instid1(VALU_DEP_3)
	v_cndmask_b32_e64 v11, 0, v11, s1
	v_div_fixup_f64 v[13:14], v[17:18], v[19:20], v[23:24]
	v_xor_b32_e32 v12, v9, v2
	v_fma_f64 v[9:10], -v[15:16], v[15:16], v[66:67]
	v_cndmask_b32_e64 v2, 0, v5, s1
	v_lshlrev_b32_e32 v5, 30, v21
	s_delay_alu instid0(VALU_DEP_4) | instskip(NEXT) | instid1(VALU_DEP_2)
	v_cndmask_b32_e64 v12, 0x7ff80000, v12, s1
	v_xor_b32_e32 v3, v5, v3
	v_cndmask_b32_e32 v5, v36, v6, vcc_lo
	v_cmp_class_f64_e64 vcc_lo, v[66:67], 0x260
	s_delay_alu instid0(VALU_DEP_3) | instskip(NEXT) | instid1(VALU_DEP_1)
	v_and_b32_e32 v3, 0x80000000, v3
	v_xor_b32_e32 v3, v5, v3
	s_delay_alu instid0(VALU_DEP_1) | instskip(SKIP_2) | instid1(VALU_DEP_2)
	v_cndmask_b32_e64 v3, 0x7ff80000, v3, s1
	v_mul_f64 v[7:8], v[7:8], v[11:12]
	v_fma_f64 v[5:6], v[9:10], v[31:32], v[15:16]
	v_fma_f64 v[2:3], v[13:14], v[2:3], v[7:8]
	v_cndmask_b32_e64 v7, 0, 0xffffff80, s0
	s_mov_b32 s0, 0x33d43651
	s_mov_b32 s1, 0x3fe98845
	s_delay_alu instid0(VALU_DEP_1) | instskip(NEXT) | instid1(VALU_DEP_3)
	v_ldexp_f64 v[5:6], v[5:6], v7
	v_mul_f64 v[2:3], v[2:3], s[0:1]
	s_delay_alu instid0(VALU_DEP_2) | instskip(NEXT) | instid1(VALU_DEP_1)
	v_dual_cndmask_b32 v6, v6, v67 :: v_dual_cndmask_b32 v5, v5, v66
	v_div_scale_f64 v[7:8], null, v[5:6], v[5:6], v[2:3]
	s_delay_alu instid0(VALU_DEP_1) | instskip(SKIP_2) | instid1(VALU_DEP_1)
	v_rcp_f64_e32 v[9:10], v[7:8]
	s_waitcnt_depctr 0xfff
	v_fma_f64 v[11:12], -v[7:8], v[9:10], 1.0
	v_fma_f64 v[9:10], v[9:10], v[11:12], v[9:10]
	s_delay_alu instid0(VALU_DEP_1) | instskip(NEXT) | instid1(VALU_DEP_1)
	v_fma_f64 v[11:12], -v[7:8], v[9:10], 1.0
	v_fma_f64 v[9:10], v[9:10], v[11:12], v[9:10]
	v_div_scale_f64 v[11:12], vcc_lo, v[2:3], v[5:6], v[2:3]
	s_delay_alu instid0(VALU_DEP_1) | instskip(NEXT) | instid1(VALU_DEP_1)
	v_mul_f64 v[13:14], v[11:12], v[9:10]
	v_fma_f64 v[7:8], -v[7:8], v[13:14], v[11:12]
	s_delay_alu instid0(VALU_DEP_1) | instskip(NEXT) | instid1(VALU_DEP_1)
	v_div_fmas_f64 v[7:8], v[7:8], v[9:10], v[13:14]
	v_div_fixup_f64 v[72:73], v[7:8], v[5:6], v[2:3]
.LBB1_26:
	s_or_b32 exec_lo, exec_lo, s3
	s_delay_alu instid0(SALU_CYCLE_1) | instskip(NEXT) | instid1(SALU_CYCLE_1)
	s_or_b32 exec_lo, exec_lo, s37
	s_mov_b32 s37, exec_lo
	v_cmpx_lt_i32_e64 v60, v4
	s_cbranch_execz .LBB1_44
.LBB1_27:
	s_mov_b32 s0, exec_lo
	s_waitcnt vmcnt(0) lgkmcnt(0)
	v_cmpx_ge_f64_e32 0x40140000, v[45:46]
	s_xor_b32 s38, exec_lo, s0
	s_cbranch_execz .LBB1_33
; %bb.28:
	v_mov_b32_e32 v74, 0
	v_mov_b32_e32 v75, 0xfff00000
	s_mov_b32 s39, exec_lo
	v_cmpx_neq_f64_e32 0, v[45:46]
	s_cbranch_execz .LBB1_32
; %bb.29:
	v_mov_b32_e32 v74, 0
	v_mov_b32_e32 v75, 0x7ff80000
	s_mov_b32 s40, exec_lo
	v_cmpx_nge_f64_e32 0, v[45:46]
	s_cbranch_execz .LBB1_31
; %bb.30:
	v_mul_f64 v[2:3], v[45:46], v[45:46]
	s_mov_b32 s0, 0xa93f7ac2
	s_mov_b32 s1, 0x40829269
	;; [unrolled: 1-line block ×4, first 2 shown]
	v_dual_mov_b32 v57, v0 :: v_dual_mov_b32 v0, v45
	v_dual_mov_b32 v56, v1 :: v_dual_mov_b32 v1, v46
	v_mov_b32_e32 v59, v4
	s_delay_alu instid0(VALU_DEP_4)
	v_fma_f64 v[5:6], v[2:3], 0, s[0:1]
	s_mov_b32 s0, 0xbe58ef7f
	s_mov_b32 s1, 0x410cc160
	s_delay_alu instid0(VALU_DEP_1) | instid1(SALU_CYCLE_1)
	v_fma_f64 v[5:6], v[2:3], v[5:6], s[0:1]
	s_mov_b32 s0, 0x62f9b6c5
	s_mov_b32 s1, 0x41d2d2be
	s_delay_alu instid0(SALU_CYCLE_1) | instskip(SKIP_2) | instid1(VALU_DEP_2)
	v_fma_f64 v[7:8], v[2:3], 0, s[0:1]
	s_mov_b32 s0, 0x58836521
	s_mov_b32 s1, 0xc262d72d
	v_fma_f64 v[5:6], v[2:3], v[5:6], s[2:3]
	s_mov_b32 s2, 0x906b7b83
	s_mov_b32 s3, 0x421178c3
	s_delay_alu instid0(VALU_DEP_2) | instskip(SKIP_2) | instid1(VALU_DEP_2)
	v_fma_f64 v[7:8], v[2:3], v[7:8], s[0:1]
	s_mov_b32 s0, 0xb0910fef
	s_mov_b32 s1, 0x42da0954
	v_fma_f64 v[5:6], v[2:3], v[5:6], s[2:3]
	s_mov_b32 s2, 0xfda99316
	s_mov_b32 s3, 0x428c3f5e
	s_delay_alu instid0(VALU_DEP_2) | instskip(SKIP_2) | instid1(VALU_DEP_2)
	;; [unrolled: 7-line block ×4, first 2 shown]
	v_fma_f64 v[7:8], v[2:3], v[7:8], s[0:1]
	s_mov_b32 s0, 0x5dde2b17
	s_mov_b32 s1, 0xc3a59e41
	v_fma_f64 v[5:6], v[2:3], v[5:6], s[2:3]
	s_mov_b32 s2, 0x90f6747f
	s_mov_b32 s3, 0x43cb90f1
	s_delay_alu instid0(VALU_DEP_2) | instskip(SKIP_3) | instid1(VALU_DEP_2)
	v_fma_f64 v[7:8], v[2:3], v[7:8], s[0:1]
	s_getpc_b64 s[0:1]
	s_add_u32 s0, s0, _Z17bessel_j1_forwardIdET_S0_@rel32@lo+4
	s_addc_u32 s1, s1, _Z17bessel_j1_forwardIdET_S0_@rel32@hi+12
	v_fma_f64 v[2:3], v[2:3], v[5:6], s[2:3]
	s_delay_alu instid0(VALU_DEP_1) | instskip(NEXT) | instid1(VALU_DEP_1)
	v_div_scale_f64 v[5:6], null, v[2:3], v[2:3], v[7:8]
	v_rcp_f64_e32 v[9:10], v[5:6]
	s_waitcnt_depctr 0xfff
	v_fma_f64 v[11:12], -v[5:6], v[9:10], 1.0
	s_delay_alu instid0(VALU_DEP_1) | instskip(NEXT) | instid1(VALU_DEP_1)
	v_fma_f64 v[9:10], v[9:10], v[11:12], v[9:10]
	v_fma_f64 v[11:12], -v[5:6], v[9:10], 1.0
	s_delay_alu instid0(VALU_DEP_1) | instskip(SKIP_1) | instid1(VALU_DEP_1)
	v_fma_f64 v[9:10], v[9:10], v[11:12], v[9:10]
	v_div_scale_f64 v[11:12], vcc_lo, v[7:8], v[2:3], v[7:8]
	v_mul_f64 v[13:14], v[11:12], v[9:10]
	s_delay_alu instid0(VALU_DEP_1) | instskip(NEXT) | instid1(VALU_DEP_1)
	v_fma_f64 v[5:6], -v[5:6], v[13:14], v[11:12]
	v_div_fmas_f64 v[5:6], v[5:6], v[9:10], v[13:14]
	s_delay_alu instid0(VALU_DEP_1)
	v_div_fixup_f64 v[61:62], v[5:6], v[2:3], v[7:8]
	s_swappc_b64 s[30:31], s[0:1]
	v_frexp_mant_f64_e32 v[5:6], v[45:46]
	s_mov_b32 s1, 0x3fe55555
	s_mov_b32 s0, 0x55555555
	v_dual_mov_b32 v2, v0 :: v_dual_mov_b32 v7, 0
	s_mov_b32 s2, 0x6b47b09a
	s_mov_b32 s4, 0xbf559e2b
	;; [unrolled: 1-line block ×4, first 2 shown]
	v_div_scale_f64 v[21:22], null, v[45:46], v[45:46], -1.0
	v_dual_mov_b32 v4, v59 :: v_dual_mov_b32 v3, v1
	v_dual_mov_b32 v0, v57 :: v_dual_mov_b32 v1, v56
	v_cmp_gt_f64_e32 vcc_lo, s[0:1], v[5:6]
	s_mov_b32 s0, 0x55555780
	s_delay_alu instid0(VALU_DEP_4) | instskip(SKIP_1) | instid1(VALU_DEP_1)
	v_rcp_f64_e32 v[25:26], v[21:22]
	v_cndmask_b32_e64 v8, 0x3ff00000, 2.0, vcc_lo
	v_mul_f64 v[5:6], v[5:6], v[7:8]
	s_delay_alu instid0(VALU_DEP_1) | instskip(SKIP_1) | instid1(VALU_DEP_2)
	v_add_f64 v[7:8], v[5:6], 1.0
	v_add_f64 v[13:14], v[5:6], -1.0
	v_rcp_f64_e32 v[9:10], v[7:8]
	v_add_f64 v[15:16], v[7:8], -1.0
	s_delay_alu instid0(VALU_DEP_1) | instskip(SKIP_2) | instid1(VALU_DEP_1)
	v_add_f64 v[5:6], v[5:6], -v[15:16]
	s_waitcnt_depctr 0xfff
	v_fma_f64 v[11:12], -v[7:8], v[9:10], 1.0
	v_fma_f64 v[9:10], v[11:12], v[9:10], v[9:10]
	s_delay_alu instid0(VALU_DEP_1) | instskip(NEXT) | instid1(VALU_DEP_1)
	v_fma_f64 v[11:12], -v[7:8], v[9:10], 1.0
	v_fma_f64 v[9:10], v[11:12], v[9:10], v[9:10]
	s_delay_alu instid0(VALU_DEP_1) | instskip(NEXT) | instid1(VALU_DEP_1)
	v_mul_f64 v[11:12], v[13:14], v[9:10]
	v_mul_f64 v[17:18], v[7:8], v[11:12]
	s_delay_alu instid0(VALU_DEP_1) | instskip(NEXT) | instid1(VALU_DEP_1)
	v_fma_f64 v[7:8], v[11:12], v[7:8], -v[17:18]
	v_fma_f64 v[5:6], v[11:12], v[5:6], v[7:8]
	s_delay_alu instid0(VALU_DEP_1) | instskip(NEXT) | instid1(VALU_DEP_1)
	v_add_f64 v[7:8], v[17:18], v[5:6]
	v_add_f64 v[15:16], v[13:14], -v[7:8]
	v_add_f64 v[17:18], v[7:8], -v[17:18]
	s_delay_alu instid0(VALU_DEP_2) | instskip(NEXT) | instid1(VALU_DEP_2)
	v_add_f64 v[13:14], v[13:14], -v[15:16]
	v_add_f64 v[5:6], v[17:18], -v[5:6]
	v_frexp_exp_i32_f64_e32 v17, v[45:46]
	s_delay_alu instid0(VALU_DEP_3) | instskip(NEXT) | instid1(VALU_DEP_1)
	v_add_f64 v[7:8], v[13:14], -v[7:8]
	v_add_f64 v[5:6], v[5:6], v[7:8]
	s_delay_alu instid0(VALU_DEP_1) | instskip(NEXT) | instid1(VALU_DEP_1)
	v_add_f64 v[5:6], v[15:16], v[5:6]
	v_mul_f64 v[5:6], v[9:10], v[5:6]
	s_delay_alu instid0(VALU_DEP_1) | instskip(NEXT) | instid1(VALU_DEP_1)
	v_add_f64 v[7:8], v[11:12], v[5:6]
	v_mul_f64 v[9:10], v[7:8], v[7:8]
	s_delay_alu instid0(VALU_DEP_1) | instskip(SKIP_3) | instid1(VALU_DEP_2)
	v_fma_f64 v[13:14], v[9:10], s[4:5], s[2:3]
	s_mov_b32 s2, 0xd7f4df2e
	s_mov_b32 s3, 0x3fc7474d
	v_mul_f64 v[15:16], v[7:8], v[9:10]
	v_fma_f64 v[13:14], v[9:10], v[13:14], s[2:3]
	s_mov_b32 s2, 0x16291751
	s_mov_b32 s3, 0x3fcc71c0
	s_delay_alu instid0(VALU_DEP_1) | instid1(SALU_CYCLE_1)
	v_fma_f64 v[13:14], v[9:10], v[13:14], s[2:3]
	s_mov_b32 s2, 0x9b27acf1
	s_mov_b32 s3, 0x3fd24924
	s_delay_alu instid0(VALU_DEP_1) | instid1(SALU_CYCLE_1)
	;; [unrolled: 4-line block ×3, first 2 shown]
	v_fma_f64 v[13:14], v[9:10], v[13:14], s[2:3]
	s_delay_alu instid0(VALU_DEP_1) | instskip(SKIP_4) | instid1(VALU_DEP_3)
	v_fma_f64 v[9:10], v[9:10], v[13:14], s[0:1]
	v_ldexp_f64 v[13:14], v[7:8], 1
	v_add_f64 v[7:8], v[7:8], -v[11:12]
	s_mov_b32 s0, 0xfefa39ef
	s_mov_b32 s1, 0x3fe62e42
	v_mul_f64 v[9:10], v[15:16], v[9:10]
	v_subrev_co_ci_u32_e32 v15, vcc_lo, 0, v17, vcc_lo
	s_delay_alu instid0(VALU_DEP_3) | instskip(NEXT) | instid1(VALU_DEP_2)
	v_add_f64 v[5:6], v[5:6], -v[7:8]
	v_cvt_f64_i32_e32 v[15:16], v15
	s_delay_alu instid0(VALU_DEP_4) | instskip(NEXT) | instid1(VALU_DEP_3)
	v_add_f64 v[11:12], v[13:14], v[9:10]
	v_ldexp_f64 v[5:6], v[5:6], 1
	s_delay_alu instid0(VALU_DEP_3) | instskip(NEXT) | instid1(VALU_DEP_3)
	v_mul_f64 v[17:18], v[15:16], s[0:1]
	v_add_f64 v[7:8], v[11:12], -v[13:14]
	s_delay_alu instid0(VALU_DEP_2) | instskip(SKIP_2) | instid1(VALU_DEP_2)
	v_fma_f64 v[13:14], v[15:16], s[0:1], -v[17:18]
	s_mov_b32 s0, 0x3b39803f
	s_mov_b32 s1, 0x3c7abc9e
	v_add_f64 v[7:8], v[9:10], -v[7:8]
	s_delay_alu instid0(VALU_DEP_2) | instskip(SKIP_2) | instid1(VALU_DEP_2)
	v_fma_f64 v[9:10], v[15:16], s[0:1], v[13:14]
	s_mov_b32 s0, 0x6dc9c883
	s_mov_b32 s1, 0x3fe45f30
	v_add_f64 v[5:6], v[5:6], v[7:8]
	s_delay_alu instid0(VALU_DEP_2) | instskip(NEXT) | instid1(VALU_DEP_2)
	v_add_f64 v[7:8], v[17:18], v[9:10]
	v_add_f64 v[13:14], v[11:12], v[5:6]
	s_delay_alu instid0(VALU_DEP_2) | instskip(NEXT) | instid1(VALU_DEP_2)
	v_add_f64 v[17:18], v[7:8], -v[17:18]
	v_add_f64 v[15:16], v[7:8], v[13:14]
	v_add_f64 v[11:12], v[13:14], -v[11:12]
	s_delay_alu instid0(VALU_DEP_3) | instskip(NEXT) | instid1(VALU_DEP_3)
	v_add_f64 v[9:10], v[9:10], -v[17:18]
	v_add_f64 v[19:20], v[15:16], -v[7:8]
	s_delay_alu instid0(VALU_DEP_3) | instskip(NEXT) | instid1(VALU_DEP_2)
	v_add_f64 v[5:6], v[5:6], -v[11:12]
	v_add_f64 v[23:24], v[15:16], -v[19:20]
	;; [unrolled: 1-line block ×3, first 2 shown]
	v_fma_f64 v[13:14], -v[21:22], v[25:26], 1.0
	s_delay_alu instid0(VALU_DEP_4) | instskip(NEXT) | instid1(VALU_DEP_4)
	v_add_f64 v[17:18], v[9:10], v[5:6]
	v_add_f64 v[7:8], v[7:8], -v[23:24]
	s_delay_alu instid0(VALU_DEP_1) | instskip(NEXT) | instid1(VALU_DEP_4)
	v_add_f64 v[7:8], v[11:12], v[7:8]
	v_fma_f64 v[11:12], v[25:26], v[13:14], v[25:26]
	s_delay_alu instid0(VALU_DEP_4) | instskip(SKIP_1) | instid1(VALU_DEP_4)
	v_add_f64 v[13:14], v[17:18], -v[9:10]
	v_div_scale_f64 v[25:26], vcc_lo, -1.0, v[45:46], -1.0
	v_add_f64 v[7:8], v[17:18], v[7:8]
	s_delay_alu instid0(VALU_DEP_4) | instskip(NEXT) | instid1(VALU_DEP_4)
	v_fma_f64 v[19:20], -v[21:22], v[11:12], 1.0
	v_add_f64 v[17:18], v[17:18], -v[13:14]
	v_add_f64 v[5:6], v[5:6], -v[13:14]
	s_delay_alu instid0(VALU_DEP_4) | instskip(NEXT) | instid1(VALU_DEP_4)
	v_add_f64 v[23:24], v[15:16], v[7:8]
	v_fma_f64 v[11:12], v[11:12], v[19:20], v[11:12]
	s_delay_alu instid0(VALU_DEP_4) | instskip(NEXT) | instid1(VALU_DEP_3)
	v_add_f64 v[9:10], v[9:10], -v[17:18]
	v_add_f64 v[13:14], v[23:24], -v[15:16]
	s_delay_alu instid0(VALU_DEP_3) | instskip(NEXT) | instid1(VALU_DEP_3)
	v_mul_f64 v[15:16], v[25:26], v[11:12]
	v_add_f64 v[5:6], v[5:6], v[9:10]
	s_delay_alu instid0(VALU_DEP_3) | instskip(NEXT) | instid1(VALU_DEP_3)
	v_add_f64 v[7:8], v[7:8], -v[13:14]
	v_fma_f64 v[9:10], -v[21:22], v[15:16], v[25:26]
	s_delay_alu instid0(VALU_DEP_2) | instskip(NEXT) | instid1(VALU_DEP_2)
	v_add_f64 v[5:6], v[5:6], v[7:8]
	v_div_fmas_f64 v[7:8], v[9:10], v[11:12], v[15:16]
	s_delay_alu instid0(VALU_DEP_2) | instskip(NEXT) | instid1(VALU_DEP_2)
	v_add_f64 v[5:6], v[23:24], v[5:6]
	v_div_fixup_f64 v[7:8], v[7:8], v[45:46], -1.0
	s_delay_alu instid0(VALU_DEP_1) | instskip(NEXT) | instid1(VALU_DEP_1)
	v_fma_f64 v[2:3], v[5:6], v[2:3], v[7:8]
	v_mul_f64 v[2:3], v[2:3], s[0:1]
	s_delay_alu instid0(VALU_DEP_1)
	v_fma_f64 v[74:75], v[45:46], v[61:62], v[2:3]
.LBB1_31:
	s_or_b32 exec_lo, exec_lo, s40
.LBB1_32:
	s_delay_alu instid0(SALU_CYCLE_1)
	s_or_b32 exec_lo, exec_lo, s39
                                        ; implicit-def: $vgpr45_vgpr46
.LBB1_33:
	s_and_not1_saveexec_b32 s3, s38
	s_cbranch_execz .LBB1_43
; %bb.34:
	s_mov_b32 s0, 0x7f3321d2
	s_mov_b32 s1, 0xc002d97c
                                        ; implicit-def: $vgpr21
                                        ; implicit-def: $vgpr5_vgpr6
                                        ; implicit-def: $vgpr7_vgpr8
	s_delay_alu instid0(SALU_CYCLE_1) | instskip(NEXT) | instid1(VALU_DEP_1)
	v_add_f64 v[2:3], v[45:46], s[0:1]
	v_cmp_ngt_f64_e64 s1, 0x41d00000, |v[2:3]|
	v_trig_preop_f64 v[17:18], |v[2:3]|, 0
	v_trig_preop_f64 v[15:16], |v[2:3]|, 1
	v_ldexp_f64 v[19:20], |v[2:3]|, 0xffffff80
	v_trig_preop_f64 v[13:14], |v[2:3]|, 2
	v_and_b32_e32 v23, 0x7fffffff, v3
	s_and_saveexec_b32 s0, s1
	s_delay_alu instid0(SALU_CYCLE_1)
	s_xor_b32 s2, exec_lo, s0
	s_cbranch_execz .LBB1_36
; %bb.35:
	v_cmp_le_f64_e64 vcc_lo, 0x7b000000, |v[2:3]|
	v_mov_b32_e32 v34, 0
	s_mov_b32 s4, 0x54442d18
	s_mov_b32 s5, 0x3ff921fb
	;; [unrolled: 1-line block ×4, first 2 shown]
	v_dual_cndmask_b32 v6, v23, v20 :: v_dual_cndmask_b32 v5, v2, v19
	s_delay_alu instid0(VALU_DEP_1) | instskip(SKIP_2) | instid1(VALU_DEP_3)
	v_mul_f64 v[7:8], v[17:18], v[5:6]
	v_mul_f64 v[9:10], v[15:16], v[5:6]
	;; [unrolled: 1-line block ×3, first 2 shown]
	v_fma_f64 v[11:12], v[17:18], v[5:6], -v[7:8]
	s_delay_alu instid0(VALU_DEP_3) | instskip(NEXT) | instid1(VALU_DEP_3)
	v_fma_f64 v[32:33], v[15:16], v[5:6], -v[9:10]
	v_fma_f64 v[5:6], v[13:14], v[5:6], -v[30:31]
	s_delay_alu instid0(VALU_DEP_3) | instskip(NEXT) | instid1(VALU_DEP_1)
	v_add_f64 v[21:22], v[9:10], v[11:12]
	v_add_f64 v[24:25], v[21:22], -v[9:10]
	v_add_f64 v[28:29], v[7:8], v[21:22]
	s_delay_alu instid0(VALU_DEP_2) | instskip(SKIP_1) | instid1(VALU_DEP_3)
	v_add_f64 v[26:27], v[21:22], -v[24:25]
	v_add_f64 v[11:12], v[11:12], -v[24:25]
	v_ldexp_f64 v[24:25], v[28:29], -2
	v_add_f64 v[7:8], v[28:29], -v[7:8]
	s_delay_alu instid0(VALU_DEP_4) | instskip(SKIP_1) | instid1(VALU_DEP_4)
	v_add_f64 v[9:10], v[9:10], -v[26:27]
	v_add_f64 v[26:27], v[30:31], v[32:33]
	v_cmp_neq_f64_e64 vcc_lo, 0x7ff00000, |v[24:25]|
	s_delay_alu instid0(VALU_DEP_4) | instskip(NEXT) | instid1(VALU_DEP_4)
	v_add_f64 v[7:8], v[21:22], -v[7:8]
	v_add_f64 v[9:10], v[11:12], v[9:10]
	v_fract_f64_e32 v[11:12], v[24:25]
	s_delay_alu instid0(VALU_DEP_2) | instskip(NEXT) | instid1(VALU_DEP_2)
	v_add_f64 v[21:22], v[26:27], v[9:10]
	v_dual_cndmask_b32 v12, 0, v12 :: v_dual_cndmask_b32 v11, 0, v11
	s_delay_alu instid0(VALU_DEP_1) | instskip(NEXT) | instid1(VALU_DEP_3)
	v_ldexp_f64 v[11:12], v[11:12], 2
	v_add_f64 v[24:25], v[7:8], v[21:22]
	s_delay_alu instid0(VALU_DEP_1) | instskip(SKIP_1) | instid1(VALU_DEP_2)
	v_add_f64 v[28:29], v[24:25], v[11:12]
	v_add_f64 v[7:8], v[24:25], -v[7:8]
	v_cmp_gt_f64_e32 vcc_lo, 0, v[28:29]
	v_add_f64 v[28:29], v[26:27], -v[30:31]
	s_delay_alu instid0(VALU_DEP_3) | instskip(SKIP_1) | instid1(VALU_DEP_3)
	v_add_f64 v[7:8], v[21:22], -v[7:8]
	v_cndmask_b32_e64 v35, 0, 0x40100000, vcc_lo
	v_add_f64 v[48:49], v[26:27], -v[28:29]
	v_add_f64 v[28:29], v[32:33], -v[28:29]
	s_delay_alu instid0(VALU_DEP_3) | instskip(SKIP_1) | instid1(VALU_DEP_4)
	v_add_f64 v[11:12], v[11:12], v[34:35]
	v_add_f64 v[35:36], v[21:22], -v[26:27]
	v_add_f64 v[32:33], v[30:31], -v[48:49]
	s_delay_alu instid0(VALU_DEP_3) | instskip(NEXT) | instid1(VALU_DEP_3)
	v_add_f64 v[37:38], v[24:25], v[11:12]
	v_add_f64 v[50:51], v[21:22], -v[35:36]
	v_add_f64 v[9:10], v[9:10], -v[35:36]
	s_delay_alu instid0(VALU_DEP_4) | instskip(NEXT) | instid1(VALU_DEP_4)
	v_add_f64 v[28:29], v[28:29], v[32:33]
	v_cvt_i32_f64_e32 v37, v[37:38]
	s_delay_alu instid0(VALU_DEP_4) | instskip(NEXT) | instid1(VALU_DEP_2)
	v_add_f64 v[26:27], v[26:27], -v[50:51]
	v_cvt_f64_i32_e32 v[35:36], v37
	s_delay_alu instid0(VALU_DEP_2) | instskip(NEXT) | instid1(VALU_DEP_2)
	v_add_f64 v[9:10], v[9:10], v[26:27]
	v_add_f64 v[11:12], v[11:12], -v[35:36]
	s_delay_alu instid0(VALU_DEP_2) | instskip(NEXT) | instid1(VALU_DEP_2)
	v_add_f64 v[9:10], v[28:29], v[9:10]
	v_add_f64 v[26:27], v[24:25], v[11:12]
	s_delay_alu instid0(VALU_DEP_2) | instskip(NEXT) | instid1(VALU_DEP_2)
	v_add_f64 v[5:6], v[5:6], v[9:10]
	v_add_f64 v[9:10], v[26:27], -v[11:12]
	v_cmp_le_f64_e32 vcc_lo, 0.5, v[26:27]
	s_delay_alu instid0(VALU_DEP_3) | instskip(NEXT) | instid1(VALU_DEP_3)
	v_add_f64 v[5:6], v[7:8], v[5:6]
	v_add_f64 v[7:8], v[24:25], -v[9:10]
	v_cndmask_b32_e64 v35, 0, 0x3ff00000, vcc_lo
	v_add_co_ci_u32_e64 v21, s0, 0, v37, vcc_lo
	s_delay_alu instid0(VALU_DEP_3) | instskip(NEXT) | instid1(VALU_DEP_3)
	v_add_f64 v[5:6], v[5:6], v[7:8]
	v_add_f64 v[7:8], v[26:27], -v[34:35]
	s_delay_alu instid0(VALU_DEP_1) | instskip(NEXT) | instid1(VALU_DEP_1)
	v_add_f64 v[9:10], v[7:8], v[5:6]
	v_mul_f64 v[11:12], v[9:10], s[4:5]
	v_add_f64 v[7:8], v[9:10], -v[7:8]
	s_delay_alu instid0(VALU_DEP_2) | instskip(NEXT) | instid1(VALU_DEP_2)
	v_fma_f64 v[24:25], v[9:10], s[4:5], -v[11:12]
	v_add_f64 v[5:6], v[5:6], -v[7:8]
	s_delay_alu instid0(VALU_DEP_2) | instskip(NEXT) | instid1(VALU_DEP_1)
	v_fma_f64 v[7:8], v[9:10], s[6:7], v[24:25]
	v_fma_f64 v[7:8], v[5:6], s[4:5], v[7:8]
	s_delay_alu instid0(VALU_DEP_1) | instskip(NEXT) | instid1(VALU_DEP_1)
	v_add_f64 v[5:6], v[11:12], v[7:8]
	v_add_f64 v[9:10], v[5:6], -v[11:12]
	s_delay_alu instid0(VALU_DEP_1)
	v_add_f64 v[7:8], v[7:8], -v[9:10]
	s_and_not1_saveexec_b32 s0, s2
	s_cbranch_execz .LBB1_38
	s_branch .LBB1_37
.LBB1_36:
	s_and_not1_saveexec_b32 s0, s2
	s_cbranch_execz .LBB1_38
.LBB1_37:
	s_mov_b32 s4, 0x6dc9c883
	s_mov_b32 s5, 0x3fe45f30
	;; [unrolled: 1-line block ×3, first 2 shown]
	v_mul_f64 v[5:6], |v[2:3]|, s[4:5]
	s_mov_b32 s4, 0x54442d18
	s_mov_b32 s5, 0xbff921fb
	;; [unrolled: 1-line block ×3, first 2 shown]
	s_delay_alu instid0(VALU_DEP_1) | instskip(NEXT) | instid1(VALU_DEP_1)
	v_rndne_f64_e32 v[9:10], v[5:6]
	v_fma_f64 v[5:6], v[9:10], s[4:5], |v[2:3]|
	v_mul_f64 v[7:8], v[9:10], s[6:7]
	s_mov_b32 s4, 0x252049c0
	s_mov_b32 s5, 0xb97b839a
	s_delay_alu instid0(VALU_DEP_2) | instskip(NEXT) | instid1(VALU_DEP_2)
	v_fma_f64 v[21:22], v[9:10], s[6:7], v[5:6]
	v_add_f64 v[11:12], v[5:6], v[7:8]
	s_mov_b32 s7, 0x3c91a626
	s_delay_alu instid0(VALU_DEP_1) | instskip(NEXT) | instid1(VALU_DEP_3)
	v_add_f64 v[5:6], v[5:6], -v[11:12]
	v_add_f64 v[11:12], v[11:12], -v[21:22]
	s_delay_alu instid0(VALU_DEP_2) | instskip(SKIP_1) | instid1(VALU_DEP_2)
	v_add_f64 v[5:6], v[5:6], v[7:8]
	v_fma_f64 v[7:8], v[9:10], s[6:7], v[7:8]
	v_add_f64 v[5:6], v[11:12], v[5:6]
	s_delay_alu instid0(VALU_DEP_1) | instskip(NEXT) | instid1(VALU_DEP_1)
	v_add_f64 v[5:6], v[5:6], -v[7:8]
	v_fma_f64 v[7:8], v[9:10], s[4:5], v[5:6]
	s_delay_alu instid0(VALU_DEP_1) | instskip(NEXT) | instid1(VALU_DEP_1)
	v_add_f64 v[5:6], v[21:22], v[7:8]
	v_add_f64 v[11:12], v[5:6], -v[21:22]
	v_cvt_i32_f64_e32 v21, v[9:10]
	s_delay_alu instid0(VALU_DEP_2)
	v_add_f64 v[7:8], v[7:8], -v[11:12]
.LBB1_38:
	s_or_b32 exec_lo, exec_lo, s0
                                        ; implicit-def: $vgpr22
                                        ; implicit-def: $vgpr9_vgpr10
                                        ; implicit-def: $vgpr11_vgpr12
	s_and_saveexec_b32 s0, s1
	s_delay_alu instid0(SALU_CYCLE_1)
	s_xor_b32 s1, exec_lo, s0
	s_cbranch_execz .LBB1_40
; %bb.39:
	v_cmp_le_f64_e64 vcc_lo, 0x7b000000, |v[2:3]|
	v_mov_b32_e32 v32, 0
	s_mov_b32 s4, 0x54442d18
	s_mov_b32 s5, 0x3ff921fb
	;; [unrolled: 1-line block ×4, first 2 shown]
	v_dual_cndmask_b32 v10, v23, v20 :: v_dual_cndmask_b32 v9, v2, v19
	s_delay_alu instid0(VALU_DEP_1) | instskip(SKIP_2) | instid1(VALU_DEP_3)
	v_mul_f64 v[11:12], v[17:18], v[9:10]
	v_mul_f64 v[19:20], v[15:16], v[9:10]
	v_mul_f64 v[30:31], v[13:14], v[9:10]
	v_fma_f64 v[17:18], v[17:18], v[9:10], -v[11:12]
	s_delay_alu instid0(VALU_DEP_3) | instskip(NEXT) | instid1(VALU_DEP_3)
	v_fma_f64 v[15:16], v[15:16], v[9:10], -v[19:20]
	v_fma_f64 v[9:10], v[13:14], v[9:10], -v[30:31]
	s_delay_alu instid0(VALU_DEP_3) | instskip(NEXT) | instid1(VALU_DEP_1)
	v_add_f64 v[22:23], v[19:20], v[17:18]
	v_add_f64 v[24:25], v[22:23], -v[19:20]
	v_add_f64 v[28:29], v[11:12], v[22:23]
	s_delay_alu instid0(VALU_DEP_2) | instskip(SKIP_1) | instid1(VALU_DEP_3)
	v_add_f64 v[26:27], v[22:23], -v[24:25]
	v_add_f64 v[17:18], v[17:18], -v[24:25]
	v_ldexp_f64 v[24:25], v[28:29], -2
	v_add_f64 v[11:12], v[28:29], -v[11:12]
	s_delay_alu instid0(VALU_DEP_4) | instskip(SKIP_1) | instid1(VALU_DEP_4)
	v_add_f64 v[19:20], v[19:20], -v[26:27]
	v_add_f64 v[26:27], v[30:31], v[15:16]
	v_cmp_neq_f64_e64 vcc_lo, 0x7ff00000, |v[24:25]|
	s_delay_alu instid0(VALU_DEP_4) | instskip(NEXT) | instid1(VALU_DEP_4)
	v_add_f64 v[11:12], v[22:23], -v[11:12]
	v_add_f64 v[17:18], v[17:18], v[19:20]
	v_fract_f64_e32 v[19:20], v[24:25]
	s_delay_alu instid0(VALU_DEP_2) | instskip(NEXT) | instid1(VALU_DEP_2)
	v_add_f64 v[22:23], v[26:27], v[17:18]
	v_dual_cndmask_b32 v20, 0, v20 :: v_dual_cndmask_b32 v19, 0, v19
	s_delay_alu instid0(VALU_DEP_1) | instskip(NEXT) | instid1(VALU_DEP_3)
	v_ldexp_f64 v[19:20], v[19:20], 2
	v_add_f64 v[24:25], v[11:12], v[22:23]
	s_delay_alu instid0(VALU_DEP_1) | instskip(SKIP_1) | instid1(VALU_DEP_2)
	v_add_f64 v[28:29], v[24:25], v[19:20]
	v_add_f64 v[11:12], v[24:25], -v[11:12]
	v_cmp_gt_f64_e32 vcc_lo, 0, v[28:29]
	v_add_f64 v[28:29], v[26:27], -v[30:31]
	s_delay_alu instid0(VALU_DEP_3) | instskip(SKIP_1) | instid1(VALU_DEP_3)
	v_add_f64 v[11:12], v[22:23], -v[11:12]
	v_cndmask_b32_e64 v33, 0, 0x40100000, vcc_lo
	v_add_f64 v[37:38], v[26:27], -v[28:29]
	v_add_f64 v[15:16], v[15:16], -v[28:29]
	s_delay_alu instid0(VALU_DEP_3) | instskip(SKIP_1) | instid1(VALU_DEP_4)
	v_add_f64 v[19:20], v[19:20], v[32:33]
	v_add_f64 v[33:34], v[22:23], -v[26:27]
	v_add_f64 v[28:29], v[30:31], -v[37:38]
	s_delay_alu instid0(VALU_DEP_3) | instskip(NEXT) | instid1(VALU_DEP_3)
	v_add_f64 v[35:36], v[24:25], v[19:20]
	v_add_f64 v[48:49], v[22:23], -v[33:34]
	v_add_f64 v[17:18], v[17:18], -v[33:34]
	s_delay_alu instid0(VALU_DEP_4) | instskip(NEXT) | instid1(VALU_DEP_4)
	v_add_f64 v[15:16], v[15:16], v[28:29]
	v_cvt_i32_f64_e32 v35, v[35:36]
	s_delay_alu instid0(VALU_DEP_4) | instskip(NEXT) | instid1(VALU_DEP_2)
	v_add_f64 v[26:27], v[26:27], -v[48:49]
	v_cvt_f64_i32_e32 v[33:34], v35
	s_delay_alu instid0(VALU_DEP_2) | instskip(NEXT) | instid1(VALU_DEP_2)
	v_add_f64 v[17:18], v[17:18], v[26:27]
	v_add_f64 v[19:20], v[19:20], -v[33:34]
	s_delay_alu instid0(VALU_DEP_2) | instskip(NEXT) | instid1(VALU_DEP_2)
	v_add_f64 v[13:14], v[15:16], v[17:18]
	v_add_f64 v[15:16], v[24:25], v[19:20]
	s_delay_alu instid0(VALU_DEP_2) | instskip(NEXT) | instid1(VALU_DEP_2)
	v_add_f64 v[9:10], v[9:10], v[13:14]
	v_add_f64 v[13:14], v[15:16], -v[19:20]
	v_cmp_le_f64_e32 vcc_lo, 0.5, v[15:16]
	s_delay_alu instid0(VALU_DEP_3) | instskip(NEXT) | instid1(VALU_DEP_3)
	v_add_f64 v[9:10], v[11:12], v[9:10]
	v_add_f64 v[11:12], v[24:25], -v[13:14]
	v_cndmask_b32_e64 v33, 0, 0x3ff00000, vcc_lo
	v_add_co_ci_u32_e64 v22, s0, 0, v35, vcc_lo
	s_delay_alu instid0(VALU_DEP_3) | instskip(NEXT) | instid1(VALU_DEP_3)
	v_add_f64 v[9:10], v[9:10], v[11:12]
	v_add_f64 v[11:12], v[15:16], -v[32:33]
	s_delay_alu instid0(VALU_DEP_1) | instskip(NEXT) | instid1(VALU_DEP_1)
	v_add_f64 v[13:14], v[11:12], v[9:10]
	v_mul_f64 v[15:16], v[13:14], s[4:5]
	v_add_f64 v[11:12], v[13:14], -v[11:12]
	s_delay_alu instid0(VALU_DEP_2) | instskip(NEXT) | instid1(VALU_DEP_2)
	v_fma_f64 v[17:18], v[13:14], s[4:5], -v[15:16]
	v_add_f64 v[9:10], v[9:10], -v[11:12]
	s_delay_alu instid0(VALU_DEP_2) | instskip(NEXT) | instid1(VALU_DEP_1)
	v_fma_f64 v[11:12], v[13:14], s[6:7], v[17:18]
	v_fma_f64 v[11:12], v[9:10], s[4:5], v[11:12]
	s_delay_alu instid0(VALU_DEP_1) | instskip(NEXT) | instid1(VALU_DEP_1)
	v_add_f64 v[9:10], v[15:16], v[11:12]
	v_add_f64 v[13:14], v[9:10], -v[15:16]
	s_delay_alu instid0(VALU_DEP_1)
	v_add_f64 v[11:12], v[11:12], -v[13:14]
	s_and_not1_saveexec_b32 s0, s1
	s_cbranch_execnz .LBB1_41
	s_branch .LBB1_42
.LBB1_40:
	s_and_not1_saveexec_b32 s0, s1
	s_cbranch_execz .LBB1_42
.LBB1_41:
	s_mov_b32 s4, 0x6dc9c883
	s_mov_b32 s5, 0x3fe45f30
	;; [unrolled: 1-line block ×3, first 2 shown]
	v_mul_f64 v[9:10], |v[2:3]|, s[4:5]
	s_mov_b32 s4, 0x54442d18
	s_mov_b32 s5, 0xbff921fb
	;; [unrolled: 1-line block ×3, first 2 shown]
	s_delay_alu instid0(VALU_DEP_1) | instskip(NEXT) | instid1(VALU_DEP_1)
	v_rndne_f64_e32 v[13:14], v[9:10]
	v_fma_f64 v[9:10], v[13:14], s[4:5], |v[2:3]|
	v_mul_f64 v[11:12], v[13:14], s[6:7]
	s_mov_b32 s4, 0x252049c0
	s_mov_b32 s5, 0xb97b839a
	v_cvt_i32_f64_e32 v22, v[13:14]
	s_delay_alu instid0(VALU_DEP_3) | instskip(NEXT) | instid1(VALU_DEP_3)
	v_fma_f64 v[17:18], v[13:14], s[6:7], v[9:10]
	v_add_f64 v[15:16], v[9:10], v[11:12]
	s_mov_b32 s7, 0x3c91a626
	s_delay_alu instid0(VALU_DEP_1) | instskip(NEXT) | instid1(VALU_DEP_3)
	v_add_f64 v[9:10], v[9:10], -v[15:16]
	v_add_f64 v[15:16], v[15:16], -v[17:18]
	s_delay_alu instid0(VALU_DEP_2) | instskip(SKIP_1) | instid1(VALU_DEP_2)
	v_add_f64 v[9:10], v[9:10], v[11:12]
	v_fma_f64 v[11:12], v[13:14], s[6:7], v[11:12]
	v_add_f64 v[9:10], v[15:16], v[9:10]
	s_delay_alu instid0(VALU_DEP_1) | instskip(NEXT) | instid1(VALU_DEP_1)
	v_add_f64 v[9:10], v[9:10], -v[11:12]
	v_fma_f64 v[11:12], v[13:14], s[4:5], v[9:10]
	s_delay_alu instid0(VALU_DEP_1) | instskip(NEXT) | instid1(VALU_DEP_1)
	v_add_f64 v[9:10], v[17:18], v[11:12]
	v_add_f64 v[15:16], v[9:10], -v[17:18]
	s_delay_alu instid0(VALU_DEP_1)
	v_add_f64 v[11:12], v[11:12], -v[15:16]
.LBB1_42:
	s_or_b32 exec_lo, exec_lo, s0
	v_div_scale_f64 v[13:14], null, v[45:46], v[45:46], 0x40140000
	v_div_scale_f64 v[19:20], vcc_lo, 0x40140000, v[45:46], 0x40140000
	s_mov_b32 s0, 0x6b70ba40
	s_mov_b32 s1, 0x3faa27fa
	;; [unrolled: 1-line block ×6, first 2 shown]
	v_mul_f64 v[29:30], v[5:6], v[5:6]
	v_mul_f64 v[35:36], v[9:10], v[9:10]
	s_mov_b32 s8, 0x796cde01
	s_mov_b32 s9, 0x3ec71de3
	v_mul_f64 v[86:87], v[7:8], 0.5
	v_rcp_f64_e32 v[15:16], v[13:14]
	s_delay_alu instid0(VALU_DEP_3) | instskip(SKIP_1) | instid1(VALU_DEP_4)
	v_mul_f64 v[64:65], v[29:30], 0.5
	v_mul_f64 v[96:97], v[5:6], -v[29:30]
	v_mul_f64 v[102:103], v[9:10], -v[35:36]
	s_waitcnt_depctr 0xfff
	v_fma_f64 v[17:18], -v[13:14], v[15:16], 1.0
	v_add_f64 v[68:69], -v[64:65], 1.0
	s_delay_alu instid0(VALU_DEP_2) | instskip(NEXT) | instid1(VALU_DEP_2)
	v_fma_f64 v[15:16], v[15:16], v[17:18], v[15:16]
	v_add_f64 v[98:99], -v[68:69], 1.0
	s_delay_alu instid0(VALU_DEP_2) | instskip(NEXT) | instid1(VALU_DEP_2)
	v_fma_f64 v[17:18], -v[13:14], v[15:16], 1.0
	v_add_f64 v[64:65], v[98:99], -v[64:65]
	s_delay_alu instid0(VALU_DEP_2) | instskip(NEXT) | instid1(VALU_DEP_2)
	v_fma_f64 v[15:16], v[15:16], v[17:18], v[15:16]
	v_fma_f64 v[64:65], v[5:6], -v[7:8], v[64:65]
	s_delay_alu instid0(VALU_DEP_2) | instskip(NEXT) | instid1(VALU_DEP_1)
	v_mul_f64 v[17:18], v[19:20], v[15:16]
	v_fma_f64 v[13:14], -v[13:14], v[17:18], v[19:20]
	s_delay_alu instid0(VALU_DEP_1) | instskip(NEXT) | instid1(VALU_DEP_1)
	v_div_fmas_f64 v[13:14], v[13:14], v[15:16], v[17:18]
	v_div_fixup_f64 v[13:14], v[13:14], v[45:46], 0x40140000
	s_delay_alu instid0(VALU_DEP_1) | instskip(NEXT) | instid1(VALU_DEP_1)
	v_mul_f64 v[15:16], v[13:14], v[13:14]
	v_fma_f64 v[17:18], v[15:16], 0, s[0:1]
	s_mov_b32 s0, 0x4c6c651b
	s_mov_b32 s1, 0x3f48f92c
	v_fma_f64 v[19:20], v[15:16], 0, s[4:5]
	v_fma_f64 v[23:24], v[15:16], 0, s[0:1]
	s_mov_b32 s0, 0xc66d8fd6
	s_mov_b32 s1, 0x4013edb5
	v_fma_f64 v[25:26], v[15:16], 0, s[6:7]
	s_mov_b32 s4, 0x5948aa83
	s_mov_b32 s5, 0x3fb19fdd
	s_mov_b32 s6, 0xa20e5f6f
	s_mov_b32 s7, 0x409081cb
	s_delay_alu instid0(VALU_DEP_4) | instskip(SKIP_2) | instid1(VALU_DEP_4)
	v_fma_f64 v[17:18], v[15:16], v[17:18], s[0:1]
	s_mov_b32 s0, 0xa3fec4b6
	s_mov_b32 s1, 0x3fb2b948
	v_fma_f64 v[19:20], v[15:16], v[19:20], s[4:5]
	s_delay_alu instid0(VALU_DEP_4) | instskip(SKIP_2) | instid1(VALU_DEP_4)
	v_fma_f64 v[23:24], v[15:16], v[23:24], s[0:1]
	s_mov_b32 s0, 0x9acf1c67
	s_mov_b32 s1, 0x4052f4b9
	v_fma_f64 v[25:26], v[15:16], v[25:26], s[6:7]
	s_mov_b32 s4, 0xb850eed6
	s_mov_b32 s5, 0x3ff1aea9
	s_mov_b32 s6, 0x1bfdfe81
	s_mov_b32 s7, 0x40b37a69
	s_delay_alu instid0(VALU_DEP_4) | instskip(SKIP_2) | instid1(VALU_DEP_4)
	v_fma_f64 v[17:18], v[15:16], v[17:18], s[0:1]
	s_mov_b32 s0, 0xc21596d6
	s_mov_b32 s1, 0x3ff208fe
	v_fma_f64 v[19:20], v[15:16], v[19:20], s[4:5]
	s_delay_alu instid0(VALU_DEP_4) | instskip(SKIP_2) | instid1(VALU_DEP_4)
	v_fma_f64 v[23:24], v[15:16], v[23:24], s[0:1]
	s_mov_b32 s0, 0x47aa180d
	s_mov_b32 s1, 0x4076ec79
	v_fma_f64 v[25:26], v[15:16], v[25:26], s[6:7]
	s_mov_b32 s4, 0xf7d251a1
	s_mov_b32 s5, 0x40144ba2
	s_mov_b32 s6, 0xd280d118
	s_mov_b32 s7, 0x40c2ad28
	s_delay_alu instid0(VALU_DEP_4) | instskip(SKIP_2) | instid1(VALU_DEP_4)
	v_fma_f64 v[17:18], v[15:16], v[17:18], s[0:1]
	s_mov_b32 s0, 0xf8b13a6a
	s_mov_b32 s1, 0x401472c4
	v_fma_f64 v[19:20], v[15:16], v[19:20], s[4:5]
	s_delay_alu instid0(VALU_DEP_4) | instskip(SKIP_2) | instid1(VALU_DEP_4)
	v_fma_f64 v[23:24], v[15:16], v[23:24], s[0:1]
	s_mov_b32 s0, 0xb66f6e50
	s_mov_b32 s1, 0x408636d9
	v_fma_f64 v[25:26], v[15:16], v[25:26], s[6:7]
	s_mov_b32 s4, 0xdda2fd65
	s_mov_b32 s5, 0x4020ccb9
	s_mov_b32 s6, 0xa6973d14
	s_mov_b32 s7, 0x40bf3d0a
	s_delay_alu instid0(VALU_DEP_4) | instskip(SKIP_2) | instid1(VALU_DEP_4)
	v_fma_f64 v[17:18], v[15:16], v[17:18], s[0:1]
	s_mov_b32 s0, 0x8b5d2f16
	s_mov_b32 s1, 0x4020d91c
	v_fma_f64 v[19:20], v[15:16], v[19:20], s[4:5]
	s_delay_alu instid0(VALU_DEP_4) | instskip(SKIP_2) | instid1(VALU_DEP_4)
	v_fma_f64 v[23:24], v[15:16], v[23:24], s[0:1]
	s_mov_b32 s0, 0xb9e802d0
	s_mov_b32 s1, 0x4082abea
	v_fma_f64 v[25:26], v[15:16], v[25:26], s[6:7]
	s_mov_b32 s4, 0x4762b4d9
	s_mov_b32 s5, 0x4014d6dd
	s_mov_b32 s6, 0xb4bd1781
	s_mov_b32 s7, 0x40a61462
	s_delay_alu instid0(VALU_DEP_4) | instskip(SKIP_2) | instid1(VALU_DEP_4)
	v_fma_f64 v[17:18], v[15:16], v[17:18], s[0:1]
	s_mov_b32 s0, 0x142f81a2
	s_mov_b32 s1, 0x4014dbaa
	v_fma_f64 v[19:20], v[15:16], v[19:20], s[4:5]
	s_delay_alu instid0(VALU_DEP_4) | instskip(SKIP_2) | instid1(VALU_DEP_4)
	v_fma_f64 v[23:24], v[15:16], v[23:24], s[0:1]
	s_mov_b32 s0, 0x4c54bb0b
	s_mov_b32 s1, 0x406a760a
	v_fma_f64 v[25:26], v[15:16], v[25:26], s[6:7]
	s_mov_b32 s4, 0x4d159eb5
	s_mov_b32 s5, 0x403934ff
	;; [unrolled: 1-line block ×4, first 2 shown]
	s_delay_alu instid0(VALU_DEP_4) | instskip(SKIP_2) | instid1(VALU_DEP_4)
	v_fma_f64 v[17:18], v[15:16], v[17:18], s[0:1]
	s_mov_b32 s0, 0x6ae75997
	s_mov_b32 s1, 0x4075017f
	v_fma_f64 v[19:20], v[15:16], v[19:20], 1.0
	s_delay_alu instid0(VALU_DEP_4) | instskip(NEXT) | instid1(VALU_DEP_4)
	v_fma_f64 v[23:24], v[15:16], v[23:24], 1.0
	v_fma_f64 v[25:26], v[15:16], v[25:26], s[0:1]
	s_mov_b32 s0, 0xb42fdfa7
	s_mov_b32 s1, 0xbe5ae600
	s_delay_alu instid0(VALU_DEP_4) | instskip(SKIP_2) | instid1(VALU_DEP_3)
	v_fma_f64 v[15:16], v[15:16], v[17:18], s[4:5]
	s_mov_b32 s4, 0xf9a43bb8
	s_mov_b32 s5, 0x3de5e0b2
	v_div_scale_f64 v[17:18], null, v[19:20], v[19:20], v[23:24]
	v_fma_f64 v[37:38], v[29:30], s[4:5], s[0:1]
	v_fma_f64 v[52:53], v[35:36], s[4:5], s[0:1]
	v_cmp_gt_f64_e64 s0, 0x10000000, v[45:46]
	s_mov_b32 s4, 0x9037ab78
	s_mov_b32 s5, 0x3e21eeb6
	v_div_scale_f64 v[100:101], vcc_lo, v[23:24], v[19:20], v[23:24]
	v_fma_f64 v[54:55], v[29:30], s[6:7], s[4:5]
	v_div_scale_f64 v[27:28], null, v[25:26], v[25:26], v[15:16]
	v_rcp_f64_e32 v[31:32], v[17:18]
	v_fma_f64 v[37:38], v[29:30], v[37:38], s[8:9]
	v_cndmask_b32_e64 v39, 0, 1, s0
	s_delay_alu instid0(VALU_DEP_1) | instskip(NEXT) | instid1(VALU_DEP_1)
	v_lshlrev_b32_e32 v39, 8, v39
	v_ldexp_f64 v[66:67], v[45:46], v39
	v_rcp_f64_e32 v[33:34], v[27:28]
	s_waitcnt_depctr 0xfff
	v_fma_f64 v[48:49], -v[17:18], v[31:32], 1.0
	v_rsq_f64_e32 v[84:85], v[66:67]
	v_fma_f64 v[50:51], -v[27:28], v[33:34], 1.0
	s_delay_alu instid0(VALU_DEP_2)
	v_fma_f64 v[31:32], v[31:32], v[48:49], v[31:32]
	v_fma_f64 v[48:49], v[35:36], v[52:53], s[8:9]
	;; [unrolled: 1-line block ×3, first 2 shown]
	s_mov_b32 s6, 0x19e83e5c
	s_mov_b32 s7, 0xbf2a01a0
	;; [unrolled: 1-line block ×3, first 2 shown]
	v_fma_f64 v[37:38], v[29:30], v[37:38], s[6:7]
	s_mov_b32 s5, 0xbe927e4f
	s_delay_alu instid0(SALU_CYCLE_1) | instskip(NEXT) | instid1(TRANS32_DEP_1)
	v_fma_f64 v[54:55], v[29:30], v[54:55], s[4:5]
	v_mul_f64 v[114:115], v[66:67], v[84:85]
	v_mul_f64 v[84:85], v[84:85], 0.5
	v_fma_f64 v[33:34], v[33:34], v[50:51], v[33:34]
	v_mul_f64 v[50:51], v[35:36], 0.5
	v_fma_f64 v[70:71], -v[17:18], v[31:32], 1.0
	v_fma_f64 v[48:49], v[35:36], v[48:49], s[6:7]
	v_fma_f64 v[52:53], v[35:36], v[52:53], s[4:5]
	s_mov_b32 s6, 0x11110bb3
	s_mov_b32 s7, 0x3f811111
	;; [unrolled: 1-line block ×3, first 2 shown]
	v_fma_f64 v[37:38], v[29:30], v[37:38], s[6:7]
	s_mov_b32 s5, 0x3efa01a0
	s_delay_alu instid0(SALU_CYCLE_1)
	v_fma_f64 v[54:55], v[29:30], v[54:55], s[4:5]
	v_fma_f64 v[80:81], -v[27:28], v[33:34], 1.0
	v_add_f64 v[82:83], -v[50:51], 1.0
	v_fma_f64 v[31:32], v[31:32], v[70:71], v[31:32]
	v_div_scale_f64 v[70:71], s1, v[15:16], v[25:26], v[15:16]
	v_fma_f64 v[48:49], v[35:36], v[48:49], s[6:7]
	v_fma_f64 v[52:53], v[35:36], v[52:53], s[4:5]
	s_mov_b32 s4, 0x16c16967
	v_fma_f64 v[37:38], v[96:97], v[37:38], v[86:87]
	s_mov_b32 s5, 0xbf56c16c
	s_delay_alu instid0(SALU_CYCLE_1)
	v_fma_f64 v[54:55], v[29:30], v[54:55], s[4:5]
	v_fma_f64 v[33:34], v[33:34], v[80:81], v[33:34]
	v_mul_f64 v[80:81], v[11:12], 0.5
	v_add_f64 v[112:113], -v[82:83], 1.0
	v_mul_f64 v[86:87], v[100:101], v[31:32]
	v_fma_f64 v[52:53], v[35:36], v[52:53], s[4:5]
	s_mov_b32 s4, 0x55555555
	v_fma_f64 v[7:8], v[29:30], v[37:38], -v[7:8]
	s_mov_b32 s5, 0x3fa55555
	v_mul_f64 v[37:38], v[35:36], v[35:36]
	v_fma_f64 v[54:55], v[29:30], v[54:55], s[4:5]
	v_mul_f64 v[98:99], v[70:71], v[33:34]
	v_fma_f64 v[48:49], v[102:103], v[48:49], v[80:81]
	v_add_f64 v[50:51], v[112:113], -v[50:51]
	v_fma_f64 v[112:113], -v[84:85], v[114:115], 0.5
	v_fma_f64 v[17:18], -v[17:18], v[86:87], v[100:101]
	v_mul_f64 v[80:81], v[29:30], v[29:30]
	v_fma_f64 v[27:28], -v[27:28], v[98:99], v[70:71]
	v_fma_f64 v[29:30], v[35:36], v[48:49], -v[11:12]
	v_fma_f64 v[35:36], v[35:36], v[52:53], s[4:5]
	v_fma_f64 v[11:12], v[9:10], -v[11:12], v[50:51]
	v_fma_f64 v[48:49], v[114:115], v[112:113], v[114:115]
	s_mov_b32 s5, 0xbfc55555
	v_div_fmas_f64 v[17:18], v[17:18], v[31:32], v[86:87]
	s_mov_b32 vcc_lo, s1
	v_fma_f64 v[7:8], v[96:97], s[4:5], v[7:8]
	v_fma_f64 v[50:51], v[80:81], v[54:55], v[64:65]
	v_fma_f64 v[31:32], v[84:85], v[112:113], v[84:85]
	v_cmp_class_f64_e64 s1, v[2:3], 0x1f8
	v_and_b32_e32 v2, 1, v22
	s_delay_alu instid0(VALU_DEP_1)
	v_cmp_eq_u32_e64 s2, 0, v2
	v_div_fmas_f64 v[27:28], v[27:28], v[33:34], v[98:99]
	v_fma_f64 v[29:30], v[102:103], s[4:5], v[29:30]
	v_fma_f64 v[11:12], v[37:38], v[35:36], v[11:12]
	v_fma_f64 v[33:34], -v[48:49], v[48:49], v[66:67]
	v_add_f64 v[5:6], v[5:6], -v[7:8]
	v_add_f64 v[35:36], v[68:69], v[50:51]
	v_div_fixup_f64 v[7:8], v[27:28], v[25:26], v[15:16]
	v_add_f64 v[9:10], v[9:10], -v[29:30]
	v_and_b32_e32 v25, 1, v21
	v_add_f64 v[11:12], v[82:83], v[11:12]
	v_fma_f64 v[15:16], v[33:34], v[31:32], v[48:49]
	s_delay_alu instid0(VALU_DEP_3)
	v_cmp_eq_u32_e32 vcc_lo, 0, v25
	v_cndmask_b32_e32 v5, v35, v5, vcc_lo
	v_mul_f64 v[7:8], v[13:14], v[7:8]
	v_lshlrev_b32_e32 v13, 30, v22
	v_xor_b32_e32 v10, 0x80000000, v10
	v_cndmask_b32_e64 v11, v9, v11, s2
	s_delay_alu instid0(VALU_DEP_3) | instskip(NEXT) | instid1(VALU_DEP_3)
	v_and_b32_e32 v2, 0x80000000, v13
	v_cndmask_b32_e64 v9, v10, v12, s2
	s_delay_alu instid0(VALU_DEP_3) | instskip(SKIP_1) | instid1(VALU_DEP_3)
	v_cndmask_b32_e64 v11, 0, v11, s1
	v_div_fixup_f64 v[13:14], v[17:18], v[19:20], v[23:24]
	v_xor_b32_e32 v12, v9, v2
	v_fma_f64 v[9:10], -v[15:16], v[15:16], v[66:67]
	v_cndmask_b32_e64 v2, 0, v5, s1
	v_lshlrev_b32_e32 v5, 30, v21
	s_delay_alu instid0(VALU_DEP_4) | instskip(NEXT) | instid1(VALU_DEP_2)
	v_cndmask_b32_e64 v12, 0x7ff80000, v12, s1
	v_xor_b32_e32 v3, v5, v3
	v_cndmask_b32_e32 v5, v36, v6, vcc_lo
	v_cmp_class_f64_e64 vcc_lo, v[66:67], 0x260
	s_delay_alu instid0(VALU_DEP_3) | instskip(NEXT) | instid1(VALU_DEP_1)
	v_and_b32_e32 v3, 0x80000000, v3
	v_xor_b32_e32 v3, v5, v3
	s_delay_alu instid0(VALU_DEP_1) | instskip(SKIP_2) | instid1(VALU_DEP_2)
	v_cndmask_b32_e64 v3, 0x7ff80000, v3, s1
	v_mul_f64 v[7:8], v[7:8], v[11:12]
	v_fma_f64 v[5:6], v[9:10], v[31:32], v[15:16]
	v_fma_f64 v[2:3], v[13:14], v[2:3], v[7:8]
	v_cndmask_b32_e64 v7, 0, 0xffffff80, s0
	s_mov_b32 s0, 0x33d43651
	s_mov_b32 s1, 0x3fe98845
	s_delay_alu instid0(VALU_DEP_1) | instskip(NEXT) | instid1(VALU_DEP_3)
	v_ldexp_f64 v[5:6], v[5:6], v7
	v_mul_f64 v[2:3], v[2:3], s[0:1]
	s_delay_alu instid0(VALU_DEP_2) | instskip(NEXT) | instid1(VALU_DEP_1)
	v_dual_cndmask_b32 v6, v6, v67 :: v_dual_cndmask_b32 v5, v5, v66
	v_div_scale_f64 v[7:8], null, v[5:6], v[5:6], v[2:3]
	s_delay_alu instid0(VALU_DEP_1) | instskip(SKIP_2) | instid1(VALU_DEP_1)
	v_rcp_f64_e32 v[9:10], v[7:8]
	s_waitcnt_depctr 0xfff
	v_fma_f64 v[11:12], -v[7:8], v[9:10], 1.0
	v_fma_f64 v[9:10], v[9:10], v[11:12], v[9:10]
	s_delay_alu instid0(VALU_DEP_1) | instskip(NEXT) | instid1(VALU_DEP_1)
	v_fma_f64 v[11:12], -v[7:8], v[9:10], 1.0
	v_fma_f64 v[9:10], v[9:10], v[11:12], v[9:10]
	v_div_scale_f64 v[11:12], vcc_lo, v[2:3], v[5:6], v[2:3]
	s_delay_alu instid0(VALU_DEP_1) | instskip(NEXT) | instid1(VALU_DEP_1)
	v_mul_f64 v[13:14], v[11:12], v[9:10]
	v_fma_f64 v[7:8], -v[7:8], v[13:14], v[11:12]
	s_delay_alu instid0(VALU_DEP_1) | instskip(NEXT) | instid1(VALU_DEP_1)
	v_div_fmas_f64 v[7:8], v[7:8], v[9:10], v[13:14]
	v_div_fixup_f64 v[74:75], v[7:8], v[5:6], v[2:3]
.LBB1_43:
	s_or_b32 exec_lo, exec_lo, s3
.LBB1_44:
	s_delay_alu instid0(SALU_CYCLE_1) | instskip(SKIP_2) | instid1(VALU_DEP_1)
	s_or_b32 exec_lo, exec_lo, s37
	v_add_nc_u32_e32 v2, 0x200, v47
	s_mov_b32 s37, exec_lo
	v_cmpx_lt_i32_e64 v2, v4
	s_cbranch_execz .LBB1_62
; %bb.45:
	s_mov_b32 s0, exec_lo
	s_waitcnt vmcnt(0) lgkmcnt(0)
	v_cmpx_ge_f64_e32 0x40140000, v[43:44]
	s_xor_b32 s38, exec_lo, s0
	s_cbranch_execz .LBB1_51
; %bb.46:
	v_mov_b32_e32 v76, 0
	v_mov_b32_e32 v77, 0xfff00000
	s_mov_b32 s39, exec_lo
	v_cmpx_neq_f64_e32 0, v[43:44]
	s_cbranch_execz .LBB1_50
; %bb.47:
	v_mov_b32_e32 v76, 0
	v_mov_b32_e32 v77, 0x7ff80000
	s_mov_b32 s40, exec_lo
	v_cmpx_nge_f64_e32 0, v[43:44]
	s_cbranch_execz .LBB1_49
; %bb.48:
	v_mul_f64 v[2:3], v[43:44], v[43:44]
	s_mov_b32 s0, 0xa93f7ac2
	s_mov_b32 s1, 0x40829269
	;; [unrolled: 1-line block ×4, first 2 shown]
	v_dual_mov_b32 v46, v0 :: v_dual_mov_b32 v45, v1
	v_dual_mov_b32 v0, v43 :: v_dual_mov_b32 v1, v44
	v_mov_b32_e32 v56, v4
	s_delay_alu instid0(VALU_DEP_4)
	v_fma_f64 v[5:6], v[2:3], 0, s[0:1]
	s_mov_b32 s0, 0xbe58ef7f
	s_mov_b32 s1, 0x410cc160
	s_delay_alu instid0(VALU_DEP_1) | instid1(SALU_CYCLE_1)
	v_fma_f64 v[5:6], v[2:3], v[5:6], s[0:1]
	s_mov_b32 s0, 0x62f9b6c5
	s_mov_b32 s1, 0x41d2d2be
	s_delay_alu instid0(SALU_CYCLE_1) | instskip(SKIP_2) | instid1(VALU_DEP_2)
	v_fma_f64 v[7:8], v[2:3], 0, s[0:1]
	s_mov_b32 s0, 0x58836521
	s_mov_b32 s1, 0xc262d72d
	v_fma_f64 v[5:6], v[2:3], v[5:6], s[2:3]
	s_mov_b32 s2, 0x906b7b83
	s_mov_b32 s3, 0x421178c3
	s_delay_alu instid0(VALU_DEP_2) | instskip(SKIP_2) | instid1(VALU_DEP_2)
	v_fma_f64 v[7:8], v[2:3], v[7:8], s[0:1]
	s_mov_b32 s0, 0xb0910fef
	s_mov_b32 s1, 0x42da0954
	v_fma_f64 v[5:6], v[2:3], v[5:6], s[2:3]
	s_mov_b32 s2, 0xfda99316
	s_mov_b32 s3, 0x428c3f5e
	s_delay_alu instid0(VALU_DEP_2) | instskip(SKIP_2) | instid1(VALU_DEP_2)
	;; [unrolled: 7-line block ×4, first 2 shown]
	v_fma_f64 v[7:8], v[2:3], v[7:8], s[0:1]
	s_mov_b32 s0, 0x5dde2b17
	s_mov_b32 s1, 0xc3a59e41
	v_fma_f64 v[5:6], v[2:3], v[5:6], s[2:3]
	s_mov_b32 s2, 0x90f6747f
	s_mov_b32 s3, 0x43cb90f1
	s_delay_alu instid0(VALU_DEP_2) | instskip(SKIP_3) | instid1(VALU_DEP_2)
	v_fma_f64 v[7:8], v[2:3], v[7:8], s[0:1]
	s_getpc_b64 s[0:1]
	s_add_u32 s0, s0, _Z17bessel_j1_forwardIdET_S0_@rel32@lo+4
	s_addc_u32 s1, s1, _Z17bessel_j1_forwardIdET_S0_@rel32@hi+12
	v_fma_f64 v[2:3], v[2:3], v[5:6], s[2:3]
	s_delay_alu instid0(VALU_DEP_1) | instskip(NEXT) | instid1(VALU_DEP_1)
	v_div_scale_f64 v[5:6], null, v[2:3], v[2:3], v[7:8]
	v_rcp_f64_e32 v[9:10], v[5:6]
	s_waitcnt_depctr 0xfff
	v_fma_f64 v[11:12], -v[5:6], v[9:10], 1.0
	s_delay_alu instid0(VALU_DEP_1) | instskip(NEXT) | instid1(VALU_DEP_1)
	v_fma_f64 v[9:10], v[9:10], v[11:12], v[9:10]
	v_fma_f64 v[11:12], -v[5:6], v[9:10], 1.0
	s_delay_alu instid0(VALU_DEP_1) | instskip(SKIP_1) | instid1(VALU_DEP_1)
	v_fma_f64 v[9:10], v[9:10], v[11:12], v[9:10]
	v_div_scale_f64 v[11:12], vcc_lo, v[7:8], v[2:3], v[7:8]
	v_mul_f64 v[13:14], v[11:12], v[9:10]
	s_delay_alu instid0(VALU_DEP_1) | instskip(NEXT) | instid1(VALU_DEP_1)
	v_fma_f64 v[5:6], -v[5:6], v[13:14], v[11:12]
	v_div_fmas_f64 v[5:6], v[5:6], v[9:10], v[13:14]
	s_delay_alu instid0(VALU_DEP_1)
	v_div_fixup_f64 v[61:62], v[5:6], v[2:3], v[7:8]
	s_swappc_b64 s[30:31], s[0:1]
	v_frexp_mant_f64_e32 v[5:6], v[43:44]
	s_mov_b32 s1, 0x3fe55555
	s_mov_b32 s0, 0x55555555
	v_mov_b32_e32 v2, v0
	v_dual_mov_b32 v0, v46 :: v_dual_mov_b32 v7, 0
	s_mov_b32 s2, 0x6b47b09a
	s_mov_b32 s4, 0xbf559e2b
	;; [unrolled: 1-line block ×4, first 2 shown]
	v_div_scale_f64 v[21:22], null, v[43:44], v[43:44], -1.0
	v_dual_mov_b32 v4, v56 :: v_dual_mov_b32 v3, v1
	v_mov_b32_e32 v1, v45
	v_cmp_gt_f64_e32 vcc_lo, s[0:1], v[5:6]
	s_mov_b32 s0, 0x55555780
	s_delay_alu instid0(VALU_DEP_4) | instskip(SKIP_1) | instid1(VALU_DEP_1)
	v_rcp_f64_e32 v[25:26], v[21:22]
	v_cndmask_b32_e64 v8, 0x3ff00000, 2.0, vcc_lo
	v_mul_f64 v[5:6], v[5:6], v[7:8]
	s_delay_alu instid0(VALU_DEP_1) | instskip(SKIP_1) | instid1(VALU_DEP_2)
	v_add_f64 v[7:8], v[5:6], 1.0
	v_add_f64 v[13:14], v[5:6], -1.0
	v_rcp_f64_e32 v[9:10], v[7:8]
	v_add_f64 v[15:16], v[7:8], -1.0
	s_delay_alu instid0(VALU_DEP_1) | instskip(SKIP_2) | instid1(VALU_DEP_1)
	v_add_f64 v[5:6], v[5:6], -v[15:16]
	s_waitcnt_depctr 0xfff
	v_fma_f64 v[11:12], -v[7:8], v[9:10], 1.0
	v_fma_f64 v[9:10], v[11:12], v[9:10], v[9:10]
	s_delay_alu instid0(VALU_DEP_1) | instskip(NEXT) | instid1(VALU_DEP_1)
	v_fma_f64 v[11:12], -v[7:8], v[9:10], 1.0
	v_fma_f64 v[9:10], v[11:12], v[9:10], v[9:10]
	s_delay_alu instid0(VALU_DEP_1) | instskip(NEXT) | instid1(VALU_DEP_1)
	v_mul_f64 v[11:12], v[13:14], v[9:10]
	v_mul_f64 v[17:18], v[7:8], v[11:12]
	s_delay_alu instid0(VALU_DEP_1) | instskip(NEXT) | instid1(VALU_DEP_1)
	v_fma_f64 v[7:8], v[11:12], v[7:8], -v[17:18]
	v_fma_f64 v[5:6], v[11:12], v[5:6], v[7:8]
	s_delay_alu instid0(VALU_DEP_1) | instskip(NEXT) | instid1(VALU_DEP_1)
	v_add_f64 v[7:8], v[17:18], v[5:6]
	v_add_f64 v[15:16], v[13:14], -v[7:8]
	v_add_f64 v[17:18], v[7:8], -v[17:18]
	s_delay_alu instid0(VALU_DEP_2) | instskip(NEXT) | instid1(VALU_DEP_2)
	v_add_f64 v[13:14], v[13:14], -v[15:16]
	v_add_f64 v[5:6], v[17:18], -v[5:6]
	v_frexp_exp_i32_f64_e32 v17, v[43:44]
	s_delay_alu instid0(VALU_DEP_3) | instskip(NEXT) | instid1(VALU_DEP_1)
	v_add_f64 v[7:8], v[13:14], -v[7:8]
	v_add_f64 v[5:6], v[5:6], v[7:8]
	s_delay_alu instid0(VALU_DEP_1) | instskip(NEXT) | instid1(VALU_DEP_1)
	v_add_f64 v[5:6], v[15:16], v[5:6]
	v_mul_f64 v[5:6], v[9:10], v[5:6]
	s_delay_alu instid0(VALU_DEP_1) | instskip(NEXT) | instid1(VALU_DEP_1)
	v_add_f64 v[7:8], v[11:12], v[5:6]
	v_mul_f64 v[9:10], v[7:8], v[7:8]
	s_delay_alu instid0(VALU_DEP_1) | instskip(SKIP_3) | instid1(VALU_DEP_2)
	v_fma_f64 v[13:14], v[9:10], s[4:5], s[2:3]
	s_mov_b32 s2, 0xd7f4df2e
	s_mov_b32 s3, 0x3fc7474d
	v_mul_f64 v[15:16], v[7:8], v[9:10]
	v_fma_f64 v[13:14], v[9:10], v[13:14], s[2:3]
	s_mov_b32 s2, 0x16291751
	s_mov_b32 s3, 0x3fcc71c0
	s_delay_alu instid0(VALU_DEP_1) | instid1(SALU_CYCLE_1)
	v_fma_f64 v[13:14], v[9:10], v[13:14], s[2:3]
	s_mov_b32 s2, 0x9b27acf1
	s_mov_b32 s3, 0x3fd24924
	s_delay_alu instid0(VALU_DEP_1) | instid1(SALU_CYCLE_1)
	;; [unrolled: 4-line block ×3, first 2 shown]
	v_fma_f64 v[13:14], v[9:10], v[13:14], s[2:3]
	s_delay_alu instid0(VALU_DEP_1) | instskip(SKIP_4) | instid1(VALU_DEP_3)
	v_fma_f64 v[9:10], v[9:10], v[13:14], s[0:1]
	v_ldexp_f64 v[13:14], v[7:8], 1
	v_add_f64 v[7:8], v[7:8], -v[11:12]
	s_mov_b32 s0, 0xfefa39ef
	s_mov_b32 s1, 0x3fe62e42
	v_mul_f64 v[9:10], v[15:16], v[9:10]
	v_subrev_co_ci_u32_e32 v15, vcc_lo, 0, v17, vcc_lo
	s_delay_alu instid0(VALU_DEP_3) | instskip(NEXT) | instid1(VALU_DEP_2)
	v_add_f64 v[5:6], v[5:6], -v[7:8]
	v_cvt_f64_i32_e32 v[15:16], v15
	s_delay_alu instid0(VALU_DEP_4) | instskip(NEXT) | instid1(VALU_DEP_3)
	v_add_f64 v[11:12], v[13:14], v[9:10]
	v_ldexp_f64 v[5:6], v[5:6], 1
	s_delay_alu instid0(VALU_DEP_3) | instskip(NEXT) | instid1(VALU_DEP_3)
	v_mul_f64 v[17:18], v[15:16], s[0:1]
	v_add_f64 v[7:8], v[11:12], -v[13:14]
	s_delay_alu instid0(VALU_DEP_2) | instskip(SKIP_2) | instid1(VALU_DEP_2)
	v_fma_f64 v[13:14], v[15:16], s[0:1], -v[17:18]
	s_mov_b32 s0, 0x3b39803f
	s_mov_b32 s1, 0x3c7abc9e
	v_add_f64 v[7:8], v[9:10], -v[7:8]
	s_delay_alu instid0(VALU_DEP_2) | instskip(SKIP_2) | instid1(VALU_DEP_2)
	v_fma_f64 v[9:10], v[15:16], s[0:1], v[13:14]
	s_mov_b32 s0, 0x6dc9c883
	s_mov_b32 s1, 0x3fe45f30
	v_add_f64 v[5:6], v[5:6], v[7:8]
	s_delay_alu instid0(VALU_DEP_2) | instskip(NEXT) | instid1(VALU_DEP_2)
	v_add_f64 v[7:8], v[17:18], v[9:10]
	v_add_f64 v[13:14], v[11:12], v[5:6]
	s_delay_alu instid0(VALU_DEP_2) | instskip(NEXT) | instid1(VALU_DEP_2)
	v_add_f64 v[17:18], v[7:8], -v[17:18]
	v_add_f64 v[15:16], v[7:8], v[13:14]
	v_add_f64 v[11:12], v[13:14], -v[11:12]
	s_delay_alu instid0(VALU_DEP_3) | instskip(NEXT) | instid1(VALU_DEP_3)
	v_add_f64 v[9:10], v[9:10], -v[17:18]
	v_add_f64 v[19:20], v[15:16], -v[7:8]
	s_delay_alu instid0(VALU_DEP_3) | instskip(NEXT) | instid1(VALU_DEP_2)
	v_add_f64 v[5:6], v[5:6], -v[11:12]
	v_add_f64 v[23:24], v[15:16], -v[19:20]
	;; [unrolled: 1-line block ×3, first 2 shown]
	v_fma_f64 v[13:14], -v[21:22], v[25:26], 1.0
	s_delay_alu instid0(VALU_DEP_4) | instskip(NEXT) | instid1(VALU_DEP_4)
	v_add_f64 v[17:18], v[9:10], v[5:6]
	v_add_f64 v[7:8], v[7:8], -v[23:24]
	s_delay_alu instid0(VALU_DEP_1) | instskip(NEXT) | instid1(VALU_DEP_4)
	v_add_f64 v[7:8], v[11:12], v[7:8]
	v_fma_f64 v[11:12], v[25:26], v[13:14], v[25:26]
	s_delay_alu instid0(VALU_DEP_4) | instskip(SKIP_1) | instid1(VALU_DEP_4)
	v_add_f64 v[13:14], v[17:18], -v[9:10]
	v_div_scale_f64 v[25:26], vcc_lo, -1.0, v[43:44], -1.0
	v_add_f64 v[7:8], v[17:18], v[7:8]
	s_delay_alu instid0(VALU_DEP_4) | instskip(NEXT) | instid1(VALU_DEP_4)
	v_fma_f64 v[19:20], -v[21:22], v[11:12], 1.0
	v_add_f64 v[17:18], v[17:18], -v[13:14]
	v_add_f64 v[5:6], v[5:6], -v[13:14]
	s_delay_alu instid0(VALU_DEP_4) | instskip(NEXT) | instid1(VALU_DEP_4)
	v_add_f64 v[23:24], v[15:16], v[7:8]
	v_fma_f64 v[11:12], v[11:12], v[19:20], v[11:12]
	s_delay_alu instid0(VALU_DEP_4) | instskip(NEXT) | instid1(VALU_DEP_3)
	v_add_f64 v[9:10], v[9:10], -v[17:18]
	v_add_f64 v[13:14], v[23:24], -v[15:16]
	s_delay_alu instid0(VALU_DEP_3) | instskip(NEXT) | instid1(VALU_DEP_3)
	v_mul_f64 v[15:16], v[25:26], v[11:12]
	v_add_f64 v[5:6], v[5:6], v[9:10]
	s_delay_alu instid0(VALU_DEP_3) | instskip(NEXT) | instid1(VALU_DEP_3)
	v_add_f64 v[7:8], v[7:8], -v[13:14]
	v_fma_f64 v[9:10], -v[21:22], v[15:16], v[25:26]
	s_delay_alu instid0(VALU_DEP_2) | instskip(NEXT) | instid1(VALU_DEP_2)
	v_add_f64 v[5:6], v[5:6], v[7:8]
	v_div_fmas_f64 v[7:8], v[9:10], v[11:12], v[15:16]
	s_delay_alu instid0(VALU_DEP_2) | instskip(NEXT) | instid1(VALU_DEP_2)
	v_add_f64 v[5:6], v[23:24], v[5:6]
	v_div_fixup_f64 v[7:8], v[7:8], v[43:44], -1.0
	s_delay_alu instid0(VALU_DEP_1) | instskip(NEXT) | instid1(VALU_DEP_1)
	v_fma_f64 v[2:3], v[5:6], v[2:3], v[7:8]
	v_mul_f64 v[2:3], v[2:3], s[0:1]
	s_delay_alu instid0(VALU_DEP_1)
	v_fma_f64 v[76:77], v[43:44], v[61:62], v[2:3]
.LBB1_49:
	s_or_b32 exec_lo, exec_lo, s40
.LBB1_50:
	s_delay_alu instid0(SALU_CYCLE_1)
	s_or_b32 exec_lo, exec_lo, s39
                                        ; implicit-def: $vgpr43_vgpr44
.LBB1_51:
	s_and_not1_saveexec_b32 s3, s38
	s_cbranch_execz .LBB1_61
; %bb.52:
	s_mov_b32 s0, 0x7f3321d2
	s_mov_b32 s1, 0xc002d97c
                                        ; implicit-def: $vgpr21
                                        ; implicit-def: $vgpr5_vgpr6
                                        ; implicit-def: $vgpr7_vgpr8
	s_delay_alu instid0(SALU_CYCLE_1) | instskip(NEXT) | instid1(VALU_DEP_1)
	v_add_f64 v[2:3], v[43:44], s[0:1]
	v_cmp_ngt_f64_e64 s1, 0x41d00000, |v[2:3]|
	v_trig_preop_f64 v[17:18], |v[2:3]|, 0
	v_trig_preop_f64 v[15:16], |v[2:3]|, 1
	v_ldexp_f64 v[19:20], |v[2:3]|, 0xffffff80
	v_trig_preop_f64 v[13:14], |v[2:3]|, 2
	v_and_b32_e32 v23, 0x7fffffff, v3
	s_and_saveexec_b32 s0, s1
	s_delay_alu instid0(SALU_CYCLE_1)
	s_xor_b32 s2, exec_lo, s0
	s_cbranch_execz .LBB1_54
; %bb.53:
	v_cmp_le_f64_e64 vcc_lo, 0x7b000000, |v[2:3]|
	v_mov_b32_e32 v34, 0
	s_mov_b32 s4, 0x54442d18
	s_mov_b32 s5, 0x3ff921fb
	;; [unrolled: 1-line block ×4, first 2 shown]
	v_dual_cndmask_b32 v6, v23, v20 :: v_dual_cndmask_b32 v5, v2, v19
	s_delay_alu instid0(VALU_DEP_1) | instskip(SKIP_2) | instid1(VALU_DEP_3)
	v_mul_f64 v[7:8], v[17:18], v[5:6]
	v_mul_f64 v[9:10], v[15:16], v[5:6]
	;; [unrolled: 1-line block ×3, first 2 shown]
	v_fma_f64 v[11:12], v[17:18], v[5:6], -v[7:8]
	s_delay_alu instid0(VALU_DEP_3) | instskip(NEXT) | instid1(VALU_DEP_3)
	v_fma_f64 v[32:33], v[15:16], v[5:6], -v[9:10]
	v_fma_f64 v[5:6], v[13:14], v[5:6], -v[30:31]
	s_delay_alu instid0(VALU_DEP_3) | instskip(NEXT) | instid1(VALU_DEP_1)
	v_add_f64 v[21:22], v[9:10], v[11:12]
	v_add_f64 v[24:25], v[21:22], -v[9:10]
	v_add_f64 v[28:29], v[7:8], v[21:22]
	s_delay_alu instid0(VALU_DEP_2) | instskip(SKIP_1) | instid1(VALU_DEP_3)
	v_add_f64 v[26:27], v[21:22], -v[24:25]
	v_add_f64 v[11:12], v[11:12], -v[24:25]
	v_ldexp_f64 v[24:25], v[28:29], -2
	v_add_f64 v[7:8], v[28:29], -v[7:8]
	s_delay_alu instid0(VALU_DEP_4) | instskip(SKIP_1) | instid1(VALU_DEP_4)
	v_add_f64 v[9:10], v[9:10], -v[26:27]
	v_add_f64 v[26:27], v[30:31], v[32:33]
	v_cmp_neq_f64_e64 vcc_lo, 0x7ff00000, |v[24:25]|
	s_delay_alu instid0(VALU_DEP_4) | instskip(NEXT) | instid1(VALU_DEP_4)
	v_add_f64 v[7:8], v[21:22], -v[7:8]
	v_add_f64 v[9:10], v[11:12], v[9:10]
	v_fract_f64_e32 v[11:12], v[24:25]
	s_delay_alu instid0(VALU_DEP_2) | instskip(NEXT) | instid1(VALU_DEP_2)
	v_add_f64 v[21:22], v[26:27], v[9:10]
	v_dual_cndmask_b32 v12, 0, v12 :: v_dual_cndmask_b32 v11, 0, v11
	s_delay_alu instid0(VALU_DEP_1) | instskip(NEXT) | instid1(VALU_DEP_3)
	v_ldexp_f64 v[11:12], v[11:12], 2
	v_add_f64 v[24:25], v[7:8], v[21:22]
	s_delay_alu instid0(VALU_DEP_1) | instskip(SKIP_1) | instid1(VALU_DEP_2)
	v_add_f64 v[28:29], v[24:25], v[11:12]
	v_add_f64 v[7:8], v[24:25], -v[7:8]
	v_cmp_gt_f64_e32 vcc_lo, 0, v[28:29]
	v_add_f64 v[28:29], v[26:27], -v[30:31]
	s_delay_alu instid0(VALU_DEP_3) | instskip(SKIP_1) | instid1(VALU_DEP_3)
	v_add_f64 v[7:8], v[21:22], -v[7:8]
	v_cndmask_b32_e64 v35, 0, 0x40100000, vcc_lo
	v_add_f64 v[48:49], v[26:27], -v[28:29]
	v_add_f64 v[28:29], v[32:33], -v[28:29]
	s_delay_alu instid0(VALU_DEP_3) | instskip(SKIP_1) | instid1(VALU_DEP_4)
	v_add_f64 v[11:12], v[11:12], v[34:35]
	v_add_f64 v[35:36], v[21:22], -v[26:27]
	v_add_f64 v[32:33], v[30:31], -v[48:49]
	s_delay_alu instid0(VALU_DEP_3) | instskip(NEXT) | instid1(VALU_DEP_3)
	v_add_f64 v[37:38], v[24:25], v[11:12]
	v_add_f64 v[50:51], v[21:22], -v[35:36]
	v_add_f64 v[9:10], v[9:10], -v[35:36]
	s_delay_alu instid0(VALU_DEP_4) | instskip(NEXT) | instid1(VALU_DEP_4)
	v_add_f64 v[28:29], v[28:29], v[32:33]
	v_cvt_i32_f64_e32 v37, v[37:38]
	s_delay_alu instid0(VALU_DEP_4) | instskip(NEXT) | instid1(VALU_DEP_2)
	v_add_f64 v[26:27], v[26:27], -v[50:51]
	v_cvt_f64_i32_e32 v[35:36], v37
	s_delay_alu instid0(VALU_DEP_2) | instskip(NEXT) | instid1(VALU_DEP_2)
	v_add_f64 v[9:10], v[9:10], v[26:27]
	v_add_f64 v[11:12], v[11:12], -v[35:36]
	s_delay_alu instid0(VALU_DEP_2) | instskip(NEXT) | instid1(VALU_DEP_2)
	v_add_f64 v[9:10], v[28:29], v[9:10]
	v_add_f64 v[26:27], v[24:25], v[11:12]
	s_delay_alu instid0(VALU_DEP_2) | instskip(NEXT) | instid1(VALU_DEP_2)
	v_add_f64 v[5:6], v[5:6], v[9:10]
	v_add_f64 v[9:10], v[26:27], -v[11:12]
	v_cmp_le_f64_e32 vcc_lo, 0.5, v[26:27]
	s_delay_alu instid0(VALU_DEP_3) | instskip(NEXT) | instid1(VALU_DEP_3)
	v_add_f64 v[5:6], v[7:8], v[5:6]
	v_add_f64 v[7:8], v[24:25], -v[9:10]
	v_cndmask_b32_e64 v35, 0, 0x3ff00000, vcc_lo
	v_add_co_ci_u32_e64 v21, s0, 0, v37, vcc_lo
	s_delay_alu instid0(VALU_DEP_3) | instskip(NEXT) | instid1(VALU_DEP_3)
	v_add_f64 v[5:6], v[5:6], v[7:8]
	v_add_f64 v[7:8], v[26:27], -v[34:35]
	s_delay_alu instid0(VALU_DEP_1) | instskip(NEXT) | instid1(VALU_DEP_1)
	v_add_f64 v[9:10], v[7:8], v[5:6]
	v_mul_f64 v[11:12], v[9:10], s[4:5]
	v_add_f64 v[7:8], v[9:10], -v[7:8]
	s_delay_alu instid0(VALU_DEP_2) | instskip(NEXT) | instid1(VALU_DEP_2)
	v_fma_f64 v[24:25], v[9:10], s[4:5], -v[11:12]
	v_add_f64 v[5:6], v[5:6], -v[7:8]
	s_delay_alu instid0(VALU_DEP_2) | instskip(NEXT) | instid1(VALU_DEP_1)
	v_fma_f64 v[7:8], v[9:10], s[6:7], v[24:25]
	v_fma_f64 v[7:8], v[5:6], s[4:5], v[7:8]
	s_delay_alu instid0(VALU_DEP_1) | instskip(NEXT) | instid1(VALU_DEP_1)
	v_add_f64 v[5:6], v[11:12], v[7:8]
	v_add_f64 v[9:10], v[5:6], -v[11:12]
	s_delay_alu instid0(VALU_DEP_1)
	v_add_f64 v[7:8], v[7:8], -v[9:10]
	s_and_not1_saveexec_b32 s0, s2
	s_cbranch_execz .LBB1_56
	s_branch .LBB1_55
.LBB1_54:
	s_and_not1_saveexec_b32 s0, s2
	s_cbranch_execz .LBB1_56
.LBB1_55:
	s_mov_b32 s4, 0x6dc9c883
	s_mov_b32 s5, 0x3fe45f30
	;; [unrolled: 1-line block ×3, first 2 shown]
	v_mul_f64 v[5:6], |v[2:3]|, s[4:5]
	s_mov_b32 s4, 0x54442d18
	s_mov_b32 s5, 0xbff921fb
	;; [unrolled: 1-line block ×3, first 2 shown]
	s_delay_alu instid0(VALU_DEP_1) | instskip(NEXT) | instid1(VALU_DEP_1)
	v_rndne_f64_e32 v[9:10], v[5:6]
	v_fma_f64 v[5:6], v[9:10], s[4:5], |v[2:3]|
	v_mul_f64 v[7:8], v[9:10], s[6:7]
	s_mov_b32 s4, 0x252049c0
	s_mov_b32 s5, 0xb97b839a
	s_delay_alu instid0(VALU_DEP_2) | instskip(NEXT) | instid1(VALU_DEP_2)
	v_fma_f64 v[21:22], v[9:10], s[6:7], v[5:6]
	v_add_f64 v[11:12], v[5:6], v[7:8]
	s_mov_b32 s7, 0x3c91a626
	s_delay_alu instid0(VALU_DEP_1) | instskip(NEXT) | instid1(VALU_DEP_3)
	v_add_f64 v[5:6], v[5:6], -v[11:12]
	v_add_f64 v[11:12], v[11:12], -v[21:22]
	s_delay_alu instid0(VALU_DEP_2) | instskip(SKIP_1) | instid1(VALU_DEP_2)
	v_add_f64 v[5:6], v[5:6], v[7:8]
	v_fma_f64 v[7:8], v[9:10], s[6:7], v[7:8]
	v_add_f64 v[5:6], v[11:12], v[5:6]
	s_delay_alu instid0(VALU_DEP_1) | instskip(NEXT) | instid1(VALU_DEP_1)
	v_add_f64 v[5:6], v[5:6], -v[7:8]
	v_fma_f64 v[7:8], v[9:10], s[4:5], v[5:6]
	s_delay_alu instid0(VALU_DEP_1) | instskip(NEXT) | instid1(VALU_DEP_1)
	v_add_f64 v[5:6], v[21:22], v[7:8]
	v_add_f64 v[11:12], v[5:6], -v[21:22]
	v_cvt_i32_f64_e32 v21, v[9:10]
	s_delay_alu instid0(VALU_DEP_2)
	v_add_f64 v[7:8], v[7:8], -v[11:12]
.LBB1_56:
	s_or_b32 exec_lo, exec_lo, s0
                                        ; implicit-def: $vgpr22
                                        ; implicit-def: $vgpr9_vgpr10
                                        ; implicit-def: $vgpr11_vgpr12
	s_and_saveexec_b32 s0, s1
	s_delay_alu instid0(SALU_CYCLE_1)
	s_xor_b32 s1, exec_lo, s0
	s_cbranch_execz .LBB1_58
; %bb.57:
	v_cmp_le_f64_e64 vcc_lo, 0x7b000000, |v[2:3]|
	v_mov_b32_e32 v32, 0
	s_mov_b32 s4, 0x54442d18
	s_mov_b32 s5, 0x3ff921fb
	;; [unrolled: 1-line block ×4, first 2 shown]
	v_dual_cndmask_b32 v10, v23, v20 :: v_dual_cndmask_b32 v9, v2, v19
	s_delay_alu instid0(VALU_DEP_1) | instskip(SKIP_2) | instid1(VALU_DEP_3)
	v_mul_f64 v[11:12], v[17:18], v[9:10]
	v_mul_f64 v[19:20], v[15:16], v[9:10]
	;; [unrolled: 1-line block ×3, first 2 shown]
	v_fma_f64 v[17:18], v[17:18], v[9:10], -v[11:12]
	s_delay_alu instid0(VALU_DEP_3) | instskip(NEXT) | instid1(VALU_DEP_3)
	v_fma_f64 v[15:16], v[15:16], v[9:10], -v[19:20]
	v_fma_f64 v[9:10], v[13:14], v[9:10], -v[30:31]
	s_delay_alu instid0(VALU_DEP_3) | instskip(NEXT) | instid1(VALU_DEP_1)
	v_add_f64 v[22:23], v[19:20], v[17:18]
	v_add_f64 v[24:25], v[22:23], -v[19:20]
	v_add_f64 v[28:29], v[11:12], v[22:23]
	s_delay_alu instid0(VALU_DEP_2) | instskip(SKIP_1) | instid1(VALU_DEP_3)
	v_add_f64 v[26:27], v[22:23], -v[24:25]
	v_add_f64 v[17:18], v[17:18], -v[24:25]
	v_ldexp_f64 v[24:25], v[28:29], -2
	v_add_f64 v[11:12], v[28:29], -v[11:12]
	s_delay_alu instid0(VALU_DEP_4) | instskip(SKIP_1) | instid1(VALU_DEP_4)
	v_add_f64 v[19:20], v[19:20], -v[26:27]
	v_add_f64 v[26:27], v[30:31], v[15:16]
	v_cmp_neq_f64_e64 vcc_lo, 0x7ff00000, |v[24:25]|
	s_delay_alu instid0(VALU_DEP_4) | instskip(NEXT) | instid1(VALU_DEP_4)
	v_add_f64 v[11:12], v[22:23], -v[11:12]
	v_add_f64 v[17:18], v[17:18], v[19:20]
	v_fract_f64_e32 v[19:20], v[24:25]
	s_delay_alu instid0(VALU_DEP_2) | instskip(NEXT) | instid1(VALU_DEP_2)
	v_add_f64 v[22:23], v[26:27], v[17:18]
	v_dual_cndmask_b32 v20, 0, v20 :: v_dual_cndmask_b32 v19, 0, v19
	s_delay_alu instid0(VALU_DEP_1) | instskip(NEXT) | instid1(VALU_DEP_3)
	v_ldexp_f64 v[19:20], v[19:20], 2
	v_add_f64 v[24:25], v[11:12], v[22:23]
	s_delay_alu instid0(VALU_DEP_1) | instskip(SKIP_1) | instid1(VALU_DEP_2)
	v_add_f64 v[28:29], v[24:25], v[19:20]
	v_add_f64 v[11:12], v[24:25], -v[11:12]
	v_cmp_gt_f64_e32 vcc_lo, 0, v[28:29]
	v_add_f64 v[28:29], v[26:27], -v[30:31]
	s_delay_alu instid0(VALU_DEP_3) | instskip(SKIP_1) | instid1(VALU_DEP_3)
	v_add_f64 v[11:12], v[22:23], -v[11:12]
	v_cndmask_b32_e64 v33, 0, 0x40100000, vcc_lo
	v_add_f64 v[37:38], v[26:27], -v[28:29]
	v_add_f64 v[15:16], v[15:16], -v[28:29]
	s_delay_alu instid0(VALU_DEP_3) | instskip(SKIP_1) | instid1(VALU_DEP_4)
	v_add_f64 v[19:20], v[19:20], v[32:33]
	v_add_f64 v[33:34], v[22:23], -v[26:27]
	v_add_f64 v[28:29], v[30:31], -v[37:38]
	s_delay_alu instid0(VALU_DEP_3) | instskip(NEXT) | instid1(VALU_DEP_3)
	v_add_f64 v[35:36], v[24:25], v[19:20]
	v_add_f64 v[48:49], v[22:23], -v[33:34]
	v_add_f64 v[17:18], v[17:18], -v[33:34]
	s_delay_alu instid0(VALU_DEP_4) | instskip(NEXT) | instid1(VALU_DEP_4)
	v_add_f64 v[15:16], v[15:16], v[28:29]
	v_cvt_i32_f64_e32 v35, v[35:36]
	s_delay_alu instid0(VALU_DEP_4) | instskip(NEXT) | instid1(VALU_DEP_2)
	v_add_f64 v[26:27], v[26:27], -v[48:49]
	v_cvt_f64_i32_e32 v[33:34], v35
	s_delay_alu instid0(VALU_DEP_2) | instskip(NEXT) | instid1(VALU_DEP_2)
	v_add_f64 v[17:18], v[17:18], v[26:27]
	v_add_f64 v[19:20], v[19:20], -v[33:34]
	s_delay_alu instid0(VALU_DEP_2) | instskip(NEXT) | instid1(VALU_DEP_2)
	v_add_f64 v[13:14], v[15:16], v[17:18]
	v_add_f64 v[15:16], v[24:25], v[19:20]
	s_delay_alu instid0(VALU_DEP_2) | instskip(NEXT) | instid1(VALU_DEP_2)
	v_add_f64 v[9:10], v[9:10], v[13:14]
	v_add_f64 v[13:14], v[15:16], -v[19:20]
	v_cmp_le_f64_e32 vcc_lo, 0.5, v[15:16]
	s_delay_alu instid0(VALU_DEP_3) | instskip(NEXT) | instid1(VALU_DEP_3)
	v_add_f64 v[9:10], v[11:12], v[9:10]
	v_add_f64 v[11:12], v[24:25], -v[13:14]
	v_cndmask_b32_e64 v33, 0, 0x3ff00000, vcc_lo
	v_add_co_ci_u32_e64 v22, s0, 0, v35, vcc_lo
	s_delay_alu instid0(VALU_DEP_3) | instskip(NEXT) | instid1(VALU_DEP_3)
	v_add_f64 v[9:10], v[9:10], v[11:12]
	v_add_f64 v[11:12], v[15:16], -v[32:33]
	s_delay_alu instid0(VALU_DEP_1) | instskip(NEXT) | instid1(VALU_DEP_1)
	v_add_f64 v[13:14], v[11:12], v[9:10]
	v_mul_f64 v[15:16], v[13:14], s[4:5]
	v_add_f64 v[11:12], v[13:14], -v[11:12]
	s_delay_alu instid0(VALU_DEP_2) | instskip(NEXT) | instid1(VALU_DEP_2)
	v_fma_f64 v[17:18], v[13:14], s[4:5], -v[15:16]
	v_add_f64 v[9:10], v[9:10], -v[11:12]
	s_delay_alu instid0(VALU_DEP_2) | instskip(NEXT) | instid1(VALU_DEP_1)
	v_fma_f64 v[11:12], v[13:14], s[6:7], v[17:18]
	v_fma_f64 v[11:12], v[9:10], s[4:5], v[11:12]
	s_delay_alu instid0(VALU_DEP_1) | instskip(NEXT) | instid1(VALU_DEP_1)
	v_add_f64 v[9:10], v[15:16], v[11:12]
	v_add_f64 v[13:14], v[9:10], -v[15:16]
	s_delay_alu instid0(VALU_DEP_1)
	v_add_f64 v[11:12], v[11:12], -v[13:14]
	s_and_not1_saveexec_b32 s0, s1
	s_cbranch_execnz .LBB1_59
	s_branch .LBB1_60
.LBB1_58:
	s_and_not1_saveexec_b32 s0, s1
	s_cbranch_execz .LBB1_60
.LBB1_59:
	s_mov_b32 s4, 0x6dc9c883
	s_mov_b32 s5, 0x3fe45f30
	;; [unrolled: 1-line block ×3, first 2 shown]
	v_mul_f64 v[9:10], |v[2:3]|, s[4:5]
	s_mov_b32 s4, 0x54442d18
	s_mov_b32 s5, 0xbff921fb
	;; [unrolled: 1-line block ×3, first 2 shown]
	s_delay_alu instid0(VALU_DEP_1) | instskip(NEXT) | instid1(VALU_DEP_1)
	v_rndne_f64_e32 v[13:14], v[9:10]
	v_fma_f64 v[9:10], v[13:14], s[4:5], |v[2:3]|
	v_mul_f64 v[11:12], v[13:14], s[6:7]
	s_mov_b32 s4, 0x252049c0
	s_mov_b32 s5, 0xb97b839a
	v_cvt_i32_f64_e32 v22, v[13:14]
	s_delay_alu instid0(VALU_DEP_3) | instskip(NEXT) | instid1(VALU_DEP_3)
	v_fma_f64 v[17:18], v[13:14], s[6:7], v[9:10]
	v_add_f64 v[15:16], v[9:10], v[11:12]
	s_mov_b32 s7, 0x3c91a626
	s_delay_alu instid0(VALU_DEP_1) | instskip(NEXT) | instid1(VALU_DEP_3)
	v_add_f64 v[9:10], v[9:10], -v[15:16]
	v_add_f64 v[15:16], v[15:16], -v[17:18]
	s_delay_alu instid0(VALU_DEP_2) | instskip(SKIP_1) | instid1(VALU_DEP_2)
	v_add_f64 v[9:10], v[9:10], v[11:12]
	v_fma_f64 v[11:12], v[13:14], s[6:7], v[11:12]
	v_add_f64 v[9:10], v[15:16], v[9:10]
	s_delay_alu instid0(VALU_DEP_1) | instskip(NEXT) | instid1(VALU_DEP_1)
	v_add_f64 v[9:10], v[9:10], -v[11:12]
	v_fma_f64 v[11:12], v[13:14], s[4:5], v[9:10]
	s_delay_alu instid0(VALU_DEP_1) | instskip(NEXT) | instid1(VALU_DEP_1)
	v_add_f64 v[9:10], v[17:18], v[11:12]
	v_add_f64 v[15:16], v[9:10], -v[17:18]
	s_delay_alu instid0(VALU_DEP_1)
	v_add_f64 v[11:12], v[11:12], -v[15:16]
.LBB1_60:
	s_or_b32 exec_lo, exec_lo, s0
	v_div_scale_f64 v[13:14], null, v[43:44], v[43:44], 0x40140000
	v_div_scale_f64 v[19:20], vcc_lo, 0x40140000, v[43:44], 0x40140000
	s_mov_b32 s0, 0x6b70ba40
	s_mov_b32 s1, 0x3faa27fa
	;; [unrolled: 1-line block ×6, first 2 shown]
	v_mul_f64 v[29:30], v[5:6], v[5:6]
	v_mul_f64 v[35:36], v[9:10], v[9:10]
	s_mov_b32 s8, 0x796cde01
	s_mov_b32 s9, 0x3ec71de3
	v_mul_f64 v[86:87], v[7:8], 0.5
	v_rcp_f64_e32 v[15:16], v[13:14]
	s_delay_alu instid0(VALU_DEP_3) | instskip(SKIP_1) | instid1(VALU_DEP_4)
	v_mul_f64 v[64:65], v[29:30], 0.5
	v_mul_f64 v[96:97], v[5:6], -v[29:30]
	v_mul_f64 v[102:103], v[9:10], -v[35:36]
	s_waitcnt_depctr 0xfff
	v_fma_f64 v[17:18], -v[13:14], v[15:16], 1.0
	v_add_f64 v[68:69], -v[64:65], 1.0
	s_delay_alu instid0(VALU_DEP_2) | instskip(NEXT) | instid1(VALU_DEP_2)
	v_fma_f64 v[15:16], v[15:16], v[17:18], v[15:16]
	v_add_f64 v[98:99], -v[68:69], 1.0
	s_delay_alu instid0(VALU_DEP_2) | instskip(NEXT) | instid1(VALU_DEP_2)
	v_fma_f64 v[17:18], -v[13:14], v[15:16], 1.0
	v_add_f64 v[64:65], v[98:99], -v[64:65]
	s_delay_alu instid0(VALU_DEP_2) | instskip(NEXT) | instid1(VALU_DEP_2)
	v_fma_f64 v[15:16], v[15:16], v[17:18], v[15:16]
	v_fma_f64 v[64:65], v[5:6], -v[7:8], v[64:65]
	s_delay_alu instid0(VALU_DEP_2) | instskip(NEXT) | instid1(VALU_DEP_1)
	v_mul_f64 v[17:18], v[19:20], v[15:16]
	v_fma_f64 v[13:14], -v[13:14], v[17:18], v[19:20]
	s_delay_alu instid0(VALU_DEP_1) | instskip(NEXT) | instid1(VALU_DEP_1)
	v_div_fmas_f64 v[13:14], v[13:14], v[15:16], v[17:18]
	v_div_fixup_f64 v[13:14], v[13:14], v[43:44], 0x40140000
	s_delay_alu instid0(VALU_DEP_1) | instskip(NEXT) | instid1(VALU_DEP_1)
	v_mul_f64 v[15:16], v[13:14], v[13:14]
	v_fma_f64 v[17:18], v[15:16], 0, s[0:1]
	s_mov_b32 s0, 0x4c6c651b
	s_mov_b32 s1, 0x3f48f92c
	v_fma_f64 v[19:20], v[15:16], 0, s[4:5]
	v_fma_f64 v[23:24], v[15:16], 0, s[0:1]
	s_mov_b32 s0, 0xc66d8fd6
	s_mov_b32 s1, 0x4013edb5
	v_fma_f64 v[25:26], v[15:16], 0, s[6:7]
	s_mov_b32 s4, 0x5948aa83
	s_mov_b32 s5, 0x3fb19fdd
	s_mov_b32 s6, 0xa20e5f6f
	s_mov_b32 s7, 0x409081cb
	s_delay_alu instid0(VALU_DEP_4) | instskip(SKIP_2) | instid1(VALU_DEP_4)
	v_fma_f64 v[17:18], v[15:16], v[17:18], s[0:1]
	s_mov_b32 s0, 0xa3fec4b6
	s_mov_b32 s1, 0x3fb2b948
	v_fma_f64 v[19:20], v[15:16], v[19:20], s[4:5]
	s_delay_alu instid0(VALU_DEP_4) | instskip(SKIP_2) | instid1(VALU_DEP_4)
	v_fma_f64 v[23:24], v[15:16], v[23:24], s[0:1]
	s_mov_b32 s0, 0x9acf1c67
	s_mov_b32 s1, 0x4052f4b9
	v_fma_f64 v[25:26], v[15:16], v[25:26], s[6:7]
	s_mov_b32 s4, 0xb850eed6
	s_mov_b32 s5, 0x3ff1aea9
	s_mov_b32 s6, 0x1bfdfe81
	s_mov_b32 s7, 0x40b37a69
	s_delay_alu instid0(VALU_DEP_4) | instskip(SKIP_2) | instid1(VALU_DEP_4)
	v_fma_f64 v[17:18], v[15:16], v[17:18], s[0:1]
	s_mov_b32 s0, 0xc21596d6
	s_mov_b32 s1, 0x3ff208fe
	v_fma_f64 v[19:20], v[15:16], v[19:20], s[4:5]
	s_delay_alu instid0(VALU_DEP_4) | instskip(SKIP_2) | instid1(VALU_DEP_4)
	;; [unrolled: 14-line block ×5, first 2 shown]
	v_fma_f64 v[23:24], v[15:16], v[23:24], s[0:1]
	s_mov_b32 s0, 0x4c54bb0b
	s_mov_b32 s1, 0x406a760a
	v_fma_f64 v[25:26], v[15:16], v[25:26], s[6:7]
	s_mov_b32 s4, 0x4d159eb5
	s_mov_b32 s5, 0x403934ff
	;; [unrolled: 1-line block ×4, first 2 shown]
	s_delay_alu instid0(VALU_DEP_4) | instskip(SKIP_2) | instid1(VALU_DEP_4)
	v_fma_f64 v[17:18], v[15:16], v[17:18], s[0:1]
	s_mov_b32 s0, 0x6ae75997
	s_mov_b32 s1, 0x4075017f
	v_fma_f64 v[19:20], v[15:16], v[19:20], 1.0
	s_delay_alu instid0(VALU_DEP_4) | instskip(NEXT) | instid1(VALU_DEP_4)
	v_fma_f64 v[23:24], v[15:16], v[23:24], 1.0
	v_fma_f64 v[25:26], v[15:16], v[25:26], s[0:1]
	s_mov_b32 s0, 0xb42fdfa7
	s_mov_b32 s1, 0xbe5ae600
	s_delay_alu instid0(VALU_DEP_4) | instskip(SKIP_2) | instid1(VALU_DEP_3)
	v_fma_f64 v[15:16], v[15:16], v[17:18], s[4:5]
	s_mov_b32 s4, 0xf9a43bb8
	s_mov_b32 s5, 0x3de5e0b2
	v_div_scale_f64 v[17:18], null, v[19:20], v[19:20], v[23:24]
	v_fma_f64 v[37:38], v[29:30], s[4:5], s[0:1]
	v_fma_f64 v[52:53], v[35:36], s[4:5], s[0:1]
	v_cmp_gt_f64_e64 s0, 0x10000000, v[43:44]
	s_mov_b32 s4, 0x9037ab78
	s_mov_b32 s5, 0x3e21eeb6
	v_div_scale_f64 v[100:101], vcc_lo, v[23:24], v[19:20], v[23:24]
	v_fma_f64 v[54:55], v[29:30], s[6:7], s[4:5]
	v_div_scale_f64 v[27:28], null, v[25:26], v[25:26], v[15:16]
	v_rcp_f64_e32 v[31:32], v[17:18]
	v_fma_f64 v[37:38], v[29:30], v[37:38], s[8:9]
	v_cndmask_b32_e64 v39, 0, 1, s0
	s_delay_alu instid0(VALU_DEP_1) | instskip(NEXT) | instid1(VALU_DEP_1)
	v_lshlrev_b32_e32 v39, 8, v39
	v_ldexp_f64 v[66:67], v[43:44], v39
	v_rcp_f64_e32 v[33:34], v[27:28]
	s_waitcnt_depctr 0xfff
	v_fma_f64 v[48:49], -v[17:18], v[31:32], 1.0
	v_rsq_f64_e32 v[84:85], v[66:67]
	v_fma_f64 v[50:51], -v[27:28], v[33:34], 1.0
	s_delay_alu instid0(VALU_DEP_2)
	v_fma_f64 v[31:32], v[31:32], v[48:49], v[31:32]
	v_fma_f64 v[48:49], v[35:36], v[52:53], s[8:9]
	;; [unrolled: 1-line block ×3, first 2 shown]
	s_mov_b32 s6, 0x19e83e5c
	s_mov_b32 s7, 0xbf2a01a0
	s_mov_b32 s4, 0xa17f65f6
	v_fma_f64 v[37:38], v[29:30], v[37:38], s[6:7]
	s_mov_b32 s5, 0xbe927e4f
	s_delay_alu instid0(SALU_CYCLE_1) | instskip(NEXT) | instid1(TRANS32_DEP_1)
	v_fma_f64 v[54:55], v[29:30], v[54:55], s[4:5]
	v_mul_f64 v[114:115], v[66:67], v[84:85]
	v_mul_f64 v[84:85], v[84:85], 0.5
	v_fma_f64 v[33:34], v[33:34], v[50:51], v[33:34]
	v_mul_f64 v[50:51], v[35:36], 0.5
	v_fma_f64 v[70:71], -v[17:18], v[31:32], 1.0
	v_fma_f64 v[48:49], v[35:36], v[48:49], s[6:7]
	v_fma_f64 v[52:53], v[35:36], v[52:53], s[4:5]
	s_mov_b32 s6, 0x11110bb3
	s_mov_b32 s7, 0x3f811111
	;; [unrolled: 1-line block ×3, first 2 shown]
	v_fma_f64 v[37:38], v[29:30], v[37:38], s[6:7]
	s_mov_b32 s5, 0x3efa01a0
	s_delay_alu instid0(SALU_CYCLE_1)
	v_fma_f64 v[54:55], v[29:30], v[54:55], s[4:5]
	v_fma_f64 v[80:81], -v[27:28], v[33:34], 1.0
	v_add_f64 v[82:83], -v[50:51], 1.0
	v_fma_f64 v[31:32], v[31:32], v[70:71], v[31:32]
	v_div_scale_f64 v[70:71], s1, v[15:16], v[25:26], v[15:16]
	v_fma_f64 v[48:49], v[35:36], v[48:49], s[6:7]
	v_fma_f64 v[52:53], v[35:36], v[52:53], s[4:5]
	s_mov_b32 s4, 0x16c16967
	v_fma_f64 v[37:38], v[96:97], v[37:38], v[86:87]
	s_mov_b32 s5, 0xbf56c16c
	s_delay_alu instid0(SALU_CYCLE_1)
	v_fma_f64 v[54:55], v[29:30], v[54:55], s[4:5]
	v_fma_f64 v[33:34], v[33:34], v[80:81], v[33:34]
	v_mul_f64 v[80:81], v[11:12], 0.5
	v_add_f64 v[112:113], -v[82:83], 1.0
	v_mul_f64 v[86:87], v[100:101], v[31:32]
	v_fma_f64 v[52:53], v[35:36], v[52:53], s[4:5]
	s_mov_b32 s4, 0x55555555
	v_fma_f64 v[7:8], v[29:30], v[37:38], -v[7:8]
	s_mov_b32 s5, 0x3fa55555
	v_mul_f64 v[37:38], v[35:36], v[35:36]
	v_fma_f64 v[54:55], v[29:30], v[54:55], s[4:5]
	v_mul_f64 v[98:99], v[70:71], v[33:34]
	v_fma_f64 v[48:49], v[102:103], v[48:49], v[80:81]
	v_add_f64 v[50:51], v[112:113], -v[50:51]
	v_fma_f64 v[112:113], -v[84:85], v[114:115], 0.5
	v_fma_f64 v[17:18], -v[17:18], v[86:87], v[100:101]
	v_mul_f64 v[80:81], v[29:30], v[29:30]
	v_fma_f64 v[27:28], -v[27:28], v[98:99], v[70:71]
	v_fma_f64 v[29:30], v[35:36], v[48:49], -v[11:12]
	v_fma_f64 v[35:36], v[35:36], v[52:53], s[4:5]
	v_fma_f64 v[11:12], v[9:10], -v[11:12], v[50:51]
	v_fma_f64 v[48:49], v[114:115], v[112:113], v[114:115]
	s_mov_b32 s5, 0xbfc55555
	v_div_fmas_f64 v[17:18], v[17:18], v[31:32], v[86:87]
	s_mov_b32 vcc_lo, s1
	v_fma_f64 v[7:8], v[96:97], s[4:5], v[7:8]
	v_fma_f64 v[50:51], v[80:81], v[54:55], v[64:65]
	;; [unrolled: 1-line block ×3, first 2 shown]
	v_cmp_class_f64_e64 s1, v[2:3], 0x1f8
	v_and_b32_e32 v2, 1, v22
	s_delay_alu instid0(VALU_DEP_1)
	v_cmp_eq_u32_e64 s2, 0, v2
	v_div_fmas_f64 v[27:28], v[27:28], v[33:34], v[98:99]
	v_fma_f64 v[29:30], v[102:103], s[4:5], v[29:30]
	v_fma_f64 v[11:12], v[37:38], v[35:36], v[11:12]
	v_fma_f64 v[33:34], -v[48:49], v[48:49], v[66:67]
	v_add_f64 v[5:6], v[5:6], -v[7:8]
	v_add_f64 v[35:36], v[68:69], v[50:51]
	v_div_fixup_f64 v[7:8], v[27:28], v[25:26], v[15:16]
	v_add_f64 v[9:10], v[9:10], -v[29:30]
	v_and_b32_e32 v25, 1, v21
	v_add_f64 v[11:12], v[82:83], v[11:12]
	v_fma_f64 v[15:16], v[33:34], v[31:32], v[48:49]
	s_delay_alu instid0(VALU_DEP_3)
	v_cmp_eq_u32_e32 vcc_lo, 0, v25
	v_cndmask_b32_e32 v5, v35, v5, vcc_lo
	v_mul_f64 v[7:8], v[13:14], v[7:8]
	v_lshlrev_b32_e32 v13, 30, v22
	v_xor_b32_e32 v10, 0x80000000, v10
	v_cndmask_b32_e64 v11, v9, v11, s2
	s_delay_alu instid0(VALU_DEP_3) | instskip(NEXT) | instid1(VALU_DEP_3)
	v_and_b32_e32 v2, 0x80000000, v13
	v_cndmask_b32_e64 v9, v10, v12, s2
	s_delay_alu instid0(VALU_DEP_3) | instskip(SKIP_1) | instid1(VALU_DEP_3)
	v_cndmask_b32_e64 v11, 0, v11, s1
	v_div_fixup_f64 v[13:14], v[17:18], v[19:20], v[23:24]
	v_xor_b32_e32 v12, v9, v2
	v_fma_f64 v[9:10], -v[15:16], v[15:16], v[66:67]
	v_cndmask_b32_e64 v2, 0, v5, s1
	v_lshlrev_b32_e32 v5, 30, v21
	s_delay_alu instid0(VALU_DEP_4) | instskip(NEXT) | instid1(VALU_DEP_2)
	v_cndmask_b32_e64 v12, 0x7ff80000, v12, s1
	v_xor_b32_e32 v3, v5, v3
	v_cndmask_b32_e32 v5, v36, v6, vcc_lo
	v_cmp_class_f64_e64 vcc_lo, v[66:67], 0x260
	s_delay_alu instid0(VALU_DEP_3) | instskip(NEXT) | instid1(VALU_DEP_1)
	v_and_b32_e32 v3, 0x80000000, v3
	v_xor_b32_e32 v3, v5, v3
	s_delay_alu instid0(VALU_DEP_1) | instskip(SKIP_2) | instid1(VALU_DEP_2)
	v_cndmask_b32_e64 v3, 0x7ff80000, v3, s1
	v_mul_f64 v[7:8], v[7:8], v[11:12]
	v_fma_f64 v[5:6], v[9:10], v[31:32], v[15:16]
	v_fma_f64 v[2:3], v[13:14], v[2:3], v[7:8]
	v_cndmask_b32_e64 v7, 0, 0xffffff80, s0
	s_mov_b32 s0, 0x33d43651
	s_mov_b32 s1, 0x3fe98845
	s_delay_alu instid0(VALU_DEP_1) | instskip(NEXT) | instid1(VALU_DEP_3)
	v_ldexp_f64 v[5:6], v[5:6], v7
	v_mul_f64 v[2:3], v[2:3], s[0:1]
	s_delay_alu instid0(VALU_DEP_2) | instskip(NEXT) | instid1(VALU_DEP_1)
	v_dual_cndmask_b32 v6, v6, v67 :: v_dual_cndmask_b32 v5, v5, v66
	v_div_scale_f64 v[7:8], null, v[5:6], v[5:6], v[2:3]
	s_delay_alu instid0(VALU_DEP_1) | instskip(SKIP_2) | instid1(VALU_DEP_1)
	v_rcp_f64_e32 v[9:10], v[7:8]
	s_waitcnt_depctr 0xfff
	v_fma_f64 v[11:12], -v[7:8], v[9:10], 1.0
	v_fma_f64 v[9:10], v[9:10], v[11:12], v[9:10]
	s_delay_alu instid0(VALU_DEP_1) | instskip(NEXT) | instid1(VALU_DEP_1)
	v_fma_f64 v[11:12], -v[7:8], v[9:10], 1.0
	v_fma_f64 v[9:10], v[9:10], v[11:12], v[9:10]
	v_div_scale_f64 v[11:12], vcc_lo, v[2:3], v[5:6], v[2:3]
	s_delay_alu instid0(VALU_DEP_1) | instskip(NEXT) | instid1(VALU_DEP_1)
	v_mul_f64 v[13:14], v[11:12], v[9:10]
	v_fma_f64 v[7:8], -v[7:8], v[13:14], v[11:12]
	s_delay_alu instid0(VALU_DEP_1) | instskip(NEXT) | instid1(VALU_DEP_1)
	v_div_fmas_f64 v[7:8], v[7:8], v[9:10], v[13:14]
	v_div_fixup_f64 v[76:77], v[7:8], v[5:6], v[2:3]
.LBB1_61:
	s_or_b32 exec_lo, exec_lo, s3
.LBB1_62:
	s_delay_alu instid0(SALU_CYCLE_1) | instskip(SKIP_2) | instid1(VALU_DEP_1)
	s_or_b32 exec_lo, exec_lo, s37
	v_add_nc_u32_e32 v2, 0x300, v47
	s_mov_b32 s37, exec_lo
	v_cmpx_lt_i32_e64 v2, v4
	s_cbranch_execz .LBB1_72
; %bb.63:
	s_mov_b32 s0, exec_lo
	s_waitcnt vmcnt(0) lgkmcnt(0)
	v_cmpx_ge_f64_e32 0x40140000, v[41:42]
	s_xor_b32 s38, exec_lo, s0
	s_cbranch_execz .LBB1_69
; %bb.64:
	v_mov_b32_e32 v78, 0
	v_mov_b32_e32 v79, 0xfff00000
	s_mov_b32 s39, exec_lo
	v_cmpx_neq_f64_e32 0, v[41:42]
	s_cbranch_execz .LBB1_68
; %bb.65:
	v_mov_b32_e32 v78, 0
	v_mov_b32_e32 v79, 0x7ff80000
	s_mov_b32 s40, exec_lo
	v_cmpx_nge_f64_e32 0, v[41:42]
	s_cbranch_execz .LBB1_67
; %bb.66:
	v_mul_f64 v[2:3], v[41:42], v[41:42]
	s_mov_b32 s0, 0xa93f7ac2
	s_mov_b32 s1, 0x40829269
	;; [unrolled: 1-line block ×4, first 2 shown]
	v_dual_mov_b32 v44, v0 :: v_dual_mov_b32 v43, v1
	v_dual_mov_b32 v0, v41 :: v_dual_mov_b32 v1, v42
	v_mov_b32_e32 v45, v4
	s_delay_alu instid0(VALU_DEP_4)
	v_fma_f64 v[5:6], v[2:3], 0, s[0:1]
	s_mov_b32 s0, 0xbe58ef7f
	s_mov_b32 s1, 0x410cc160
	s_delay_alu instid0(VALU_DEP_1) | instid1(SALU_CYCLE_1)
	v_fma_f64 v[5:6], v[2:3], v[5:6], s[0:1]
	s_mov_b32 s0, 0x62f9b6c5
	s_mov_b32 s1, 0x41d2d2be
	s_delay_alu instid0(SALU_CYCLE_1) | instskip(SKIP_2) | instid1(VALU_DEP_2)
	v_fma_f64 v[7:8], v[2:3], 0, s[0:1]
	s_mov_b32 s0, 0x58836521
	s_mov_b32 s1, 0xc262d72d
	v_fma_f64 v[5:6], v[2:3], v[5:6], s[2:3]
	s_mov_b32 s2, 0x906b7b83
	s_mov_b32 s3, 0x421178c3
	s_delay_alu instid0(VALU_DEP_2) | instskip(SKIP_2) | instid1(VALU_DEP_2)
	v_fma_f64 v[7:8], v[2:3], v[7:8], s[0:1]
	s_mov_b32 s0, 0xb0910fef
	s_mov_b32 s1, 0x42da0954
	v_fma_f64 v[5:6], v[2:3], v[5:6], s[2:3]
	s_mov_b32 s2, 0xfda99316
	s_mov_b32 s3, 0x428c3f5e
	s_delay_alu instid0(VALU_DEP_2) | instskip(SKIP_2) | instid1(VALU_DEP_2)
	;; [unrolled: 7-line block ×4, first 2 shown]
	v_fma_f64 v[7:8], v[2:3], v[7:8], s[0:1]
	s_mov_b32 s0, 0x5dde2b17
	s_mov_b32 s1, 0xc3a59e41
	v_fma_f64 v[5:6], v[2:3], v[5:6], s[2:3]
	s_mov_b32 s2, 0x90f6747f
	s_mov_b32 s3, 0x43cb90f1
	s_delay_alu instid0(VALU_DEP_2) | instskip(SKIP_3) | instid1(VALU_DEP_2)
	v_fma_f64 v[7:8], v[2:3], v[7:8], s[0:1]
	s_getpc_b64 s[0:1]
	s_add_u32 s0, s0, _Z17bessel_j1_forwardIdET_S0_@rel32@lo+4
	s_addc_u32 s1, s1, _Z17bessel_j1_forwardIdET_S0_@rel32@hi+12
	v_fma_f64 v[2:3], v[2:3], v[5:6], s[2:3]
	s_delay_alu instid0(VALU_DEP_1) | instskip(NEXT) | instid1(VALU_DEP_1)
	v_div_scale_f64 v[5:6], null, v[2:3], v[2:3], v[7:8]
	v_rcp_f64_e32 v[9:10], v[5:6]
	s_waitcnt_depctr 0xfff
	v_fma_f64 v[11:12], -v[5:6], v[9:10], 1.0
	s_delay_alu instid0(VALU_DEP_1) | instskip(NEXT) | instid1(VALU_DEP_1)
	v_fma_f64 v[9:10], v[9:10], v[11:12], v[9:10]
	v_fma_f64 v[11:12], -v[5:6], v[9:10], 1.0
	s_delay_alu instid0(VALU_DEP_1) | instskip(SKIP_1) | instid1(VALU_DEP_1)
	v_fma_f64 v[9:10], v[9:10], v[11:12], v[9:10]
	v_div_scale_f64 v[11:12], vcc_lo, v[7:8], v[2:3], v[7:8]
	v_mul_f64 v[13:14], v[11:12], v[9:10]
	s_delay_alu instid0(VALU_DEP_1) | instskip(NEXT) | instid1(VALU_DEP_1)
	v_fma_f64 v[5:6], -v[5:6], v[13:14], v[11:12]
	v_div_fmas_f64 v[5:6], v[5:6], v[9:10], v[13:14]
	s_delay_alu instid0(VALU_DEP_1)
	v_div_fixup_f64 v[56:57], v[5:6], v[2:3], v[7:8]
	s_swappc_b64 s[30:31], s[0:1]
	v_frexp_mant_f64_e32 v[5:6], v[41:42]
	s_mov_b32 s1, 0x3fe55555
	s_mov_b32 s0, 0x55555555
	v_dual_mov_b32 v2, v0 :: v_dual_mov_b32 v3, v1
	v_dual_mov_b32 v0, v44 :: v_dual_mov_b32 v7, 0
	s_mov_b32 s2, 0x6b47b09a
	s_mov_b32 s4, 0xbf559e2b
	;; [unrolled: 1-line block ×4, first 2 shown]
	v_div_scale_f64 v[21:22], null, v[41:42], v[41:42], -1.0
	v_dual_mov_b32 v4, v45 :: v_dual_mov_b32 v1, v43
	v_cmp_gt_f64_e32 vcc_lo, s[0:1], v[5:6]
	s_mov_b32 s0, 0x55555780
	s_delay_alu instid0(VALU_DEP_3) | instskip(SKIP_1) | instid1(VALU_DEP_1)
	v_rcp_f64_e32 v[25:26], v[21:22]
	v_cndmask_b32_e64 v8, 0x3ff00000, 2.0, vcc_lo
	v_mul_f64 v[5:6], v[5:6], v[7:8]
	s_delay_alu instid0(VALU_DEP_1) | instskip(SKIP_1) | instid1(VALU_DEP_2)
	v_add_f64 v[7:8], v[5:6], 1.0
	v_add_f64 v[13:14], v[5:6], -1.0
	v_rcp_f64_e32 v[9:10], v[7:8]
	v_add_f64 v[15:16], v[7:8], -1.0
	s_delay_alu instid0(VALU_DEP_1) | instskip(SKIP_2) | instid1(VALU_DEP_1)
	v_add_f64 v[5:6], v[5:6], -v[15:16]
	s_waitcnt_depctr 0xfff
	v_fma_f64 v[11:12], -v[7:8], v[9:10], 1.0
	v_fma_f64 v[9:10], v[11:12], v[9:10], v[9:10]
	s_delay_alu instid0(VALU_DEP_1) | instskip(NEXT) | instid1(VALU_DEP_1)
	v_fma_f64 v[11:12], -v[7:8], v[9:10], 1.0
	v_fma_f64 v[9:10], v[11:12], v[9:10], v[9:10]
	s_delay_alu instid0(VALU_DEP_1) | instskip(NEXT) | instid1(VALU_DEP_1)
	v_mul_f64 v[11:12], v[13:14], v[9:10]
	v_mul_f64 v[17:18], v[7:8], v[11:12]
	s_delay_alu instid0(VALU_DEP_1) | instskip(NEXT) | instid1(VALU_DEP_1)
	v_fma_f64 v[7:8], v[11:12], v[7:8], -v[17:18]
	v_fma_f64 v[5:6], v[11:12], v[5:6], v[7:8]
	s_delay_alu instid0(VALU_DEP_1) | instskip(NEXT) | instid1(VALU_DEP_1)
	v_add_f64 v[7:8], v[17:18], v[5:6]
	v_add_f64 v[15:16], v[13:14], -v[7:8]
	v_add_f64 v[17:18], v[7:8], -v[17:18]
	s_delay_alu instid0(VALU_DEP_2) | instskip(NEXT) | instid1(VALU_DEP_2)
	v_add_f64 v[13:14], v[13:14], -v[15:16]
	v_add_f64 v[5:6], v[17:18], -v[5:6]
	v_frexp_exp_i32_f64_e32 v17, v[41:42]
	s_delay_alu instid0(VALU_DEP_3) | instskip(NEXT) | instid1(VALU_DEP_1)
	v_add_f64 v[7:8], v[13:14], -v[7:8]
	v_add_f64 v[5:6], v[5:6], v[7:8]
	s_delay_alu instid0(VALU_DEP_1) | instskip(NEXT) | instid1(VALU_DEP_1)
	v_add_f64 v[5:6], v[15:16], v[5:6]
	v_mul_f64 v[5:6], v[9:10], v[5:6]
	s_delay_alu instid0(VALU_DEP_1) | instskip(NEXT) | instid1(VALU_DEP_1)
	v_add_f64 v[7:8], v[11:12], v[5:6]
	v_mul_f64 v[9:10], v[7:8], v[7:8]
	s_delay_alu instid0(VALU_DEP_1) | instskip(SKIP_3) | instid1(VALU_DEP_2)
	v_fma_f64 v[13:14], v[9:10], s[4:5], s[2:3]
	s_mov_b32 s2, 0xd7f4df2e
	s_mov_b32 s3, 0x3fc7474d
	v_mul_f64 v[15:16], v[7:8], v[9:10]
	v_fma_f64 v[13:14], v[9:10], v[13:14], s[2:3]
	s_mov_b32 s2, 0x16291751
	s_mov_b32 s3, 0x3fcc71c0
	s_delay_alu instid0(VALU_DEP_1) | instid1(SALU_CYCLE_1)
	v_fma_f64 v[13:14], v[9:10], v[13:14], s[2:3]
	s_mov_b32 s2, 0x9b27acf1
	s_mov_b32 s3, 0x3fd24924
	s_delay_alu instid0(VALU_DEP_1) | instid1(SALU_CYCLE_1)
	;; [unrolled: 4-line block ×3, first 2 shown]
	v_fma_f64 v[13:14], v[9:10], v[13:14], s[2:3]
	s_delay_alu instid0(VALU_DEP_1) | instskip(SKIP_4) | instid1(VALU_DEP_3)
	v_fma_f64 v[9:10], v[9:10], v[13:14], s[0:1]
	v_ldexp_f64 v[13:14], v[7:8], 1
	v_add_f64 v[7:8], v[7:8], -v[11:12]
	s_mov_b32 s0, 0xfefa39ef
	s_mov_b32 s1, 0x3fe62e42
	v_mul_f64 v[9:10], v[15:16], v[9:10]
	v_subrev_co_ci_u32_e32 v15, vcc_lo, 0, v17, vcc_lo
	s_delay_alu instid0(VALU_DEP_3) | instskip(NEXT) | instid1(VALU_DEP_2)
	v_add_f64 v[5:6], v[5:6], -v[7:8]
	v_cvt_f64_i32_e32 v[15:16], v15
	s_delay_alu instid0(VALU_DEP_4) | instskip(NEXT) | instid1(VALU_DEP_3)
	v_add_f64 v[11:12], v[13:14], v[9:10]
	v_ldexp_f64 v[5:6], v[5:6], 1
	s_delay_alu instid0(VALU_DEP_3) | instskip(NEXT) | instid1(VALU_DEP_3)
	v_mul_f64 v[17:18], v[15:16], s[0:1]
	v_add_f64 v[7:8], v[11:12], -v[13:14]
	s_delay_alu instid0(VALU_DEP_2) | instskip(SKIP_2) | instid1(VALU_DEP_2)
	v_fma_f64 v[13:14], v[15:16], s[0:1], -v[17:18]
	s_mov_b32 s0, 0x3b39803f
	s_mov_b32 s1, 0x3c7abc9e
	v_add_f64 v[7:8], v[9:10], -v[7:8]
	s_delay_alu instid0(VALU_DEP_2) | instskip(SKIP_2) | instid1(VALU_DEP_2)
	v_fma_f64 v[9:10], v[15:16], s[0:1], v[13:14]
	s_mov_b32 s0, 0x6dc9c883
	s_mov_b32 s1, 0x3fe45f30
	v_add_f64 v[5:6], v[5:6], v[7:8]
	s_delay_alu instid0(VALU_DEP_2) | instskip(NEXT) | instid1(VALU_DEP_2)
	v_add_f64 v[7:8], v[17:18], v[9:10]
	v_add_f64 v[13:14], v[11:12], v[5:6]
	s_delay_alu instid0(VALU_DEP_2) | instskip(NEXT) | instid1(VALU_DEP_2)
	v_add_f64 v[17:18], v[7:8], -v[17:18]
	v_add_f64 v[15:16], v[7:8], v[13:14]
	v_add_f64 v[11:12], v[13:14], -v[11:12]
	s_delay_alu instid0(VALU_DEP_3) | instskip(NEXT) | instid1(VALU_DEP_3)
	v_add_f64 v[9:10], v[9:10], -v[17:18]
	v_add_f64 v[19:20], v[15:16], -v[7:8]
	s_delay_alu instid0(VALU_DEP_3) | instskip(NEXT) | instid1(VALU_DEP_2)
	v_add_f64 v[5:6], v[5:6], -v[11:12]
	v_add_f64 v[23:24], v[15:16], -v[19:20]
	v_add_f64 v[11:12], v[13:14], -v[19:20]
	v_fma_f64 v[13:14], -v[21:22], v[25:26], 1.0
	s_delay_alu instid0(VALU_DEP_4) | instskip(NEXT) | instid1(VALU_DEP_4)
	v_add_f64 v[17:18], v[9:10], v[5:6]
	v_add_f64 v[7:8], v[7:8], -v[23:24]
	s_delay_alu instid0(VALU_DEP_1) | instskip(NEXT) | instid1(VALU_DEP_4)
	v_add_f64 v[7:8], v[11:12], v[7:8]
	v_fma_f64 v[11:12], v[25:26], v[13:14], v[25:26]
	s_delay_alu instid0(VALU_DEP_4) | instskip(SKIP_1) | instid1(VALU_DEP_4)
	v_add_f64 v[13:14], v[17:18], -v[9:10]
	v_div_scale_f64 v[25:26], vcc_lo, -1.0, v[41:42], -1.0
	v_add_f64 v[7:8], v[17:18], v[7:8]
	s_delay_alu instid0(VALU_DEP_4) | instskip(NEXT) | instid1(VALU_DEP_4)
	v_fma_f64 v[19:20], -v[21:22], v[11:12], 1.0
	v_add_f64 v[17:18], v[17:18], -v[13:14]
	v_add_f64 v[5:6], v[5:6], -v[13:14]
	s_delay_alu instid0(VALU_DEP_4) | instskip(NEXT) | instid1(VALU_DEP_4)
	v_add_f64 v[23:24], v[15:16], v[7:8]
	v_fma_f64 v[11:12], v[11:12], v[19:20], v[11:12]
	s_delay_alu instid0(VALU_DEP_4) | instskip(NEXT) | instid1(VALU_DEP_3)
	v_add_f64 v[9:10], v[9:10], -v[17:18]
	v_add_f64 v[13:14], v[23:24], -v[15:16]
	s_delay_alu instid0(VALU_DEP_3) | instskip(NEXT) | instid1(VALU_DEP_3)
	v_mul_f64 v[15:16], v[25:26], v[11:12]
	v_add_f64 v[5:6], v[5:6], v[9:10]
	s_delay_alu instid0(VALU_DEP_3) | instskip(NEXT) | instid1(VALU_DEP_3)
	v_add_f64 v[7:8], v[7:8], -v[13:14]
	v_fma_f64 v[9:10], -v[21:22], v[15:16], v[25:26]
	s_delay_alu instid0(VALU_DEP_2) | instskip(NEXT) | instid1(VALU_DEP_2)
	v_add_f64 v[5:6], v[5:6], v[7:8]
	v_div_fmas_f64 v[7:8], v[9:10], v[11:12], v[15:16]
	s_delay_alu instid0(VALU_DEP_2) | instskip(NEXT) | instid1(VALU_DEP_2)
	v_add_f64 v[5:6], v[23:24], v[5:6]
	v_div_fixup_f64 v[7:8], v[7:8], v[41:42], -1.0
	s_delay_alu instid0(VALU_DEP_1) | instskip(NEXT) | instid1(VALU_DEP_1)
	v_fma_f64 v[2:3], v[5:6], v[2:3], v[7:8]
	v_mul_f64 v[2:3], v[2:3], s[0:1]
	s_delay_alu instid0(VALU_DEP_1)
	v_fma_f64 v[78:79], v[41:42], v[56:57], v[2:3]
.LBB1_67:
	s_or_b32 exec_lo, exec_lo, s40
.LBB1_68:
	s_delay_alu instid0(SALU_CYCLE_1)
	s_or_b32 exec_lo, exec_lo, s39
                                        ; implicit-def: $vgpr41_vgpr42
.LBB1_69:
	s_and_not1_saveexec_b32 s3, s38
	s_cbranch_execz .LBB1_83
; %bb.70:
	s_mov_b32 s0, 0x7f3321d2
	s_mov_b32 s1, 0xc002d97c
                                        ; implicit-def: $vgpr21
                                        ; implicit-def: $vgpr5_vgpr6
                                        ; implicit-def: $vgpr7_vgpr8
	s_delay_alu instid0(SALU_CYCLE_1) | instskip(NEXT) | instid1(VALU_DEP_1)
	v_add_f64 v[2:3], v[41:42], s[0:1]
	v_cmp_ngt_f64_e64 s1, 0x41d00000, |v[2:3]|
	v_trig_preop_f64 v[17:18], |v[2:3]|, 0
	v_trig_preop_f64 v[15:16], |v[2:3]|, 1
	v_ldexp_f64 v[19:20], |v[2:3]|, 0xffffff80
	v_trig_preop_f64 v[13:14], |v[2:3]|, 2
	v_and_b32_e32 v23, 0x7fffffff, v3
	s_and_saveexec_b32 s0, s1
	s_delay_alu instid0(SALU_CYCLE_1)
	s_xor_b32 s2, exec_lo, s0
	s_cbranch_execz .LBB1_76
; %bb.71:
	v_cmp_le_f64_e64 vcc_lo, 0x7b000000, |v[2:3]|
	v_mov_b32_e32 v34, 0
	s_mov_b32 s4, 0x54442d18
	s_mov_b32 s5, 0x3ff921fb
	;; [unrolled: 1-line block ×4, first 2 shown]
	v_dual_cndmask_b32 v6, v23, v20 :: v_dual_cndmask_b32 v5, v2, v19
	s_delay_alu instid0(VALU_DEP_1) | instskip(SKIP_2) | instid1(VALU_DEP_3)
	v_mul_f64 v[7:8], v[17:18], v[5:6]
	v_mul_f64 v[9:10], v[15:16], v[5:6]
	;; [unrolled: 1-line block ×3, first 2 shown]
	v_fma_f64 v[11:12], v[17:18], v[5:6], -v[7:8]
	s_delay_alu instid0(VALU_DEP_3) | instskip(NEXT) | instid1(VALU_DEP_3)
	v_fma_f64 v[32:33], v[15:16], v[5:6], -v[9:10]
	v_fma_f64 v[5:6], v[13:14], v[5:6], -v[30:31]
	s_delay_alu instid0(VALU_DEP_3) | instskip(NEXT) | instid1(VALU_DEP_1)
	v_add_f64 v[21:22], v[9:10], v[11:12]
	v_add_f64 v[24:25], v[21:22], -v[9:10]
	v_add_f64 v[28:29], v[7:8], v[21:22]
	s_delay_alu instid0(VALU_DEP_2) | instskip(SKIP_1) | instid1(VALU_DEP_3)
	v_add_f64 v[26:27], v[21:22], -v[24:25]
	v_add_f64 v[11:12], v[11:12], -v[24:25]
	v_ldexp_f64 v[24:25], v[28:29], -2
	v_add_f64 v[7:8], v[28:29], -v[7:8]
	s_delay_alu instid0(VALU_DEP_4) | instskip(SKIP_1) | instid1(VALU_DEP_4)
	v_add_f64 v[9:10], v[9:10], -v[26:27]
	v_add_f64 v[26:27], v[30:31], v[32:33]
	v_cmp_neq_f64_e64 vcc_lo, 0x7ff00000, |v[24:25]|
	s_delay_alu instid0(VALU_DEP_4) | instskip(NEXT) | instid1(VALU_DEP_4)
	v_add_f64 v[7:8], v[21:22], -v[7:8]
	v_add_f64 v[9:10], v[11:12], v[9:10]
	v_fract_f64_e32 v[11:12], v[24:25]
	s_delay_alu instid0(VALU_DEP_2) | instskip(NEXT) | instid1(VALU_DEP_2)
	v_add_f64 v[21:22], v[26:27], v[9:10]
	v_dual_cndmask_b32 v12, 0, v12 :: v_dual_cndmask_b32 v11, 0, v11
	s_delay_alu instid0(VALU_DEP_1) | instskip(NEXT) | instid1(VALU_DEP_3)
	v_ldexp_f64 v[11:12], v[11:12], 2
	v_add_f64 v[24:25], v[7:8], v[21:22]
	s_delay_alu instid0(VALU_DEP_1) | instskip(SKIP_1) | instid1(VALU_DEP_2)
	v_add_f64 v[28:29], v[24:25], v[11:12]
	v_add_f64 v[7:8], v[24:25], -v[7:8]
	v_cmp_gt_f64_e32 vcc_lo, 0, v[28:29]
	v_add_f64 v[28:29], v[26:27], -v[30:31]
	s_delay_alu instid0(VALU_DEP_3) | instskip(SKIP_1) | instid1(VALU_DEP_3)
	v_add_f64 v[7:8], v[21:22], -v[7:8]
	v_cndmask_b32_e64 v35, 0, 0x40100000, vcc_lo
	v_add_f64 v[48:49], v[26:27], -v[28:29]
	v_add_f64 v[28:29], v[32:33], -v[28:29]
	s_delay_alu instid0(VALU_DEP_3) | instskip(SKIP_1) | instid1(VALU_DEP_4)
	v_add_f64 v[11:12], v[11:12], v[34:35]
	v_add_f64 v[35:36], v[21:22], -v[26:27]
	v_add_f64 v[32:33], v[30:31], -v[48:49]
	s_delay_alu instid0(VALU_DEP_3) | instskip(NEXT) | instid1(VALU_DEP_3)
	v_add_f64 v[37:38], v[24:25], v[11:12]
	v_add_f64 v[50:51], v[21:22], -v[35:36]
	v_add_f64 v[9:10], v[9:10], -v[35:36]
	s_delay_alu instid0(VALU_DEP_4) | instskip(NEXT) | instid1(VALU_DEP_4)
	v_add_f64 v[28:29], v[28:29], v[32:33]
	v_cvt_i32_f64_e32 v37, v[37:38]
	s_delay_alu instid0(VALU_DEP_4) | instskip(NEXT) | instid1(VALU_DEP_2)
	v_add_f64 v[26:27], v[26:27], -v[50:51]
	v_cvt_f64_i32_e32 v[35:36], v37
	s_delay_alu instid0(VALU_DEP_2) | instskip(NEXT) | instid1(VALU_DEP_2)
	v_add_f64 v[9:10], v[9:10], v[26:27]
	v_add_f64 v[11:12], v[11:12], -v[35:36]
	s_delay_alu instid0(VALU_DEP_2) | instskip(NEXT) | instid1(VALU_DEP_2)
	v_add_f64 v[9:10], v[28:29], v[9:10]
	v_add_f64 v[26:27], v[24:25], v[11:12]
	s_delay_alu instid0(VALU_DEP_2) | instskip(NEXT) | instid1(VALU_DEP_2)
	v_add_f64 v[5:6], v[5:6], v[9:10]
	v_add_f64 v[9:10], v[26:27], -v[11:12]
	v_cmp_le_f64_e32 vcc_lo, 0.5, v[26:27]
	s_delay_alu instid0(VALU_DEP_3) | instskip(NEXT) | instid1(VALU_DEP_3)
	v_add_f64 v[5:6], v[7:8], v[5:6]
	v_add_f64 v[7:8], v[24:25], -v[9:10]
	v_cndmask_b32_e64 v35, 0, 0x3ff00000, vcc_lo
	v_add_co_ci_u32_e64 v21, s0, 0, v37, vcc_lo
	s_delay_alu instid0(VALU_DEP_3) | instskip(NEXT) | instid1(VALU_DEP_3)
	v_add_f64 v[5:6], v[5:6], v[7:8]
	v_add_f64 v[7:8], v[26:27], -v[34:35]
	s_delay_alu instid0(VALU_DEP_1) | instskip(NEXT) | instid1(VALU_DEP_1)
	v_add_f64 v[9:10], v[7:8], v[5:6]
	v_mul_f64 v[11:12], v[9:10], s[4:5]
	v_add_f64 v[7:8], v[9:10], -v[7:8]
	s_delay_alu instid0(VALU_DEP_2) | instskip(NEXT) | instid1(VALU_DEP_2)
	v_fma_f64 v[24:25], v[9:10], s[4:5], -v[11:12]
	v_add_f64 v[5:6], v[5:6], -v[7:8]
	s_delay_alu instid0(VALU_DEP_2) | instskip(NEXT) | instid1(VALU_DEP_1)
	v_fma_f64 v[7:8], v[9:10], s[6:7], v[24:25]
	v_fma_f64 v[7:8], v[5:6], s[4:5], v[7:8]
	s_delay_alu instid0(VALU_DEP_1) | instskip(NEXT) | instid1(VALU_DEP_1)
	v_add_f64 v[5:6], v[11:12], v[7:8]
	v_add_f64 v[9:10], v[5:6], -v[11:12]
	s_delay_alu instid0(VALU_DEP_1)
	v_add_f64 v[7:8], v[7:8], -v[9:10]
	s_and_not1_saveexec_b32 s0, s2
	s_cbranch_execz .LBB1_78
	s_branch .LBB1_77
.LBB1_72:
	s_or_b32 exec_lo, exec_lo, s37
	s_and_saveexec_b32 s0, s35
	s_delay_alu instid0(SALU_CYCLE_1)
	s_xor_b32 s0, exec_lo, s0
	s_cbranch_execz .LBB1_84
.LBB1_73:
	v_mov_b32_e32 v59, 0
	v_mov_b32_e32 v47, v60
	s_delay_alu instid0(VALU_DEP_2) | instskip(NEXT) | instid1(VALU_DEP_1)
	v_lshlrev_b64 v[2:3], 3, v[58:59]
	v_add_co_u32 v2, vcc_lo, v0, v2
	s_delay_alu instid0(VALU_DEP_2) | instskip(SKIP_2) | instid1(SALU_CYCLE_1)
	v_add_co_ci_u32_e32 v3, vcc_lo, v1, v3, vcc_lo
	flat_store_b64 v[2:3], v[72:73]
	s_or_b32 exec_lo, exec_lo, s0
	s_mov_b32 s0, exec_lo
	v_cmpx_lt_i32_e64 v47, v4
	s_cbranch_execnz .LBB1_85
.LBB1_74:
	s_or_b32 exec_lo, exec_lo, s0
	s_delay_alu instid0(SALU_CYCLE_1)
	s_mov_b32 s0, exec_lo
	v_cmpx_lt_i32_e64 v47, v4
	s_cbranch_execz .LBB1_86
.LBB1_75:
	v_dual_mov_b32 v3, 0 :: v_dual_add_nc_u32 v2, s36, v47
	v_add_nc_u32_e32 v47, 0x100, v47
	s_delay_alu instid0(VALU_DEP_2) | instskip(NEXT) | instid1(VALU_DEP_1)
	v_lshlrev_b64 v[2:3], 3, v[2:3]
	v_add_co_u32 v2, vcc_lo, v0, v2
	s_delay_alu instid0(VALU_DEP_2) | instskip(SKIP_2) | instid1(SALU_CYCLE_1)
	v_add_co_ci_u32_e32 v3, vcc_lo, v1, v3, vcc_lo
	flat_store_b64 v[2:3], v[76:77]
	s_or_b32 exec_lo, exec_lo, s0
	s_mov_b32 s0, exec_lo
	v_cmpx_lt_i32_e64 v47, v4
	s_cbranch_execnz .LBB1_87
	s_branch .LBB1_88
.LBB1_76:
	s_and_not1_saveexec_b32 s0, s2
	s_cbranch_execz .LBB1_78
.LBB1_77:
	s_mov_b32 s4, 0x6dc9c883
	s_mov_b32 s5, 0x3fe45f30
	;; [unrolled: 1-line block ×3, first 2 shown]
	v_mul_f64 v[5:6], |v[2:3]|, s[4:5]
	s_mov_b32 s4, 0x54442d18
	s_mov_b32 s5, 0xbff921fb
	;; [unrolled: 1-line block ×3, first 2 shown]
	s_delay_alu instid0(VALU_DEP_1) | instskip(NEXT) | instid1(VALU_DEP_1)
	v_rndne_f64_e32 v[9:10], v[5:6]
	v_fma_f64 v[5:6], v[9:10], s[4:5], |v[2:3]|
	v_mul_f64 v[7:8], v[9:10], s[6:7]
	s_mov_b32 s4, 0x252049c0
	s_mov_b32 s5, 0xb97b839a
	s_delay_alu instid0(VALU_DEP_2) | instskip(NEXT) | instid1(VALU_DEP_2)
	v_fma_f64 v[21:22], v[9:10], s[6:7], v[5:6]
	v_add_f64 v[11:12], v[5:6], v[7:8]
	s_mov_b32 s7, 0x3c91a626
	s_delay_alu instid0(VALU_DEP_1) | instskip(NEXT) | instid1(VALU_DEP_3)
	v_add_f64 v[5:6], v[5:6], -v[11:12]
	v_add_f64 v[11:12], v[11:12], -v[21:22]
	s_delay_alu instid0(VALU_DEP_2) | instskip(SKIP_1) | instid1(VALU_DEP_2)
	v_add_f64 v[5:6], v[5:6], v[7:8]
	v_fma_f64 v[7:8], v[9:10], s[6:7], v[7:8]
	v_add_f64 v[5:6], v[11:12], v[5:6]
	s_delay_alu instid0(VALU_DEP_1) | instskip(NEXT) | instid1(VALU_DEP_1)
	v_add_f64 v[5:6], v[5:6], -v[7:8]
	v_fma_f64 v[7:8], v[9:10], s[4:5], v[5:6]
	s_delay_alu instid0(VALU_DEP_1) | instskip(NEXT) | instid1(VALU_DEP_1)
	v_add_f64 v[5:6], v[21:22], v[7:8]
	v_add_f64 v[11:12], v[5:6], -v[21:22]
	v_cvt_i32_f64_e32 v21, v[9:10]
	s_delay_alu instid0(VALU_DEP_2)
	v_add_f64 v[7:8], v[7:8], -v[11:12]
.LBB1_78:
	s_or_b32 exec_lo, exec_lo, s0
                                        ; implicit-def: $vgpr22
                                        ; implicit-def: $vgpr9_vgpr10
                                        ; implicit-def: $vgpr11_vgpr12
	s_and_saveexec_b32 s0, s1
	s_delay_alu instid0(SALU_CYCLE_1)
	s_xor_b32 s1, exec_lo, s0
	s_cbranch_execz .LBB1_80
; %bb.79:
	v_cmp_le_f64_e64 vcc_lo, 0x7b000000, |v[2:3]|
	v_mov_b32_e32 v32, 0
	s_mov_b32 s4, 0x54442d18
	s_mov_b32 s5, 0x3ff921fb
	;; [unrolled: 1-line block ×4, first 2 shown]
	v_dual_cndmask_b32 v10, v23, v20 :: v_dual_cndmask_b32 v9, v2, v19
	s_delay_alu instid0(VALU_DEP_1) | instskip(SKIP_2) | instid1(VALU_DEP_3)
	v_mul_f64 v[11:12], v[17:18], v[9:10]
	v_mul_f64 v[19:20], v[15:16], v[9:10]
	;; [unrolled: 1-line block ×3, first 2 shown]
	v_fma_f64 v[17:18], v[17:18], v[9:10], -v[11:12]
	s_delay_alu instid0(VALU_DEP_3) | instskip(NEXT) | instid1(VALU_DEP_3)
	v_fma_f64 v[15:16], v[15:16], v[9:10], -v[19:20]
	v_fma_f64 v[9:10], v[13:14], v[9:10], -v[30:31]
	s_delay_alu instid0(VALU_DEP_3) | instskip(NEXT) | instid1(VALU_DEP_1)
	v_add_f64 v[22:23], v[19:20], v[17:18]
	v_add_f64 v[24:25], v[22:23], -v[19:20]
	v_add_f64 v[28:29], v[11:12], v[22:23]
	s_delay_alu instid0(VALU_DEP_2) | instskip(SKIP_1) | instid1(VALU_DEP_3)
	v_add_f64 v[26:27], v[22:23], -v[24:25]
	v_add_f64 v[17:18], v[17:18], -v[24:25]
	v_ldexp_f64 v[24:25], v[28:29], -2
	v_add_f64 v[11:12], v[28:29], -v[11:12]
	s_delay_alu instid0(VALU_DEP_4) | instskip(SKIP_1) | instid1(VALU_DEP_4)
	v_add_f64 v[19:20], v[19:20], -v[26:27]
	v_add_f64 v[26:27], v[30:31], v[15:16]
	v_cmp_neq_f64_e64 vcc_lo, 0x7ff00000, |v[24:25]|
	s_delay_alu instid0(VALU_DEP_4) | instskip(NEXT) | instid1(VALU_DEP_4)
	v_add_f64 v[11:12], v[22:23], -v[11:12]
	v_add_f64 v[17:18], v[17:18], v[19:20]
	v_fract_f64_e32 v[19:20], v[24:25]
	s_delay_alu instid0(VALU_DEP_2) | instskip(NEXT) | instid1(VALU_DEP_2)
	v_add_f64 v[22:23], v[26:27], v[17:18]
	v_dual_cndmask_b32 v20, 0, v20 :: v_dual_cndmask_b32 v19, 0, v19
	s_delay_alu instid0(VALU_DEP_1) | instskip(NEXT) | instid1(VALU_DEP_3)
	v_ldexp_f64 v[19:20], v[19:20], 2
	v_add_f64 v[24:25], v[11:12], v[22:23]
	s_delay_alu instid0(VALU_DEP_1) | instskip(SKIP_1) | instid1(VALU_DEP_2)
	v_add_f64 v[28:29], v[24:25], v[19:20]
	v_add_f64 v[11:12], v[24:25], -v[11:12]
	v_cmp_gt_f64_e32 vcc_lo, 0, v[28:29]
	v_add_f64 v[28:29], v[26:27], -v[30:31]
	s_delay_alu instid0(VALU_DEP_3) | instskip(SKIP_1) | instid1(VALU_DEP_3)
	v_add_f64 v[11:12], v[22:23], -v[11:12]
	v_cndmask_b32_e64 v33, 0, 0x40100000, vcc_lo
	v_add_f64 v[37:38], v[26:27], -v[28:29]
	v_add_f64 v[15:16], v[15:16], -v[28:29]
	s_delay_alu instid0(VALU_DEP_3) | instskip(SKIP_1) | instid1(VALU_DEP_4)
	v_add_f64 v[19:20], v[19:20], v[32:33]
	v_add_f64 v[33:34], v[22:23], -v[26:27]
	v_add_f64 v[28:29], v[30:31], -v[37:38]
	s_delay_alu instid0(VALU_DEP_3) | instskip(NEXT) | instid1(VALU_DEP_3)
	v_add_f64 v[35:36], v[24:25], v[19:20]
	v_add_f64 v[48:49], v[22:23], -v[33:34]
	v_add_f64 v[17:18], v[17:18], -v[33:34]
	s_delay_alu instid0(VALU_DEP_4) | instskip(NEXT) | instid1(VALU_DEP_4)
	v_add_f64 v[15:16], v[15:16], v[28:29]
	v_cvt_i32_f64_e32 v35, v[35:36]
	s_delay_alu instid0(VALU_DEP_4) | instskip(NEXT) | instid1(VALU_DEP_2)
	v_add_f64 v[26:27], v[26:27], -v[48:49]
	v_cvt_f64_i32_e32 v[33:34], v35
	s_delay_alu instid0(VALU_DEP_2) | instskip(NEXT) | instid1(VALU_DEP_2)
	v_add_f64 v[17:18], v[17:18], v[26:27]
	v_add_f64 v[19:20], v[19:20], -v[33:34]
	s_delay_alu instid0(VALU_DEP_2) | instskip(NEXT) | instid1(VALU_DEP_2)
	v_add_f64 v[13:14], v[15:16], v[17:18]
	v_add_f64 v[15:16], v[24:25], v[19:20]
	s_delay_alu instid0(VALU_DEP_2) | instskip(NEXT) | instid1(VALU_DEP_2)
	v_add_f64 v[9:10], v[9:10], v[13:14]
	v_add_f64 v[13:14], v[15:16], -v[19:20]
	v_cmp_le_f64_e32 vcc_lo, 0.5, v[15:16]
	s_delay_alu instid0(VALU_DEP_3) | instskip(NEXT) | instid1(VALU_DEP_3)
	v_add_f64 v[9:10], v[11:12], v[9:10]
	v_add_f64 v[11:12], v[24:25], -v[13:14]
	v_cndmask_b32_e64 v33, 0, 0x3ff00000, vcc_lo
	v_add_co_ci_u32_e64 v22, s0, 0, v35, vcc_lo
	s_delay_alu instid0(VALU_DEP_3) | instskip(NEXT) | instid1(VALU_DEP_3)
	v_add_f64 v[9:10], v[9:10], v[11:12]
	v_add_f64 v[11:12], v[15:16], -v[32:33]
	s_delay_alu instid0(VALU_DEP_1) | instskip(NEXT) | instid1(VALU_DEP_1)
	v_add_f64 v[13:14], v[11:12], v[9:10]
	v_mul_f64 v[15:16], v[13:14], s[4:5]
	v_add_f64 v[11:12], v[13:14], -v[11:12]
	s_delay_alu instid0(VALU_DEP_2) | instskip(NEXT) | instid1(VALU_DEP_2)
	v_fma_f64 v[17:18], v[13:14], s[4:5], -v[15:16]
	v_add_f64 v[9:10], v[9:10], -v[11:12]
	s_delay_alu instid0(VALU_DEP_2) | instskip(NEXT) | instid1(VALU_DEP_1)
	v_fma_f64 v[11:12], v[13:14], s[6:7], v[17:18]
	v_fma_f64 v[11:12], v[9:10], s[4:5], v[11:12]
	s_delay_alu instid0(VALU_DEP_1) | instskip(NEXT) | instid1(VALU_DEP_1)
	v_add_f64 v[9:10], v[15:16], v[11:12]
	v_add_f64 v[13:14], v[9:10], -v[15:16]
	s_delay_alu instid0(VALU_DEP_1)
	v_add_f64 v[11:12], v[11:12], -v[13:14]
	s_and_not1_saveexec_b32 s0, s1
	s_cbranch_execnz .LBB1_81
	s_branch .LBB1_82
.LBB1_80:
	s_and_not1_saveexec_b32 s0, s1
	s_cbranch_execz .LBB1_82
.LBB1_81:
	s_mov_b32 s4, 0x6dc9c883
	s_mov_b32 s5, 0x3fe45f30
	;; [unrolled: 1-line block ×3, first 2 shown]
	v_mul_f64 v[9:10], |v[2:3]|, s[4:5]
	s_mov_b32 s4, 0x54442d18
	s_mov_b32 s5, 0xbff921fb
	;; [unrolled: 1-line block ×3, first 2 shown]
	s_delay_alu instid0(VALU_DEP_1) | instskip(NEXT) | instid1(VALU_DEP_1)
	v_rndne_f64_e32 v[13:14], v[9:10]
	v_fma_f64 v[9:10], v[13:14], s[4:5], |v[2:3]|
	v_mul_f64 v[11:12], v[13:14], s[6:7]
	s_mov_b32 s4, 0x252049c0
	s_mov_b32 s5, 0xb97b839a
	v_cvt_i32_f64_e32 v22, v[13:14]
	s_delay_alu instid0(VALU_DEP_3) | instskip(NEXT) | instid1(VALU_DEP_3)
	v_fma_f64 v[17:18], v[13:14], s[6:7], v[9:10]
	v_add_f64 v[15:16], v[9:10], v[11:12]
	s_mov_b32 s7, 0x3c91a626
	s_delay_alu instid0(VALU_DEP_1) | instskip(NEXT) | instid1(VALU_DEP_3)
	v_add_f64 v[9:10], v[9:10], -v[15:16]
	v_add_f64 v[15:16], v[15:16], -v[17:18]
	s_delay_alu instid0(VALU_DEP_2) | instskip(SKIP_1) | instid1(VALU_DEP_2)
	v_add_f64 v[9:10], v[9:10], v[11:12]
	v_fma_f64 v[11:12], v[13:14], s[6:7], v[11:12]
	v_add_f64 v[9:10], v[15:16], v[9:10]
	s_delay_alu instid0(VALU_DEP_1) | instskip(NEXT) | instid1(VALU_DEP_1)
	v_add_f64 v[9:10], v[9:10], -v[11:12]
	v_fma_f64 v[11:12], v[13:14], s[4:5], v[9:10]
	s_delay_alu instid0(VALU_DEP_1) | instskip(NEXT) | instid1(VALU_DEP_1)
	v_add_f64 v[9:10], v[17:18], v[11:12]
	v_add_f64 v[15:16], v[9:10], -v[17:18]
	s_delay_alu instid0(VALU_DEP_1)
	v_add_f64 v[11:12], v[11:12], -v[15:16]
.LBB1_82:
	s_or_b32 exec_lo, exec_lo, s0
	v_div_scale_f64 v[13:14], null, v[41:42], v[41:42], 0x40140000
	v_div_scale_f64 v[19:20], vcc_lo, 0x40140000, v[41:42], 0x40140000
	s_mov_b32 s0, 0x6b70ba40
	s_mov_b32 s1, 0x3faa27fa
	;; [unrolled: 1-line block ×6, first 2 shown]
	v_mul_f64 v[29:30], v[5:6], v[5:6]
	v_mul_f64 v[35:36], v[9:10], v[9:10]
	s_mov_b32 s8, 0x796cde01
	s_mov_b32 s9, 0x3ec71de3
	v_mul_f64 v[86:87], v[7:8], 0.5
	v_rcp_f64_e32 v[15:16], v[13:14]
	s_delay_alu instid0(VALU_DEP_3) | instskip(SKIP_1) | instid1(VALU_DEP_4)
	v_mul_f64 v[64:65], v[29:30], 0.5
	v_mul_f64 v[96:97], v[5:6], -v[29:30]
	v_mul_f64 v[102:103], v[9:10], -v[35:36]
	s_waitcnt_depctr 0xfff
	v_fma_f64 v[17:18], -v[13:14], v[15:16], 1.0
	v_add_f64 v[68:69], -v[64:65], 1.0
	s_delay_alu instid0(VALU_DEP_2) | instskip(NEXT) | instid1(VALU_DEP_2)
	v_fma_f64 v[15:16], v[15:16], v[17:18], v[15:16]
	v_add_f64 v[98:99], -v[68:69], 1.0
	s_delay_alu instid0(VALU_DEP_2) | instskip(NEXT) | instid1(VALU_DEP_2)
	v_fma_f64 v[17:18], -v[13:14], v[15:16], 1.0
	v_add_f64 v[64:65], v[98:99], -v[64:65]
	s_delay_alu instid0(VALU_DEP_2) | instskip(NEXT) | instid1(VALU_DEP_2)
	v_fma_f64 v[15:16], v[15:16], v[17:18], v[15:16]
	v_fma_f64 v[64:65], v[5:6], -v[7:8], v[64:65]
	s_delay_alu instid0(VALU_DEP_2) | instskip(NEXT) | instid1(VALU_DEP_1)
	v_mul_f64 v[17:18], v[19:20], v[15:16]
	v_fma_f64 v[13:14], -v[13:14], v[17:18], v[19:20]
	s_delay_alu instid0(VALU_DEP_1) | instskip(NEXT) | instid1(VALU_DEP_1)
	v_div_fmas_f64 v[13:14], v[13:14], v[15:16], v[17:18]
	v_div_fixup_f64 v[13:14], v[13:14], v[41:42], 0x40140000
	s_delay_alu instid0(VALU_DEP_1) | instskip(NEXT) | instid1(VALU_DEP_1)
	v_mul_f64 v[15:16], v[13:14], v[13:14]
	v_fma_f64 v[17:18], v[15:16], 0, s[0:1]
	s_mov_b32 s0, 0x4c6c651b
	s_mov_b32 s1, 0x3f48f92c
	v_fma_f64 v[19:20], v[15:16], 0, s[4:5]
	v_fma_f64 v[23:24], v[15:16], 0, s[0:1]
	s_mov_b32 s0, 0xc66d8fd6
	s_mov_b32 s1, 0x4013edb5
	v_fma_f64 v[25:26], v[15:16], 0, s[6:7]
	s_mov_b32 s4, 0x5948aa83
	s_mov_b32 s5, 0x3fb19fdd
	s_mov_b32 s6, 0xa20e5f6f
	s_mov_b32 s7, 0x409081cb
	s_delay_alu instid0(VALU_DEP_4) | instskip(SKIP_2) | instid1(VALU_DEP_4)
	v_fma_f64 v[17:18], v[15:16], v[17:18], s[0:1]
	s_mov_b32 s0, 0xa3fec4b6
	s_mov_b32 s1, 0x3fb2b948
	v_fma_f64 v[19:20], v[15:16], v[19:20], s[4:5]
	s_delay_alu instid0(VALU_DEP_4) | instskip(SKIP_2) | instid1(VALU_DEP_4)
	v_fma_f64 v[23:24], v[15:16], v[23:24], s[0:1]
	s_mov_b32 s0, 0x9acf1c67
	s_mov_b32 s1, 0x4052f4b9
	v_fma_f64 v[25:26], v[15:16], v[25:26], s[6:7]
	s_mov_b32 s4, 0xb850eed6
	s_mov_b32 s5, 0x3ff1aea9
	s_mov_b32 s6, 0x1bfdfe81
	s_mov_b32 s7, 0x40b37a69
	s_delay_alu instid0(VALU_DEP_4) | instskip(SKIP_2) | instid1(VALU_DEP_4)
	v_fma_f64 v[17:18], v[15:16], v[17:18], s[0:1]
	s_mov_b32 s0, 0xc21596d6
	s_mov_b32 s1, 0x3ff208fe
	v_fma_f64 v[19:20], v[15:16], v[19:20], s[4:5]
	s_delay_alu instid0(VALU_DEP_4) | instskip(SKIP_2) | instid1(VALU_DEP_4)
	;; [unrolled: 14-line block ×5, first 2 shown]
	v_fma_f64 v[23:24], v[15:16], v[23:24], s[0:1]
	s_mov_b32 s0, 0x4c54bb0b
	s_mov_b32 s1, 0x406a760a
	v_fma_f64 v[25:26], v[15:16], v[25:26], s[6:7]
	s_mov_b32 s4, 0x4d159eb5
	s_mov_b32 s5, 0x403934ff
	;; [unrolled: 1-line block ×4, first 2 shown]
	s_delay_alu instid0(VALU_DEP_4) | instskip(SKIP_2) | instid1(VALU_DEP_4)
	v_fma_f64 v[17:18], v[15:16], v[17:18], s[0:1]
	s_mov_b32 s0, 0x6ae75997
	s_mov_b32 s1, 0x4075017f
	v_fma_f64 v[19:20], v[15:16], v[19:20], 1.0
	s_delay_alu instid0(VALU_DEP_4) | instskip(NEXT) | instid1(VALU_DEP_4)
	v_fma_f64 v[23:24], v[15:16], v[23:24], 1.0
	v_fma_f64 v[25:26], v[15:16], v[25:26], s[0:1]
	s_mov_b32 s0, 0xb42fdfa7
	s_mov_b32 s1, 0xbe5ae600
	s_delay_alu instid0(VALU_DEP_4) | instskip(SKIP_2) | instid1(VALU_DEP_3)
	v_fma_f64 v[15:16], v[15:16], v[17:18], s[4:5]
	s_mov_b32 s4, 0xf9a43bb8
	s_mov_b32 s5, 0x3de5e0b2
	v_div_scale_f64 v[17:18], null, v[19:20], v[19:20], v[23:24]
	v_fma_f64 v[37:38], v[29:30], s[4:5], s[0:1]
	v_fma_f64 v[52:53], v[35:36], s[4:5], s[0:1]
	v_cmp_gt_f64_e64 s0, 0x10000000, v[41:42]
	s_mov_b32 s4, 0x9037ab78
	s_mov_b32 s5, 0x3e21eeb6
	v_div_scale_f64 v[100:101], vcc_lo, v[23:24], v[19:20], v[23:24]
	v_fma_f64 v[54:55], v[29:30], s[6:7], s[4:5]
	v_div_scale_f64 v[27:28], null, v[25:26], v[25:26], v[15:16]
	v_rcp_f64_e32 v[31:32], v[17:18]
	v_fma_f64 v[37:38], v[29:30], v[37:38], s[8:9]
	v_cndmask_b32_e64 v39, 0, 1, s0
	s_delay_alu instid0(VALU_DEP_1) | instskip(NEXT) | instid1(VALU_DEP_1)
	v_lshlrev_b32_e32 v39, 8, v39
	v_ldexp_f64 v[66:67], v[41:42], v39
	v_rcp_f64_e32 v[33:34], v[27:28]
	s_waitcnt_depctr 0xfff
	v_fma_f64 v[48:49], -v[17:18], v[31:32], 1.0
	v_rsq_f64_e32 v[84:85], v[66:67]
	v_fma_f64 v[50:51], -v[27:28], v[33:34], 1.0
	s_delay_alu instid0(VALU_DEP_2)
	v_fma_f64 v[31:32], v[31:32], v[48:49], v[31:32]
	v_fma_f64 v[48:49], v[35:36], v[52:53], s[8:9]
	;; [unrolled: 1-line block ×3, first 2 shown]
	s_mov_b32 s6, 0x19e83e5c
	s_mov_b32 s7, 0xbf2a01a0
	;; [unrolled: 1-line block ×3, first 2 shown]
	v_fma_f64 v[37:38], v[29:30], v[37:38], s[6:7]
	s_mov_b32 s5, 0xbe927e4f
	s_delay_alu instid0(SALU_CYCLE_1) | instskip(NEXT) | instid1(TRANS32_DEP_1)
	v_fma_f64 v[54:55], v[29:30], v[54:55], s[4:5]
	v_mul_f64 v[114:115], v[66:67], v[84:85]
	v_mul_f64 v[84:85], v[84:85], 0.5
	v_fma_f64 v[33:34], v[33:34], v[50:51], v[33:34]
	v_mul_f64 v[50:51], v[35:36], 0.5
	v_fma_f64 v[70:71], -v[17:18], v[31:32], 1.0
	v_fma_f64 v[48:49], v[35:36], v[48:49], s[6:7]
	v_fma_f64 v[52:53], v[35:36], v[52:53], s[4:5]
	s_mov_b32 s6, 0x11110bb3
	s_mov_b32 s7, 0x3f811111
	;; [unrolled: 1-line block ×3, first 2 shown]
	v_fma_f64 v[37:38], v[29:30], v[37:38], s[6:7]
	s_mov_b32 s5, 0x3efa01a0
	s_delay_alu instid0(SALU_CYCLE_1)
	v_fma_f64 v[54:55], v[29:30], v[54:55], s[4:5]
	v_fma_f64 v[80:81], -v[27:28], v[33:34], 1.0
	v_add_f64 v[82:83], -v[50:51], 1.0
	v_fma_f64 v[31:32], v[31:32], v[70:71], v[31:32]
	v_div_scale_f64 v[70:71], s1, v[15:16], v[25:26], v[15:16]
	v_fma_f64 v[48:49], v[35:36], v[48:49], s[6:7]
	v_fma_f64 v[52:53], v[35:36], v[52:53], s[4:5]
	s_mov_b32 s4, 0x16c16967
	v_fma_f64 v[37:38], v[96:97], v[37:38], v[86:87]
	s_mov_b32 s5, 0xbf56c16c
	s_delay_alu instid0(SALU_CYCLE_1)
	v_fma_f64 v[54:55], v[29:30], v[54:55], s[4:5]
	v_fma_f64 v[33:34], v[33:34], v[80:81], v[33:34]
	v_mul_f64 v[80:81], v[11:12], 0.5
	v_add_f64 v[112:113], -v[82:83], 1.0
	v_mul_f64 v[86:87], v[100:101], v[31:32]
	v_fma_f64 v[52:53], v[35:36], v[52:53], s[4:5]
	s_mov_b32 s4, 0x55555555
	v_fma_f64 v[7:8], v[29:30], v[37:38], -v[7:8]
	s_mov_b32 s5, 0x3fa55555
	v_mul_f64 v[37:38], v[35:36], v[35:36]
	v_fma_f64 v[54:55], v[29:30], v[54:55], s[4:5]
	v_mul_f64 v[98:99], v[70:71], v[33:34]
	v_fma_f64 v[48:49], v[102:103], v[48:49], v[80:81]
	v_add_f64 v[50:51], v[112:113], -v[50:51]
	v_fma_f64 v[112:113], -v[84:85], v[114:115], 0.5
	v_fma_f64 v[17:18], -v[17:18], v[86:87], v[100:101]
	v_mul_f64 v[80:81], v[29:30], v[29:30]
	v_fma_f64 v[27:28], -v[27:28], v[98:99], v[70:71]
	v_fma_f64 v[29:30], v[35:36], v[48:49], -v[11:12]
	v_fma_f64 v[35:36], v[35:36], v[52:53], s[4:5]
	v_fma_f64 v[11:12], v[9:10], -v[11:12], v[50:51]
	v_fma_f64 v[48:49], v[114:115], v[112:113], v[114:115]
	s_mov_b32 s5, 0xbfc55555
	v_div_fmas_f64 v[17:18], v[17:18], v[31:32], v[86:87]
	s_mov_b32 vcc_lo, s1
	v_fma_f64 v[7:8], v[96:97], s[4:5], v[7:8]
	v_fma_f64 v[50:51], v[80:81], v[54:55], v[64:65]
	;; [unrolled: 1-line block ×3, first 2 shown]
	v_cmp_class_f64_e64 s1, v[2:3], 0x1f8
	v_and_b32_e32 v2, 1, v22
	s_delay_alu instid0(VALU_DEP_1)
	v_cmp_eq_u32_e64 s2, 0, v2
	v_div_fmas_f64 v[27:28], v[27:28], v[33:34], v[98:99]
	v_fma_f64 v[29:30], v[102:103], s[4:5], v[29:30]
	v_fma_f64 v[11:12], v[37:38], v[35:36], v[11:12]
	v_fma_f64 v[33:34], -v[48:49], v[48:49], v[66:67]
	v_add_f64 v[5:6], v[5:6], -v[7:8]
	v_add_f64 v[35:36], v[68:69], v[50:51]
	v_div_fixup_f64 v[7:8], v[27:28], v[25:26], v[15:16]
	v_add_f64 v[9:10], v[9:10], -v[29:30]
	v_and_b32_e32 v25, 1, v21
	v_add_f64 v[11:12], v[82:83], v[11:12]
	v_fma_f64 v[15:16], v[33:34], v[31:32], v[48:49]
	s_delay_alu instid0(VALU_DEP_3)
	v_cmp_eq_u32_e32 vcc_lo, 0, v25
	v_cndmask_b32_e32 v5, v35, v5, vcc_lo
	v_mul_f64 v[7:8], v[13:14], v[7:8]
	v_lshlrev_b32_e32 v13, 30, v22
	v_xor_b32_e32 v10, 0x80000000, v10
	v_cndmask_b32_e64 v11, v9, v11, s2
	s_delay_alu instid0(VALU_DEP_3) | instskip(NEXT) | instid1(VALU_DEP_3)
	v_and_b32_e32 v2, 0x80000000, v13
	v_cndmask_b32_e64 v9, v10, v12, s2
	s_delay_alu instid0(VALU_DEP_3) | instskip(SKIP_1) | instid1(VALU_DEP_3)
	v_cndmask_b32_e64 v11, 0, v11, s1
	v_div_fixup_f64 v[13:14], v[17:18], v[19:20], v[23:24]
	v_xor_b32_e32 v12, v9, v2
	v_fma_f64 v[9:10], -v[15:16], v[15:16], v[66:67]
	v_cndmask_b32_e64 v2, 0, v5, s1
	v_lshlrev_b32_e32 v5, 30, v21
	s_delay_alu instid0(VALU_DEP_4) | instskip(NEXT) | instid1(VALU_DEP_2)
	v_cndmask_b32_e64 v12, 0x7ff80000, v12, s1
	v_xor_b32_e32 v3, v5, v3
	v_cndmask_b32_e32 v5, v36, v6, vcc_lo
	v_cmp_class_f64_e64 vcc_lo, v[66:67], 0x260
	s_delay_alu instid0(VALU_DEP_3) | instskip(NEXT) | instid1(VALU_DEP_1)
	v_and_b32_e32 v3, 0x80000000, v3
	v_xor_b32_e32 v3, v5, v3
	s_delay_alu instid0(VALU_DEP_1) | instskip(SKIP_2) | instid1(VALU_DEP_2)
	v_cndmask_b32_e64 v3, 0x7ff80000, v3, s1
	v_mul_f64 v[7:8], v[7:8], v[11:12]
	v_fma_f64 v[5:6], v[9:10], v[31:32], v[15:16]
	v_fma_f64 v[2:3], v[13:14], v[2:3], v[7:8]
	v_cndmask_b32_e64 v7, 0, 0xffffff80, s0
	s_mov_b32 s0, 0x33d43651
	s_mov_b32 s1, 0x3fe98845
	s_delay_alu instid0(VALU_DEP_1) | instskip(NEXT) | instid1(VALU_DEP_3)
	v_ldexp_f64 v[5:6], v[5:6], v7
	v_mul_f64 v[2:3], v[2:3], s[0:1]
	s_delay_alu instid0(VALU_DEP_2) | instskip(NEXT) | instid1(VALU_DEP_1)
	v_dual_cndmask_b32 v6, v6, v67 :: v_dual_cndmask_b32 v5, v5, v66
	v_div_scale_f64 v[7:8], null, v[5:6], v[5:6], v[2:3]
	s_delay_alu instid0(VALU_DEP_1) | instskip(SKIP_2) | instid1(VALU_DEP_1)
	v_rcp_f64_e32 v[9:10], v[7:8]
	s_waitcnt_depctr 0xfff
	v_fma_f64 v[11:12], -v[7:8], v[9:10], 1.0
	v_fma_f64 v[9:10], v[9:10], v[11:12], v[9:10]
	s_delay_alu instid0(VALU_DEP_1) | instskip(NEXT) | instid1(VALU_DEP_1)
	v_fma_f64 v[11:12], -v[7:8], v[9:10], 1.0
	v_fma_f64 v[9:10], v[9:10], v[11:12], v[9:10]
	v_div_scale_f64 v[11:12], vcc_lo, v[2:3], v[5:6], v[2:3]
	s_delay_alu instid0(VALU_DEP_1) | instskip(NEXT) | instid1(VALU_DEP_1)
	v_mul_f64 v[13:14], v[11:12], v[9:10]
	v_fma_f64 v[7:8], -v[7:8], v[13:14], v[11:12]
	s_delay_alu instid0(VALU_DEP_1) | instskip(NEXT) | instid1(VALU_DEP_1)
	v_div_fmas_f64 v[7:8], v[7:8], v[9:10], v[13:14]
	v_div_fixup_f64 v[78:79], v[7:8], v[5:6], v[2:3]
.LBB1_83:
	s_or_b32 exec_lo, exec_lo, s3
	s_delay_alu instid0(SALU_CYCLE_1) | instskip(SKIP_1) | instid1(SALU_CYCLE_1)
	s_or_b32 exec_lo, exec_lo, s37
	s_and_saveexec_b32 s0, s35
	s_xor_b32 s0, exec_lo, s0
	s_cbranch_execnz .LBB1_73
.LBB1_84:
	s_or_b32 exec_lo, exec_lo, s0
	s_delay_alu instid0(SALU_CYCLE_1)
	s_mov_b32 s0, exec_lo
	v_cmpx_lt_i32_e64 v47, v4
	s_cbranch_execz .LBB1_74
.LBB1_85:
	v_dual_mov_b32 v3, 0 :: v_dual_add_nc_u32 v2, s36, v47
	v_add_nc_u32_e32 v47, 0x100, v47
	s_delay_alu instid0(VALU_DEP_2) | instskip(NEXT) | instid1(VALU_DEP_1)
	v_lshlrev_b64 v[2:3], 3, v[2:3]
	v_add_co_u32 v2, vcc_lo, v0, v2
	s_delay_alu instid0(VALU_DEP_2) | instskip(SKIP_2) | instid1(SALU_CYCLE_1)
	v_add_co_ci_u32_e32 v3, vcc_lo, v1, v3, vcc_lo
	flat_store_b64 v[2:3], v[74:75]
	s_or_b32 exec_lo, exec_lo, s0
	s_mov_b32 s0, exec_lo
	v_cmpx_lt_i32_e64 v47, v4
	s_cbranch_execnz .LBB1_75
.LBB1_86:
	s_or_b32 exec_lo, exec_lo, s0
	s_delay_alu instid0(SALU_CYCLE_1)
	s_mov_b32 s0, exec_lo
	v_cmpx_lt_i32_e64 v47, v4
	s_cbranch_execz .LBB1_88
.LBB1_87:
	v_dual_mov_b32 v3, 0 :: v_dual_add_nc_u32 v2, s36, v47
	s_delay_alu instid0(VALU_DEP_1) | instskip(NEXT) | instid1(VALU_DEP_1)
	v_lshlrev_b64 v[2:3], 3, v[2:3]
	v_add_co_u32 v0, vcc_lo, v0, v2
	s_delay_alu instid0(VALU_DEP_2)
	v_add_co_ci_u32_e32 v1, vcc_lo, v1, v3, vcc_lo
	flat_store_b64 v[0:1], v[78:79]
.LBB1_88:
	s_or_b32 exec_lo, exec_lo, s0
	s_clause 0xc
	scratch_load_b32 v79, off, s33
	scratch_load_b32 v78, off, s33 offset:4
	scratch_load_b32 v77, off, s33 offset:8
	;; [unrolled: 1-line block ×12, first 2 shown]
	s_waitcnt lgkmcnt(0)
	s_clause 0x9
	scratch_load_b32 v57, off, s33 offset:52
	scratch_load_b32 v56, off, s33 offset:56
	;; [unrolled: 1-line block ×10, first 2 shown]
	v_readlane_b32 s30, v63, 7
	v_readlane_b32 s31, v63, 8
	;; [unrolled: 1-line block ×10, first 2 shown]
	s_or_saveexec_b32 s1, -1
	scratch_load_b32 v63, off, s33 offset:92 ; 4-byte Folded Reload
	s_mov_b32 exec_lo, s1
	s_addk_i32 s32, 0xff90
	s_mov_b32 s33, s0
	s_waitcnt vmcnt(0)
	s_setpc_b64 s[30:31]
.Lfunc_end1:
	.size	_ZN2at6native25elementwise_kernel_helperILb0EZZZNS0_12_GLOBAL__N_121bessel_y1_kernel_cudaERNS_18TensorIteratorBaseEENKUlvE_clEvENKUlvE_clEvEUldE_NS0_6memory8policies11unroll_baseILi256ESt5arrayIPcLm2EE23TrivialOffsetCalculatorILi1EjESF_NS8_15LoadWithoutCastENS8_16StoreWithoutCastELi4ELi1EEEEEvT0_T1_, .Lfunc_end1-_ZN2at6native25elementwise_kernel_helperILb0EZZZNS0_12_GLOBAL__N_121bessel_y1_kernel_cudaERNS_18TensorIteratorBaseEENKUlvE_clEvENKUlvE_clEvEUldE_NS0_6memory8policies11unroll_baseILi256ESt5arrayIPcLm2EE23TrivialOffsetCalculatorILi1EjESF_NS8_15LoadWithoutCastENS8_16StoreWithoutCastELi4ELi1EEEEEvT0_T1_
                                        ; -- End function
	.section	.AMDGPU.csdata,"",@progbits
; Function info:
; codeLenInByte = 24176
; NumSgprs: 43
; NumVgprs: 116
; ScratchSize: 128
; MemoryBound: 0
	.text
	.p2align	2                               ; -- Begin function _ZN2at6native25elementwise_kernel_helperILb0EZZZNS0_12_GLOBAL__N_121bessel_y1_kernel_cudaERNS_18TensorIteratorBaseEENKUlvE_clEvENKUlvE_clEvEUldE_NS0_6memory8policies10vectorizedILi4ESt5arrayIPcLm2EELi4EEEEEvT0_T1_
	.type	_ZN2at6native25elementwise_kernel_helperILb0EZZZNS0_12_GLOBAL__N_121bessel_y1_kernel_cudaERNS_18TensorIteratorBaseEENKUlvE_clEvENKUlvE_clEvEUldE_NS0_6memory8policies10vectorizedILi4ESt5arrayIPcLm2EELi4EEEEEvT0_T1_,@function
_ZN2at6native25elementwise_kernel_helperILb0EZZZNS0_12_GLOBAL__N_121bessel_y1_kernel_cudaERNS_18TensorIteratorBaseEENKUlvE_clEvENKUlvE_clEvEUldE_NS0_6memory8policies10vectorizedILi4ESt5arrayIPcLm2EELi4EEEEEvT0_T1_: ; @_ZN2at6native25elementwise_kernel_helperILb0EZZZNS0_12_GLOBAL__N_121bessel_y1_kernel_cudaERNS_18TensorIteratorBaseEENKUlvE_clEvENKUlvE_clEvEUldE_NS0_6memory8policies10vectorizedILi4ESt5arrayIPcLm2EELi4EEEEEvT0_T1_
; %bb.0:
	s_waitcnt vmcnt(0) expcnt(0) lgkmcnt(0)
	s_mov_b32 s0, s33
	s_mov_b32 s33, s32
	s_or_saveexec_b32 s1, -1
	scratch_store_b32 off, v72, s33 offset:64 ; 4-byte Folded Spill
	s_mov_b32 exec_lo, s1
	v_writelane_b32 v72, s0, 8
	s_addk_i32 s32, 0x50
	s_clause 0xf
	scratch_store_b32 off, v40, s33 offset:60
	; meta instruction
	scratch_store_b32 off, v41, s33 offset:56
	; meta instruction
	scratch_store_b32 off, v42, s33 offset:52
	; meta instruction
	scratch_store_b32 off, v43, s33 offset:48
	; meta instruction
	scratch_store_b32 off, v44, s33 offset:44
	; meta instruction
	scratch_store_b32 off, v45, s33 offset:40
	; meta instruction
	scratch_store_b32 off, v46, s33 offset:36
	; meta instruction
	scratch_store_b32 off, v47, s33 offset:32
	; meta instruction
	scratch_store_b32 off, v56, s33 offset:28
	; meta instruction
	scratch_store_b32 off, v57, s33 offset:24
	; meta instruction
	scratch_store_b32 off, v58, s33 offset:20
	; meta instruction
	scratch_store_b32 off, v59, s33 offset:16
	; meta instruction
	scratch_store_b32 off, v60, s33 offset:12
	; meta instruction
	scratch_store_b32 off, v61, s33 offset:8
	; meta instruction
	scratch_store_b32 off, v62, s33 offset:4
	; meta instruction
	scratch_store_b32 off, v63, s33
	v_writelane_b32 v72, s34, 0
	v_writelane_b32 v72, s35, 1
	;; [unrolled: 1-line block ×8, first 2 shown]
	s_lshl_b32 s0, s12, 10
	v_dual_mov_b32 v45, v1 :: v_dual_mov_b32 v46, v0
	v_and_b32_e32 v0, 0x3ff, v31
	s_ashr_i32 s1, s0, 31
                                        ; implicit-def: $vgpr60_vgpr61
	s_delay_alu instid0(SALU_CYCLE_1) | instskip(SKIP_1) | instid1(VALU_DEP_1)
	s_lshl_b64 s[36:37], s[0:1], 3
	s_mov_b32 s0, exec_lo
	v_lshlrev_b32_e32 v47, 5, v0
	v_add_co_u32 v0, vcc_lo, v2, s36
	v_add_co_ci_u32_e32 v1, vcc_lo, s37, v3, vcc_lo
	s_delay_alu instid0(VALU_DEP_2) | instskip(NEXT) | instid1(VALU_DEP_2)
	v_add_co_u32 v0, vcc_lo, v0, v47
	v_add_co_ci_u32_e32 v1, vcc_lo, 0, v1, vcc_lo
	s_clause 0x1
	flat_load_b128 v[56:59], v[0:1]
	flat_load_b128 v[41:44], v[0:1] offset:16
	s_waitcnt vmcnt(1) lgkmcnt(1)
	v_cmpx_ge_f64_e32 0x40140000, v[56:57]
	s_xor_b32 s35, exec_lo, s0
	s_cbranch_execz .LBB2_6
; %bb.1:
	v_mov_b32_e32 v60, 0
	v_mov_b32_e32 v61, 0xfff00000
	s_mov_b32 s38, exec_lo
	v_cmpx_neq_f64_e32 0, v[56:57]
	s_cbranch_execz .LBB2_5
; %bb.2:
	v_mov_b32_e32 v60, 0
	v_mov_b32_e32 v61, 0x7ff80000
	s_mov_b32 s39, exec_lo
	v_cmpx_nge_f64_e32 0, v[56:57]
	s_cbranch_execz .LBB2_4
; %bb.3:
	v_mul_f64 v[0:1], v[56:57], v[56:57]
	s_mov_b32 s0, 0xa93f7ac2
	s_mov_b32 s1, 0x40829269
	;; [unrolled: 1-line block ×4, first 2 shown]
	s_delay_alu instid0(VALU_DEP_1)
	v_fma_f64 v[2:3], v[0:1], 0, s[0:1]
	s_mov_b32 s0, 0xbe58ef7f
	s_mov_b32 s1, 0x410cc160
	s_delay_alu instid0(VALU_DEP_1) | instid1(SALU_CYCLE_1)
	v_fma_f64 v[2:3], v[0:1], v[2:3], s[0:1]
	s_mov_b32 s0, 0x62f9b6c5
	s_mov_b32 s1, 0x41d2d2be
	s_delay_alu instid0(SALU_CYCLE_1) | instskip(SKIP_2) | instid1(VALU_DEP_2)
	v_fma_f64 v[4:5], v[0:1], 0, s[0:1]
	s_mov_b32 s0, 0x58836521
	s_mov_b32 s1, 0xc262d72d
	v_fma_f64 v[2:3], v[0:1], v[2:3], s[2:3]
	s_mov_b32 s2, 0x906b7b83
	s_mov_b32 s3, 0x421178c3
	s_delay_alu instid0(VALU_DEP_2) | instskip(SKIP_2) | instid1(VALU_DEP_2)
	v_fma_f64 v[4:5], v[0:1], v[4:5], s[0:1]
	s_mov_b32 s0, 0xb0910fef
	s_mov_b32 s1, 0x42da0954
	v_fma_f64 v[2:3], v[0:1], v[2:3], s[2:3]
	s_mov_b32 s2, 0xfda99316
	s_mov_b32 s3, 0x428c3f5e
	s_delay_alu instid0(VALU_DEP_2) | instskip(SKIP_2) | instid1(VALU_DEP_2)
	;; [unrolled: 7-line block ×4, first 2 shown]
	v_fma_f64 v[4:5], v[0:1], v[4:5], s[0:1]
	s_mov_b32 s0, 0x5dde2b17
	s_mov_b32 s1, 0xc3a59e41
	v_fma_f64 v[2:3], v[0:1], v[2:3], s[2:3]
	s_mov_b32 s2, 0x90f6747f
	s_mov_b32 s3, 0x43cb90f1
	s_delay_alu instid0(VALU_DEP_2) | instskip(SKIP_3) | instid1(VALU_DEP_2)
	v_fma_f64 v[4:5], v[0:1], v[4:5], s[0:1]
	s_getpc_b64 s[0:1]
	s_add_u32 s0, s0, _Z17bessel_j1_forwardIdET_S0_@rel32@lo+4
	s_addc_u32 s1, s1, _Z17bessel_j1_forwardIdET_S0_@rel32@hi+12
	v_fma_f64 v[0:1], v[0:1], v[2:3], s[2:3]
	s_delay_alu instid0(VALU_DEP_1) | instskip(NEXT) | instid1(VALU_DEP_1)
	v_div_scale_f64 v[2:3], null, v[0:1], v[0:1], v[4:5]
	v_rcp_f64_e32 v[6:7], v[2:3]
	s_waitcnt_depctr 0xfff
	v_fma_f64 v[8:9], -v[2:3], v[6:7], 1.0
	s_delay_alu instid0(VALU_DEP_1) | instskip(NEXT) | instid1(VALU_DEP_1)
	v_fma_f64 v[6:7], v[6:7], v[8:9], v[6:7]
	v_fma_f64 v[8:9], -v[2:3], v[6:7], 1.0
	s_delay_alu instid0(VALU_DEP_1) | instskip(SKIP_1) | instid1(VALU_DEP_1)
	v_fma_f64 v[6:7], v[6:7], v[8:9], v[6:7]
	v_div_scale_f64 v[8:9], vcc_lo, v[4:5], v[0:1], v[4:5]
	v_mul_f64 v[10:11], v[8:9], v[6:7]
	s_delay_alu instid0(VALU_DEP_1) | instskip(NEXT) | instid1(VALU_DEP_1)
	v_fma_f64 v[2:3], -v[2:3], v[10:11], v[8:9]
	v_div_fmas_f64 v[2:3], v[2:3], v[6:7], v[10:11]
	s_delay_alu instid0(VALU_DEP_1)
	v_div_fixup_f64 v[60:61], v[2:3], v[0:1], v[4:5]
	v_dual_mov_b32 v0, v56 :: v_dual_mov_b32 v1, v57
	s_swappc_b64 s[30:31], s[0:1]
	v_frexp_mant_f64_e32 v[2:3], v[56:57]
	s_mov_b32 s1, 0x3fe55555
	s_mov_b32 s0, 0x55555555
	v_mov_b32_e32 v4, 0
	s_mov_b32 s2, 0x6b47b09a
	s_mov_b32 s4, 0xbf559e2b
	s_mov_b32 s3, 0x3fc38538
	s_mov_b32 s5, 0x3fc3ab76
	v_div_scale_f64 v[18:19], null, v[56:57], v[56:57], -1.0
	s_delay_alu instid0(VALU_DEP_3) | instskip(SKIP_1) | instid1(VALU_DEP_2)
	v_cmp_gt_f64_e32 vcc_lo, s[0:1], v[2:3]
	s_mov_b32 s0, 0x55555780
	v_rcp_f64_e32 v[22:23], v[18:19]
	v_cndmask_b32_e64 v5, 0x3ff00000, 2.0, vcc_lo
	s_delay_alu instid0(VALU_DEP_1) | instskip(NEXT) | instid1(VALU_DEP_1)
	v_mul_f64 v[2:3], v[2:3], v[4:5]
	v_add_f64 v[4:5], v[2:3], 1.0
	v_add_f64 v[10:11], v[2:3], -1.0
	s_delay_alu instid0(VALU_DEP_2) | instskip(SKIP_1) | instid1(VALU_DEP_1)
	v_rcp_f64_e32 v[6:7], v[4:5]
	v_add_f64 v[12:13], v[4:5], -1.0
	v_add_f64 v[2:3], v[2:3], -v[12:13]
	s_waitcnt_depctr 0xfff
	v_fma_f64 v[8:9], -v[4:5], v[6:7], 1.0
	s_delay_alu instid0(VALU_DEP_1) | instskip(NEXT) | instid1(VALU_DEP_1)
	v_fma_f64 v[6:7], v[8:9], v[6:7], v[6:7]
	v_fma_f64 v[8:9], -v[4:5], v[6:7], 1.0
	s_delay_alu instid0(VALU_DEP_1) | instskip(NEXT) | instid1(VALU_DEP_1)
	v_fma_f64 v[6:7], v[8:9], v[6:7], v[6:7]
	v_mul_f64 v[8:9], v[10:11], v[6:7]
	s_delay_alu instid0(VALU_DEP_1) | instskip(NEXT) | instid1(VALU_DEP_1)
	v_mul_f64 v[14:15], v[4:5], v[8:9]
	v_fma_f64 v[4:5], v[8:9], v[4:5], -v[14:15]
	s_delay_alu instid0(VALU_DEP_1) | instskip(NEXT) | instid1(VALU_DEP_1)
	v_fma_f64 v[2:3], v[8:9], v[2:3], v[4:5]
	v_add_f64 v[4:5], v[14:15], v[2:3]
	s_delay_alu instid0(VALU_DEP_1) | instskip(SKIP_1) | instid1(VALU_DEP_2)
	v_add_f64 v[12:13], v[10:11], -v[4:5]
	v_add_f64 v[14:15], v[4:5], -v[14:15]
	;; [unrolled: 1-line block ×3, first 2 shown]
	s_delay_alu instid0(VALU_DEP_2) | instskip(SKIP_1) | instid1(VALU_DEP_3)
	v_add_f64 v[2:3], v[14:15], -v[2:3]
	v_frexp_exp_i32_f64_e32 v14, v[56:57]
	v_add_f64 v[4:5], v[10:11], -v[4:5]
	s_delay_alu instid0(VALU_DEP_1) | instskip(NEXT) | instid1(VALU_DEP_1)
	v_add_f64 v[2:3], v[2:3], v[4:5]
	v_add_f64 v[2:3], v[12:13], v[2:3]
	s_delay_alu instid0(VALU_DEP_1) | instskip(NEXT) | instid1(VALU_DEP_1)
	v_mul_f64 v[2:3], v[6:7], v[2:3]
	v_add_f64 v[4:5], v[8:9], v[2:3]
	s_delay_alu instid0(VALU_DEP_1) | instskip(NEXT) | instid1(VALU_DEP_1)
	v_mul_f64 v[6:7], v[4:5], v[4:5]
	v_fma_f64 v[10:11], v[6:7], s[4:5], s[2:3]
	s_mov_b32 s2, 0xd7f4df2e
	s_mov_b32 s3, 0x3fc7474d
	v_mul_f64 v[12:13], v[4:5], v[6:7]
	s_delay_alu instid0(VALU_DEP_2)
	v_fma_f64 v[10:11], v[6:7], v[10:11], s[2:3]
	s_mov_b32 s2, 0x16291751
	s_mov_b32 s3, 0x3fcc71c0
	s_delay_alu instid0(VALU_DEP_1) | instid1(SALU_CYCLE_1)
	v_fma_f64 v[10:11], v[6:7], v[10:11], s[2:3]
	s_mov_b32 s2, 0x9b27acf1
	s_mov_b32 s3, 0x3fd24924
	s_delay_alu instid0(VALU_DEP_1) | instid1(SALU_CYCLE_1)
	;; [unrolled: 4-line block ×3, first 2 shown]
	v_fma_f64 v[10:11], v[6:7], v[10:11], s[2:3]
	s_delay_alu instid0(VALU_DEP_1) | instskip(SKIP_4) | instid1(VALU_DEP_3)
	v_fma_f64 v[6:7], v[6:7], v[10:11], s[0:1]
	v_ldexp_f64 v[10:11], v[4:5], 1
	v_add_f64 v[4:5], v[4:5], -v[8:9]
	s_mov_b32 s0, 0xfefa39ef
	s_mov_b32 s1, 0x3fe62e42
	v_mul_f64 v[6:7], v[12:13], v[6:7]
	v_subrev_co_ci_u32_e32 v12, vcc_lo, 0, v14, vcc_lo
	s_delay_alu instid0(VALU_DEP_3) | instskip(NEXT) | instid1(VALU_DEP_2)
	v_add_f64 v[2:3], v[2:3], -v[4:5]
	v_cvt_f64_i32_e32 v[12:13], v12
	s_delay_alu instid0(VALU_DEP_4) | instskip(NEXT) | instid1(VALU_DEP_3)
	v_add_f64 v[8:9], v[10:11], v[6:7]
	v_ldexp_f64 v[2:3], v[2:3], 1
	s_delay_alu instid0(VALU_DEP_3) | instskip(NEXT) | instid1(VALU_DEP_3)
	v_mul_f64 v[14:15], v[12:13], s[0:1]
	v_add_f64 v[4:5], v[8:9], -v[10:11]
	s_delay_alu instid0(VALU_DEP_2) | instskip(SKIP_2) | instid1(VALU_DEP_2)
	v_fma_f64 v[10:11], v[12:13], s[0:1], -v[14:15]
	s_mov_b32 s0, 0x3b39803f
	s_mov_b32 s1, 0x3c7abc9e
	v_add_f64 v[4:5], v[6:7], -v[4:5]
	s_delay_alu instid0(VALU_DEP_2) | instskip(SKIP_2) | instid1(VALU_DEP_2)
	v_fma_f64 v[6:7], v[12:13], s[0:1], v[10:11]
	s_mov_b32 s0, 0x6dc9c883
	s_mov_b32 s1, 0x3fe45f30
	v_add_f64 v[2:3], v[2:3], v[4:5]
	s_delay_alu instid0(VALU_DEP_2) | instskip(NEXT) | instid1(VALU_DEP_2)
	v_add_f64 v[4:5], v[14:15], v[6:7]
	v_add_f64 v[10:11], v[8:9], v[2:3]
	s_delay_alu instid0(VALU_DEP_2) | instskip(NEXT) | instid1(VALU_DEP_2)
	v_add_f64 v[14:15], v[4:5], -v[14:15]
	v_add_f64 v[12:13], v[4:5], v[10:11]
	v_add_f64 v[8:9], v[10:11], -v[8:9]
	s_delay_alu instid0(VALU_DEP_3) | instskip(NEXT) | instid1(VALU_DEP_3)
	v_add_f64 v[6:7], v[6:7], -v[14:15]
	v_add_f64 v[16:17], v[12:13], -v[4:5]
	s_delay_alu instid0(VALU_DEP_3) | instskip(NEXT) | instid1(VALU_DEP_2)
	v_add_f64 v[2:3], v[2:3], -v[8:9]
	v_add_f64 v[20:21], v[12:13], -v[16:17]
	;; [unrolled: 1-line block ×3, first 2 shown]
	v_fma_f64 v[10:11], -v[18:19], v[22:23], 1.0
	s_delay_alu instid0(VALU_DEP_4) | instskip(NEXT) | instid1(VALU_DEP_4)
	v_add_f64 v[14:15], v[6:7], v[2:3]
	v_add_f64 v[4:5], v[4:5], -v[20:21]
	s_delay_alu instid0(VALU_DEP_1) | instskip(NEXT) | instid1(VALU_DEP_4)
	v_add_f64 v[4:5], v[8:9], v[4:5]
	v_fma_f64 v[8:9], v[22:23], v[10:11], v[22:23]
	s_delay_alu instid0(VALU_DEP_4) | instskip(SKIP_1) | instid1(VALU_DEP_4)
	v_add_f64 v[10:11], v[14:15], -v[6:7]
	v_div_scale_f64 v[22:23], vcc_lo, -1.0, v[56:57], -1.0
	v_add_f64 v[4:5], v[14:15], v[4:5]
	s_delay_alu instid0(VALU_DEP_4) | instskip(NEXT) | instid1(VALU_DEP_4)
	v_fma_f64 v[16:17], -v[18:19], v[8:9], 1.0
	v_add_f64 v[14:15], v[14:15], -v[10:11]
	v_add_f64 v[2:3], v[2:3], -v[10:11]
	s_delay_alu instid0(VALU_DEP_4) | instskip(NEXT) | instid1(VALU_DEP_4)
	v_add_f64 v[20:21], v[12:13], v[4:5]
	v_fma_f64 v[8:9], v[8:9], v[16:17], v[8:9]
	s_delay_alu instid0(VALU_DEP_4) | instskip(NEXT) | instid1(VALU_DEP_3)
	v_add_f64 v[6:7], v[6:7], -v[14:15]
	v_add_f64 v[10:11], v[20:21], -v[12:13]
	s_delay_alu instid0(VALU_DEP_3) | instskip(NEXT) | instid1(VALU_DEP_3)
	v_mul_f64 v[12:13], v[22:23], v[8:9]
	v_add_f64 v[2:3], v[2:3], v[6:7]
	s_delay_alu instid0(VALU_DEP_3) | instskip(NEXT) | instid1(VALU_DEP_3)
	v_add_f64 v[4:5], v[4:5], -v[10:11]
	v_fma_f64 v[6:7], -v[18:19], v[12:13], v[22:23]
	s_delay_alu instid0(VALU_DEP_2) | instskip(NEXT) | instid1(VALU_DEP_2)
	v_add_f64 v[2:3], v[2:3], v[4:5]
	v_div_fmas_f64 v[4:5], v[6:7], v[8:9], v[12:13]
	s_delay_alu instid0(VALU_DEP_2) | instskip(NEXT) | instid1(VALU_DEP_2)
	v_add_f64 v[2:3], v[20:21], v[2:3]
	v_div_fixup_f64 v[4:5], v[4:5], v[56:57], -1.0
	s_delay_alu instid0(VALU_DEP_1) | instskip(NEXT) | instid1(VALU_DEP_1)
	v_fma_f64 v[0:1], v[2:3], v[0:1], v[4:5]
	v_mul_f64 v[0:1], v[0:1], s[0:1]
	s_delay_alu instid0(VALU_DEP_1)
	v_fma_f64 v[60:61], v[56:57], v[60:61], v[0:1]
.LBB2_4:
	s_or_b32 exec_lo, exec_lo, s39
.LBB2_5:
	s_delay_alu instid0(SALU_CYCLE_1)
	s_or_b32 exec_lo, exec_lo, s38
.LBB2_6:
	s_and_not1_saveexec_b32 s3, s35
	s_cbranch_execz .LBB2_16
; %bb.7:
	s_mov_b32 s0, 0x7f3321d2
	s_mov_b32 s1, 0xc002d97c
                                        ; implicit-def: $vgpr18
                                        ; implicit-def: $vgpr2_vgpr3
                                        ; implicit-def: $vgpr4_vgpr5
	s_delay_alu instid0(SALU_CYCLE_1) | instskip(NEXT) | instid1(VALU_DEP_1)
	v_add_f64 v[0:1], v[56:57], s[0:1]
	v_cmp_ngt_f64_e64 s1, 0x41d00000, |v[0:1]|
	v_trig_preop_f64 v[14:15], |v[0:1]|, 0
	v_trig_preop_f64 v[12:13], |v[0:1]|, 1
	v_ldexp_f64 v[16:17], |v[0:1]|, 0xffffff80
	v_trig_preop_f64 v[10:11], |v[0:1]|, 2
	v_and_b32_e32 v20, 0x7fffffff, v1
	s_and_saveexec_b32 s0, s1
	s_delay_alu instid0(SALU_CYCLE_1)
	s_xor_b32 s2, exec_lo, s0
	s_cbranch_execz .LBB2_9
; %bb.8:
	v_cmp_le_f64_e64 vcc_lo, 0x7b000000, |v[0:1]|
	v_mov_b32_e32 v31, 0
	s_mov_b32 s4, 0x54442d18
	s_mov_b32 s5, 0x3ff921fb
	;; [unrolled: 1-line block ×4, first 2 shown]
	v_cndmask_b32_e32 v3, v20, v17, vcc_lo
	v_cndmask_b32_e32 v2, v0, v16, vcc_lo
	s_delay_alu instid0(VALU_DEP_1) | instskip(SKIP_1) | instid1(VALU_DEP_2)
	v_mul_f64 v[4:5], v[14:15], v[2:3]
	v_mul_f64 v[6:7], v[12:13], v[2:3]
	v_fma_f64 v[8:9], v[14:15], v[2:3], -v[4:5]
	s_delay_alu instid0(VALU_DEP_2) | instskip(NEXT) | instid1(VALU_DEP_2)
	v_fma_f64 v[29:30], v[12:13], v[2:3], -v[6:7]
	v_add_f64 v[18:19], v[6:7], v[8:9]
	s_delay_alu instid0(VALU_DEP_1) | instskip(SKIP_1) | instid1(VALU_DEP_2)
	v_add_f64 v[21:22], v[18:19], -v[6:7]
	v_add_f64 v[25:26], v[4:5], v[18:19]
	v_add_f64 v[23:24], v[18:19], -v[21:22]
	v_add_f64 v[8:9], v[8:9], -v[21:22]
	s_delay_alu instid0(VALU_DEP_3) | instskip(SKIP_1) | instid1(VALU_DEP_4)
	v_ldexp_f64 v[21:22], v[25:26], -2
	v_add_f64 v[4:5], v[25:26], -v[4:5]
	v_add_f64 v[6:7], v[6:7], -v[23:24]
	s_delay_alu instid0(VALU_DEP_3) | instskip(NEXT) | instid1(VALU_DEP_3)
	v_cmp_neq_f64_e64 vcc_lo, 0x7ff00000, |v[21:22]|
	v_add_f64 v[4:5], v[18:19], -v[4:5]
	s_delay_alu instid0(VALU_DEP_3) | instskip(SKIP_1) | instid1(VALU_DEP_1)
	v_add_f64 v[6:7], v[8:9], v[6:7]
	v_fract_f64_e32 v[8:9], v[21:22]
	v_dual_cndmask_b32 v9, 0, v9 :: v_dual_cndmask_b32 v8, 0, v8
	v_mul_f64 v[27:28], v[10:11], v[2:3]
	s_delay_alu instid0(VALU_DEP_2) | instskip(NEXT) | instid1(VALU_DEP_2)
	v_ldexp_f64 v[8:9], v[8:9], 2
	v_add_f64 v[23:24], v[27:28], v[29:30]
	v_fma_f64 v[2:3], v[10:11], v[2:3], -v[27:28]
	s_delay_alu instid0(VALU_DEP_2) | instskip(NEXT) | instid1(VALU_DEP_1)
	v_add_f64 v[18:19], v[23:24], v[6:7]
	v_add_f64 v[21:22], v[4:5], v[18:19]
	s_delay_alu instid0(VALU_DEP_1) | instskip(SKIP_1) | instid1(VALU_DEP_2)
	v_add_f64 v[25:26], v[21:22], v[8:9]
	v_add_f64 v[4:5], v[21:22], -v[4:5]
	v_cmp_gt_f64_e32 vcc_lo, 0, v[25:26]
	v_add_f64 v[25:26], v[23:24], -v[27:28]
	s_delay_alu instid0(VALU_DEP_3) | instskip(SKIP_1) | instid1(VALU_DEP_3)
	v_add_f64 v[4:5], v[18:19], -v[4:5]
	v_cndmask_b32_e64 v32, 0, 0x40100000, vcc_lo
	v_add_f64 v[36:37], v[23:24], -v[25:26]
	v_add_f64 v[25:26], v[29:30], -v[25:26]
	s_delay_alu instid0(VALU_DEP_3) | instskip(SKIP_1) | instid1(VALU_DEP_4)
	v_add_f64 v[8:9], v[8:9], v[31:32]
	v_add_f64 v[32:33], v[18:19], -v[23:24]
	v_add_f64 v[29:30], v[27:28], -v[36:37]
	s_delay_alu instid0(VALU_DEP_3) | instskip(NEXT) | instid1(VALU_DEP_3)
	v_add_f64 v[34:35], v[21:22], v[8:9]
	v_add_f64 v[38:39], v[18:19], -v[32:33]
	v_add_f64 v[6:7], v[6:7], -v[32:33]
	s_delay_alu instid0(VALU_DEP_4) | instskip(NEXT) | instid1(VALU_DEP_4)
	v_add_f64 v[25:26], v[25:26], v[29:30]
	v_cvt_i32_f64_e32 v34, v[34:35]
	s_delay_alu instid0(VALU_DEP_4) | instskip(NEXT) | instid1(VALU_DEP_2)
	v_add_f64 v[23:24], v[23:24], -v[38:39]
	v_cvt_f64_i32_e32 v[32:33], v34
	s_delay_alu instid0(VALU_DEP_2) | instskip(NEXT) | instid1(VALU_DEP_2)
	v_add_f64 v[6:7], v[6:7], v[23:24]
	v_add_f64 v[8:9], v[8:9], -v[32:33]
	s_delay_alu instid0(VALU_DEP_2) | instskip(NEXT) | instid1(VALU_DEP_2)
	v_add_f64 v[6:7], v[25:26], v[6:7]
	v_add_f64 v[23:24], v[21:22], v[8:9]
	s_delay_alu instid0(VALU_DEP_2) | instskip(NEXT) | instid1(VALU_DEP_2)
	v_add_f64 v[2:3], v[2:3], v[6:7]
	v_add_f64 v[6:7], v[23:24], -v[8:9]
	v_cmp_le_f64_e32 vcc_lo, 0.5, v[23:24]
	s_delay_alu instid0(VALU_DEP_3) | instskip(NEXT) | instid1(VALU_DEP_3)
	v_add_f64 v[2:3], v[4:5], v[2:3]
	v_add_f64 v[4:5], v[21:22], -v[6:7]
	v_cndmask_b32_e64 v32, 0, 0x3ff00000, vcc_lo
	v_add_co_ci_u32_e64 v18, s0, 0, v34, vcc_lo
	s_delay_alu instid0(VALU_DEP_3) | instskip(NEXT) | instid1(VALU_DEP_3)
	v_add_f64 v[2:3], v[2:3], v[4:5]
	v_add_f64 v[4:5], v[23:24], -v[31:32]
	s_delay_alu instid0(VALU_DEP_1) | instskip(NEXT) | instid1(VALU_DEP_1)
	v_add_f64 v[6:7], v[4:5], v[2:3]
	v_mul_f64 v[8:9], v[6:7], s[4:5]
	v_add_f64 v[4:5], v[6:7], -v[4:5]
	s_delay_alu instid0(VALU_DEP_2) | instskip(NEXT) | instid1(VALU_DEP_2)
	v_fma_f64 v[21:22], v[6:7], s[4:5], -v[8:9]
	v_add_f64 v[2:3], v[2:3], -v[4:5]
	s_delay_alu instid0(VALU_DEP_2) | instskip(NEXT) | instid1(VALU_DEP_1)
	v_fma_f64 v[4:5], v[6:7], s[6:7], v[21:22]
	v_fma_f64 v[4:5], v[2:3], s[4:5], v[4:5]
	s_delay_alu instid0(VALU_DEP_1) | instskip(NEXT) | instid1(VALU_DEP_1)
	v_add_f64 v[2:3], v[8:9], v[4:5]
	v_add_f64 v[6:7], v[2:3], -v[8:9]
	s_delay_alu instid0(VALU_DEP_1)
	v_add_f64 v[4:5], v[4:5], -v[6:7]
	s_and_not1_saveexec_b32 s0, s2
	s_cbranch_execz .LBB2_11
	s_branch .LBB2_10
.LBB2_9:
	s_and_not1_saveexec_b32 s0, s2
	s_cbranch_execz .LBB2_11
.LBB2_10:
	s_mov_b32 s4, 0x6dc9c883
	s_mov_b32 s5, 0x3fe45f30
	s_mov_b32 s7, 0xbc91a626
	v_mul_f64 v[2:3], |v[0:1]|, s[4:5]
	s_mov_b32 s4, 0x54442d18
	s_mov_b32 s5, 0xbff921fb
	;; [unrolled: 1-line block ×3, first 2 shown]
	s_delay_alu instid0(VALU_DEP_1) | instskip(NEXT) | instid1(VALU_DEP_1)
	v_rndne_f64_e32 v[6:7], v[2:3]
	v_fma_f64 v[2:3], v[6:7], s[4:5], |v[0:1]|
	v_mul_f64 v[4:5], v[6:7], s[6:7]
	s_mov_b32 s4, 0x252049c0
	s_mov_b32 s5, 0xb97b839a
	s_delay_alu instid0(VALU_DEP_2) | instskip(NEXT) | instid1(VALU_DEP_2)
	v_fma_f64 v[18:19], v[6:7], s[6:7], v[2:3]
	v_add_f64 v[8:9], v[2:3], v[4:5]
	s_mov_b32 s7, 0x3c91a626
	s_delay_alu instid0(VALU_DEP_1) | instskip(NEXT) | instid1(VALU_DEP_3)
	v_add_f64 v[2:3], v[2:3], -v[8:9]
	v_add_f64 v[8:9], v[8:9], -v[18:19]
	s_delay_alu instid0(VALU_DEP_2) | instskip(SKIP_1) | instid1(VALU_DEP_2)
	v_add_f64 v[2:3], v[2:3], v[4:5]
	v_fma_f64 v[4:5], v[6:7], s[6:7], v[4:5]
	v_add_f64 v[2:3], v[8:9], v[2:3]
	s_delay_alu instid0(VALU_DEP_1) | instskip(NEXT) | instid1(VALU_DEP_1)
	v_add_f64 v[2:3], v[2:3], -v[4:5]
	v_fma_f64 v[4:5], v[6:7], s[4:5], v[2:3]
	s_delay_alu instid0(VALU_DEP_1) | instskip(NEXT) | instid1(VALU_DEP_1)
	v_add_f64 v[2:3], v[18:19], v[4:5]
	v_add_f64 v[8:9], v[2:3], -v[18:19]
	v_cvt_i32_f64_e32 v18, v[6:7]
	s_delay_alu instid0(VALU_DEP_2)
	v_add_f64 v[4:5], v[4:5], -v[8:9]
.LBB2_11:
	s_or_b32 exec_lo, exec_lo, s0
                                        ; implicit-def: $vgpr19
                                        ; implicit-def: $vgpr6_vgpr7
                                        ; implicit-def: $vgpr8_vgpr9
	s_and_saveexec_b32 s0, s1
	s_delay_alu instid0(SALU_CYCLE_1)
	s_xor_b32 s1, exec_lo, s0
	s_cbranch_execz .LBB2_13
; %bb.12:
	v_cmp_le_f64_e64 vcc_lo, 0x7b000000, |v[0:1]|
	v_mov_b32_e32 v29, 0
	s_mov_b32 s4, 0x54442d18
	s_mov_b32 s5, 0x3ff921fb
	;; [unrolled: 1-line block ×4, first 2 shown]
	v_cndmask_b32_e32 v7, v20, v17, vcc_lo
	v_cndmask_b32_e32 v6, v0, v16, vcc_lo
	s_delay_alu instid0(VALU_DEP_1) | instskip(SKIP_1) | instid1(VALU_DEP_2)
	v_mul_f64 v[8:9], v[14:15], v[6:7]
	v_mul_f64 v[16:17], v[12:13], v[6:7]
	v_fma_f64 v[14:15], v[14:15], v[6:7], -v[8:9]
	s_delay_alu instid0(VALU_DEP_2) | instskip(NEXT) | instid1(VALU_DEP_2)
	v_fma_f64 v[12:13], v[12:13], v[6:7], -v[16:17]
	v_add_f64 v[19:20], v[16:17], v[14:15]
	s_delay_alu instid0(VALU_DEP_1) | instskip(SKIP_1) | instid1(VALU_DEP_2)
	v_add_f64 v[21:22], v[19:20], -v[16:17]
	v_add_f64 v[25:26], v[8:9], v[19:20]
	v_add_f64 v[23:24], v[19:20], -v[21:22]
	v_add_f64 v[14:15], v[14:15], -v[21:22]
	s_delay_alu instid0(VALU_DEP_3) | instskip(SKIP_1) | instid1(VALU_DEP_4)
	v_ldexp_f64 v[21:22], v[25:26], -2
	v_add_f64 v[8:9], v[25:26], -v[8:9]
	v_add_f64 v[16:17], v[16:17], -v[23:24]
	s_delay_alu instid0(VALU_DEP_3) | instskip(NEXT) | instid1(VALU_DEP_3)
	v_cmp_neq_f64_e64 vcc_lo, 0x7ff00000, |v[21:22]|
	v_add_f64 v[8:9], v[19:20], -v[8:9]
	s_delay_alu instid0(VALU_DEP_3) | instskip(SKIP_1) | instid1(VALU_DEP_1)
	v_add_f64 v[14:15], v[14:15], v[16:17]
	v_fract_f64_e32 v[16:17], v[21:22]
	v_dual_cndmask_b32 v17, 0, v17 :: v_dual_cndmask_b32 v16, 0, v16
	v_mul_f64 v[27:28], v[10:11], v[6:7]
	s_delay_alu instid0(VALU_DEP_2) | instskip(NEXT) | instid1(VALU_DEP_2)
	v_ldexp_f64 v[16:17], v[16:17], 2
	v_add_f64 v[23:24], v[27:28], v[12:13]
	v_fma_f64 v[6:7], v[10:11], v[6:7], -v[27:28]
	s_delay_alu instid0(VALU_DEP_2) | instskip(NEXT) | instid1(VALU_DEP_1)
	v_add_f64 v[19:20], v[23:24], v[14:15]
	v_add_f64 v[21:22], v[8:9], v[19:20]
	s_delay_alu instid0(VALU_DEP_1) | instskip(SKIP_1) | instid1(VALU_DEP_2)
	v_add_f64 v[25:26], v[21:22], v[16:17]
	v_add_f64 v[8:9], v[21:22], -v[8:9]
	v_cmp_gt_f64_e32 vcc_lo, 0, v[25:26]
	v_add_f64 v[25:26], v[23:24], -v[27:28]
	s_delay_alu instid0(VALU_DEP_3) | instskip(SKIP_1) | instid1(VALU_DEP_3)
	v_add_f64 v[8:9], v[19:20], -v[8:9]
	v_cndmask_b32_e64 v30, 0, 0x40100000, vcc_lo
	v_add_f64 v[34:35], v[23:24], -v[25:26]
	v_add_f64 v[12:13], v[12:13], -v[25:26]
	s_delay_alu instid0(VALU_DEP_3) | instskip(SKIP_1) | instid1(VALU_DEP_4)
	v_add_f64 v[16:17], v[16:17], v[29:30]
	v_add_f64 v[30:31], v[19:20], -v[23:24]
	v_add_f64 v[25:26], v[27:28], -v[34:35]
	s_delay_alu instid0(VALU_DEP_3) | instskip(NEXT) | instid1(VALU_DEP_3)
	v_add_f64 v[32:33], v[21:22], v[16:17]
	v_add_f64 v[36:37], v[19:20], -v[30:31]
	v_add_f64 v[14:15], v[14:15], -v[30:31]
	s_delay_alu instid0(VALU_DEP_4) | instskip(NEXT) | instid1(VALU_DEP_4)
	v_add_f64 v[12:13], v[12:13], v[25:26]
	v_cvt_i32_f64_e32 v32, v[32:33]
	s_delay_alu instid0(VALU_DEP_4) | instskip(NEXT) | instid1(VALU_DEP_2)
	v_add_f64 v[23:24], v[23:24], -v[36:37]
	v_cvt_f64_i32_e32 v[30:31], v32
	s_delay_alu instid0(VALU_DEP_2) | instskip(NEXT) | instid1(VALU_DEP_2)
	v_add_f64 v[14:15], v[14:15], v[23:24]
	v_add_f64 v[16:17], v[16:17], -v[30:31]
	s_delay_alu instid0(VALU_DEP_2) | instskip(NEXT) | instid1(VALU_DEP_2)
	v_add_f64 v[10:11], v[12:13], v[14:15]
	v_add_f64 v[12:13], v[21:22], v[16:17]
	s_delay_alu instid0(VALU_DEP_2) | instskip(NEXT) | instid1(VALU_DEP_2)
	v_add_f64 v[6:7], v[6:7], v[10:11]
	v_add_f64 v[10:11], v[12:13], -v[16:17]
	v_cmp_le_f64_e32 vcc_lo, 0.5, v[12:13]
	s_delay_alu instid0(VALU_DEP_3) | instskip(NEXT) | instid1(VALU_DEP_3)
	v_add_f64 v[6:7], v[8:9], v[6:7]
	v_add_f64 v[8:9], v[21:22], -v[10:11]
	v_cndmask_b32_e64 v30, 0, 0x3ff00000, vcc_lo
	v_add_co_ci_u32_e64 v19, s0, 0, v32, vcc_lo
	s_delay_alu instid0(VALU_DEP_3) | instskip(NEXT) | instid1(VALU_DEP_3)
	v_add_f64 v[6:7], v[6:7], v[8:9]
	v_add_f64 v[8:9], v[12:13], -v[29:30]
	s_delay_alu instid0(VALU_DEP_1) | instskip(NEXT) | instid1(VALU_DEP_1)
	v_add_f64 v[10:11], v[8:9], v[6:7]
	v_mul_f64 v[12:13], v[10:11], s[4:5]
	v_add_f64 v[8:9], v[10:11], -v[8:9]
	s_delay_alu instid0(VALU_DEP_2) | instskip(NEXT) | instid1(VALU_DEP_2)
	v_fma_f64 v[14:15], v[10:11], s[4:5], -v[12:13]
	v_add_f64 v[6:7], v[6:7], -v[8:9]
	s_delay_alu instid0(VALU_DEP_2) | instskip(NEXT) | instid1(VALU_DEP_1)
	v_fma_f64 v[8:9], v[10:11], s[6:7], v[14:15]
	v_fma_f64 v[8:9], v[6:7], s[4:5], v[8:9]
	s_delay_alu instid0(VALU_DEP_1) | instskip(NEXT) | instid1(VALU_DEP_1)
	v_add_f64 v[6:7], v[12:13], v[8:9]
	v_add_f64 v[10:11], v[6:7], -v[12:13]
	s_delay_alu instid0(VALU_DEP_1)
	v_add_f64 v[8:9], v[8:9], -v[10:11]
	s_and_not1_saveexec_b32 s0, s1
	s_cbranch_execnz .LBB2_14
	s_branch .LBB2_15
.LBB2_13:
	s_and_not1_saveexec_b32 s0, s1
	s_cbranch_execz .LBB2_15
.LBB2_14:
	s_mov_b32 s4, 0x6dc9c883
	s_mov_b32 s5, 0x3fe45f30
	;; [unrolled: 1-line block ×3, first 2 shown]
	v_mul_f64 v[6:7], |v[0:1]|, s[4:5]
	s_mov_b32 s4, 0x54442d18
	s_mov_b32 s5, 0xbff921fb
	;; [unrolled: 1-line block ×3, first 2 shown]
	s_delay_alu instid0(VALU_DEP_1) | instskip(NEXT) | instid1(VALU_DEP_1)
	v_rndne_f64_e32 v[10:11], v[6:7]
	v_fma_f64 v[6:7], v[10:11], s[4:5], |v[0:1]|
	v_mul_f64 v[8:9], v[10:11], s[6:7]
	s_mov_b32 s4, 0x252049c0
	s_mov_b32 s5, 0xb97b839a
	v_cvt_i32_f64_e32 v19, v[10:11]
	s_delay_alu instid0(VALU_DEP_3) | instskip(NEXT) | instid1(VALU_DEP_3)
	v_fma_f64 v[14:15], v[10:11], s[6:7], v[6:7]
	v_add_f64 v[12:13], v[6:7], v[8:9]
	s_mov_b32 s7, 0x3c91a626
	s_delay_alu instid0(VALU_DEP_1) | instskip(NEXT) | instid1(VALU_DEP_3)
	v_add_f64 v[6:7], v[6:7], -v[12:13]
	v_add_f64 v[12:13], v[12:13], -v[14:15]
	s_delay_alu instid0(VALU_DEP_2) | instskip(SKIP_1) | instid1(VALU_DEP_2)
	v_add_f64 v[6:7], v[6:7], v[8:9]
	v_fma_f64 v[8:9], v[10:11], s[6:7], v[8:9]
	v_add_f64 v[6:7], v[12:13], v[6:7]
	s_delay_alu instid0(VALU_DEP_1) | instskip(NEXT) | instid1(VALU_DEP_1)
	v_add_f64 v[6:7], v[6:7], -v[8:9]
	v_fma_f64 v[8:9], v[10:11], s[4:5], v[6:7]
	s_delay_alu instid0(VALU_DEP_1) | instskip(NEXT) | instid1(VALU_DEP_1)
	v_add_f64 v[6:7], v[14:15], v[8:9]
	v_add_f64 v[12:13], v[6:7], -v[14:15]
	s_delay_alu instid0(VALU_DEP_1)
	v_add_f64 v[8:9], v[8:9], -v[12:13]
.LBB2_15:
	s_or_b32 exec_lo, exec_lo, s0
	v_div_scale_f64 v[10:11], null, v[56:57], v[56:57], 0x40140000
	v_div_scale_f64 v[16:17], vcc_lo, 0x40140000, v[56:57], 0x40140000
	s_mov_b32 s0, 0x6b70ba40
	s_mov_b32 s1, 0x3faa27fa
	;; [unrolled: 1-line block ×6, first 2 shown]
	v_mul_f64 v[26:27], v[2:3], v[2:3]
	v_mul_f64 v[32:33], v[6:7], v[6:7]
	s_mov_b32 s8, 0x796cde01
	s_mov_b32 s9, 0x3ec71de3
	v_mul_f64 v[82:83], v[4:5], 0.5
	v_rcp_f64_e32 v[12:13], v[10:11]
	s_delay_alu instid0(VALU_DEP_3) | instskip(SKIP_1) | instid1(VALU_DEP_4)
	v_mul_f64 v[52:53], v[26:27], 0.5
	v_mul_f64 v[84:85], v[2:3], -v[26:27]
	v_mul_f64 v[98:99], v[6:7], -v[32:33]
	s_waitcnt_depctr 0xfff
	v_fma_f64 v[14:15], -v[10:11], v[12:13], 1.0
	v_add_f64 v[64:65], -v[52:53], 1.0
	s_delay_alu instid0(VALU_DEP_2) | instskip(NEXT) | instid1(VALU_DEP_2)
	v_fma_f64 v[12:13], v[12:13], v[14:15], v[12:13]
	v_add_f64 v[86:87], -v[64:65], 1.0
	s_delay_alu instid0(VALU_DEP_2) | instskip(NEXT) | instid1(VALU_DEP_2)
	v_fma_f64 v[14:15], -v[10:11], v[12:13], 1.0
	v_add_f64 v[52:53], v[86:87], -v[52:53]
	s_delay_alu instid0(VALU_DEP_2) | instskip(NEXT) | instid1(VALU_DEP_2)
	v_fma_f64 v[12:13], v[12:13], v[14:15], v[12:13]
	v_fma_f64 v[52:53], v[2:3], -v[4:5], v[52:53]
	s_delay_alu instid0(VALU_DEP_2) | instskip(NEXT) | instid1(VALU_DEP_1)
	v_mul_f64 v[14:15], v[16:17], v[12:13]
	v_fma_f64 v[10:11], -v[10:11], v[14:15], v[16:17]
	s_delay_alu instid0(VALU_DEP_1) | instskip(NEXT) | instid1(VALU_DEP_1)
	v_div_fmas_f64 v[10:11], v[10:11], v[12:13], v[14:15]
	v_div_fixup_f64 v[10:11], v[10:11], v[56:57], 0x40140000
	s_delay_alu instid0(VALU_DEP_1) | instskip(NEXT) | instid1(VALU_DEP_1)
	v_mul_f64 v[12:13], v[10:11], v[10:11]
	v_fma_f64 v[14:15], v[12:13], 0, s[0:1]
	s_mov_b32 s0, 0x4c6c651b
	s_mov_b32 s1, 0x3f48f92c
	v_fma_f64 v[16:17], v[12:13], 0, s[4:5]
	v_fma_f64 v[20:21], v[12:13], 0, s[0:1]
	s_mov_b32 s0, 0xc66d8fd6
	s_mov_b32 s1, 0x4013edb5
	v_fma_f64 v[22:23], v[12:13], 0, s[6:7]
	s_mov_b32 s4, 0x5948aa83
	s_mov_b32 s5, 0x3fb19fdd
	s_mov_b32 s6, 0xa20e5f6f
	s_mov_b32 s7, 0x409081cb
	s_delay_alu instid0(VALU_DEP_4) | instskip(SKIP_2) | instid1(VALU_DEP_4)
	v_fma_f64 v[14:15], v[12:13], v[14:15], s[0:1]
	s_mov_b32 s0, 0xa3fec4b6
	s_mov_b32 s1, 0x3fb2b948
	v_fma_f64 v[16:17], v[12:13], v[16:17], s[4:5]
	s_delay_alu instid0(VALU_DEP_4) | instskip(SKIP_2) | instid1(VALU_DEP_4)
	v_fma_f64 v[20:21], v[12:13], v[20:21], s[0:1]
	s_mov_b32 s0, 0x9acf1c67
	s_mov_b32 s1, 0x4052f4b9
	v_fma_f64 v[22:23], v[12:13], v[22:23], s[6:7]
	s_mov_b32 s4, 0xb850eed6
	s_mov_b32 s5, 0x3ff1aea9
	s_mov_b32 s6, 0x1bfdfe81
	s_mov_b32 s7, 0x40b37a69
	s_delay_alu instid0(VALU_DEP_4) | instskip(SKIP_2) | instid1(VALU_DEP_4)
	v_fma_f64 v[14:15], v[12:13], v[14:15], s[0:1]
	s_mov_b32 s0, 0xc21596d6
	s_mov_b32 s1, 0x3ff208fe
	v_fma_f64 v[16:17], v[12:13], v[16:17], s[4:5]
	s_delay_alu instid0(VALU_DEP_4) | instskip(SKIP_2) | instid1(VALU_DEP_4)
	;; [unrolled: 14-line block ×5, first 2 shown]
	v_fma_f64 v[20:21], v[12:13], v[20:21], s[0:1]
	s_mov_b32 s0, 0x4c54bb0b
	s_mov_b32 s1, 0x406a760a
	v_fma_f64 v[22:23], v[12:13], v[22:23], s[6:7]
	s_mov_b32 s4, 0x4d159eb5
	s_mov_b32 s5, 0x403934ff
	;; [unrolled: 1-line block ×4, first 2 shown]
	s_delay_alu instid0(VALU_DEP_4) | instskip(SKIP_2) | instid1(VALU_DEP_4)
	v_fma_f64 v[14:15], v[12:13], v[14:15], s[0:1]
	s_mov_b32 s0, 0x6ae75997
	s_mov_b32 s1, 0x4075017f
	v_fma_f64 v[16:17], v[12:13], v[16:17], 1.0
	s_delay_alu instid0(VALU_DEP_4) | instskip(NEXT) | instid1(VALU_DEP_4)
	v_fma_f64 v[20:21], v[12:13], v[20:21], 1.0
	v_fma_f64 v[22:23], v[12:13], v[22:23], s[0:1]
	s_mov_b32 s0, 0xb42fdfa7
	s_mov_b32 s1, 0xbe5ae600
	s_delay_alu instid0(VALU_DEP_4) | instskip(SKIP_2) | instid1(VALU_DEP_3)
	v_fma_f64 v[12:13], v[12:13], v[14:15], s[4:5]
	s_mov_b32 s4, 0xf9a43bb8
	s_mov_b32 s5, 0x3de5e0b2
	v_div_scale_f64 v[14:15], null, v[16:17], v[16:17], v[20:21]
	v_fma_f64 v[34:35], v[26:27], s[4:5], s[0:1]
	v_fma_f64 v[48:49], v[32:33], s[4:5], s[0:1]
	v_cmp_gt_f64_e64 s0, 0x10000000, v[56:57]
	s_mov_b32 s4, 0x9037ab78
	s_mov_b32 s5, 0x3e21eeb6
	v_div_scale_f64 v[96:97], vcc_lo, v[20:21], v[16:17], v[20:21]
	v_fma_f64 v[50:51], v[26:27], s[6:7], s[4:5]
	v_div_scale_f64 v[24:25], null, v[22:23], v[22:23], v[12:13]
	v_rcp_f64_e32 v[28:29], v[14:15]
	v_fma_f64 v[34:35], v[26:27], v[34:35], s[8:9]
	s_delay_alu instid0(VALU_DEP_2) | instskip(SKIP_3) | instid1(VALU_DEP_2)
	v_rcp_f64_e32 v[30:31], v[24:25]
	s_waitcnt_depctr 0xfff
	v_fma_f64 v[36:37], -v[14:15], v[28:29], 1.0
	v_fma_f64 v[38:39], -v[24:25], v[30:31], 1.0
	v_fma_f64 v[28:29], v[28:29], v[36:37], v[28:29]
	v_fma_f64 v[36:37], v[32:33], v[48:49], s[8:9]
	;; [unrolled: 1-line block ×3, first 2 shown]
	s_mov_b32 s6, 0x19e83e5c
	s_mov_b32 s7, 0xbf2a01a0
	;; [unrolled: 1-line block ×3, first 2 shown]
	v_fma_f64 v[34:35], v[26:27], v[34:35], s[6:7]
	s_mov_b32 s5, 0xbe927e4f
	s_delay_alu instid0(SALU_CYCLE_1) | instskip(SKIP_4) | instid1(VALU_DEP_3)
	v_fma_f64 v[50:51], v[26:27], v[50:51], s[4:5]
	v_fma_f64 v[30:31], v[30:31], v[38:39], v[30:31]
	v_cndmask_b32_e64 v38, 0, 1, s0
	v_fma_f64 v[66:67], -v[14:15], v[28:29], 1.0
	v_fma_f64 v[36:37], v[32:33], v[36:37], s[6:7]
	v_lshlrev_b32_e32 v54, 8, v38
	v_mul_f64 v[38:39], v[32:33], 0.5
	v_fma_f64 v[48:49], v[32:33], v[48:49], s[4:5]
	s_mov_b32 s6, 0x11110bb3
	s_mov_b32 s7, 0x3f811111
	v_ldexp_f64 v[54:55], v[56:57], v54
	v_fma_f64 v[34:35], v[26:27], v[34:35], s[6:7]
	s_mov_b32 s4, 0x19f4ec90
	s_mov_b32 s5, 0x3efa01a0
	s_delay_alu instid0(SALU_CYCLE_1)
	v_fma_f64 v[50:51], v[26:27], v[50:51], s[4:5]
	v_fma_f64 v[68:69], -v[24:25], v[30:31], 1.0
	v_fma_f64 v[28:29], v[28:29], v[66:67], v[28:29]
	v_div_scale_f64 v[66:67], s1, v[12:13], v[22:23], v[12:13]
	v_add_f64 v[70:71], -v[38:39], 1.0
	v_fma_f64 v[36:37], v[32:33], v[36:37], s[6:7]
	v_fma_f64 v[48:49], v[32:33], v[48:49], s[4:5]
	s_mov_b32 s4, 0x16c16967
	v_rsq_f64_e32 v[80:81], v[54:55]
	v_fma_f64 v[34:35], v[84:85], v[34:35], v[82:83]
	s_mov_b32 s5, 0xbf56c16c
	s_delay_alu instid0(SALU_CYCLE_1)
	v_fma_f64 v[50:51], v[26:27], v[50:51], s[4:5]
	v_fma_f64 v[30:31], v[30:31], v[68:69], v[30:31]
	v_mul_f64 v[68:69], v[8:9], 0.5
	v_mul_f64 v[82:83], v[96:97], v[28:29]
	v_add_f64 v[100:101], -v[70:71], 1.0
	v_fma_f64 v[48:49], v[32:33], v[48:49], s[4:5]
	s_mov_b32 s4, 0x55555555
	s_mov_b32 s5, 0x3fa55555
	v_fma_f64 v[4:5], v[26:27], v[34:35], -v[4:5]
	s_delay_alu instid0(TRANS32_DEP_1)
	v_mul_f64 v[102:103], v[54:55], v[80:81]
	v_mul_f64 v[80:81], v[80:81], 0.5
	v_mul_f64 v[34:35], v[32:33], v[32:33]
	v_fma_f64 v[50:51], v[26:27], v[50:51], s[4:5]
	v_mul_f64 v[86:87], v[66:67], v[30:31]
	v_fma_f64 v[36:37], v[98:99], v[36:37], v[68:69]
	v_mul_f64 v[68:69], v[26:27], v[26:27]
	v_fma_f64 v[14:15], -v[14:15], v[82:83], v[96:97]
	v_add_f64 v[38:39], v[100:101], -v[38:39]
	v_fma_f64 v[100:101], -v[80:81], v[102:103], 0.5
	v_fma_f64 v[24:25], -v[24:25], v[86:87], v[66:67]
	v_fma_f64 v[26:27], v[32:33], v[36:37], -v[8:9]
	v_fma_f64 v[32:33], v[32:33], v[48:49], s[4:5]
	s_mov_b32 s5, 0xbfc55555
	v_div_fmas_f64 v[14:15], v[14:15], v[28:29], v[82:83]
	s_mov_b32 vcc_lo, s1
	v_fma_f64 v[4:5], v[84:85], s[4:5], v[4:5]
	v_fma_f64 v[8:9], v[6:7], -v[8:9], v[38:39]
	v_fma_f64 v[38:39], v[68:69], v[50:51], v[52:53]
	v_cmp_class_f64_e64 s1, v[0:1], 0x1f8
	v_and_b32_e32 v0, 1, v19
	v_fma_f64 v[36:37], v[102:103], v[100:101], v[102:103]
	v_fma_f64 v[28:29], v[80:81], v[100:101], v[80:81]
	s_delay_alu instid0(VALU_DEP_3)
	v_cmp_eq_u32_e64 s2, 0, v0
	v_div_fmas_f64 v[24:25], v[24:25], v[30:31], v[86:87]
	v_fma_f64 v[26:27], v[98:99], s[4:5], v[26:27]
	v_add_f64 v[2:3], v[2:3], -v[4:5]
	v_fma_f64 v[8:9], v[34:35], v[32:33], v[8:9]
	v_add_f64 v[32:33], v[64:65], v[38:39]
	v_fma_f64 v[30:31], -v[36:37], v[36:37], v[54:55]
	v_div_fixup_f64 v[4:5], v[24:25], v[22:23], v[12:13]
	v_add_f64 v[6:7], v[6:7], -v[26:27]
	v_and_b32_e32 v22, 1, v18
	v_add_f64 v[8:9], v[70:71], v[8:9]
	s_delay_alu instid0(VALU_DEP_2)
	v_cmp_eq_u32_e32 vcc_lo, 0, v22
	v_cndmask_b32_e32 v2, v32, v2, vcc_lo
	v_fma_f64 v[12:13], v[30:31], v[28:29], v[36:37]
	v_mul_f64 v[4:5], v[10:11], v[4:5]
	v_lshlrev_b32_e32 v10, 30, v19
	v_xor_b32_e32 v7, 0x80000000, v7
	s_delay_alu instid0(VALU_DEP_2) | instskip(SKIP_1) | instid1(VALU_DEP_3)
	v_and_b32_e32 v0, 0x80000000, v10
	v_cndmask_b32_e64 v8, v6, v8, s2
	v_cndmask_b32_e64 v6, v7, v9, s2
	v_div_fixup_f64 v[10:11], v[14:15], v[16:17], v[20:21]
	s_delay_alu instid0(VALU_DEP_3) | instskip(NEXT) | instid1(VALU_DEP_3)
	v_cndmask_b32_e64 v8, 0, v8, s1
	v_xor_b32_e32 v9, v6, v0
	v_fma_f64 v[6:7], -v[12:13], v[12:13], v[54:55]
	v_cndmask_b32_e64 v0, 0, v2, s1
	v_lshlrev_b32_e32 v2, 30, v18
	s_delay_alu instid0(VALU_DEP_4) | instskip(NEXT) | instid1(VALU_DEP_2)
	v_cndmask_b32_e64 v9, 0x7ff80000, v9, s1
	v_xor_b32_e32 v1, v2, v1
	v_cndmask_b32_e32 v2, v33, v3, vcc_lo
	v_cmp_class_f64_e64 vcc_lo, v[54:55], 0x260
	s_delay_alu instid0(VALU_DEP_3) | instskip(NEXT) | instid1(VALU_DEP_1)
	v_and_b32_e32 v1, 0x80000000, v1
	v_xor_b32_e32 v1, v2, v1
	s_delay_alu instid0(VALU_DEP_1) | instskip(SKIP_2) | instid1(VALU_DEP_2)
	v_cndmask_b32_e64 v1, 0x7ff80000, v1, s1
	v_mul_f64 v[4:5], v[4:5], v[8:9]
	v_fma_f64 v[2:3], v[6:7], v[28:29], v[12:13]
	v_fma_f64 v[0:1], v[10:11], v[0:1], v[4:5]
	v_cndmask_b32_e64 v4, 0, 0xffffff80, s0
	s_mov_b32 s0, 0x33d43651
	s_mov_b32 s1, 0x3fe98845
	s_delay_alu instid0(VALU_DEP_1) | instskip(NEXT) | instid1(VALU_DEP_3)
	v_ldexp_f64 v[2:3], v[2:3], v4
	v_mul_f64 v[0:1], v[0:1], s[0:1]
	s_delay_alu instid0(VALU_DEP_2) | instskip(NEXT) | instid1(VALU_DEP_1)
	v_dual_cndmask_b32 v3, v3, v55 :: v_dual_cndmask_b32 v2, v2, v54
	v_div_scale_f64 v[4:5], null, v[2:3], v[2:3], v[0:1]
	s_delay_alu instid0(VALU_DEP_1) | instskip(SKIP_2) | instid1(VALU_DEP_1)
	v_rcp_f64_e32 v[6:7], v[4:5]
	s_waitcnt_depctr 0xfff
	v_fma_f64 v[8:9], -v[4:5], v[6:7], 1.0
	v_fma_f64 v[6:7], v[6:7], v[8:9], v[6:7]
	s_delay_alu instid0(VALU_DEP_1) | instskip(NEXT) | instid1(VALU_DEP_1)
	v_fma_f64 v[8:9], -v[4:5], v[6:7], 1.0
	v_fma_f64 v[6:7], v[6:7], v[8:9], v[6:7]
	v_div_scale_f64 v[8:9], vcc_lo, v[0:1], v[2:3], v[0:1]
	s_delay_alu instid0(VALU_DEP_1) | instskip(NEXT) | instid1(VALU_DEP_1)
	v_mul_f64 v[10:11], v[8:9], v[6:7]
	v_fma_f64 v[4:5], -v[4:5], v[10:11], v[8:9]
	s_delay_alu instid0(VALU_DEP_1) | instskip(NEXT) | instid1(VALU_DEP_1)
	v_div_fmas_f64 v[4:5], v[4:5], v[6:7], v[10:11]
	v_div_fixup_f64 v[60:61], v[4:5], v[2:3], v[0:1]
.LBB2_16:
	s_or_b32 exec_lo, exec_lo, s3
	s_delay_alu instid0(SALU_CYCLE_1)
	s_mov_b32 s0, exec_lo
	v_cmpx_ge_f64_e32 0x40140000, v[58:59]
	s_xor_b32 s35, exec_lo, s0
	s_cbranch_execz .LBB2_22
; %bb.17:
	v_mov_b32_e32 v62, 0
	v_mov_b32_e32 v63, 0xfff00000
	s_mov_b32 s38, exec_lo
	v_cmpx_neq_f64_e32 0, v[58:59]
	s_cbranch_execz .LBB2_21
; %bb.18:
	v_mov_b32_e32 v62, 0
	v_mov_b32_e32 v63, 0x7ff80000
	s_mov_b32 s39, exec_lo
	v_cmpx_nge_f64_e32 0, v[58:59]
	s_cbranch_execz .LBB2_20
; %bb.19:
	v_mul_f64 v[0:1], v[58:59], v[58:59]
	s_mov_b32 s0, 0xa93f7ac2
	s_mov_b32 s1, 0x40829269
	;; [unrolled: 1-line block ×4, first 2 shown]
	s_delay_alu instid0(VALU_DEP_1)
	v_fma_f64 v[2:3], v[0:1], 0, s[0:1]
	s_mov_b32 s0, 0xbe58ef7f
	s_mov_b32 s1, 0x410cc160
	s_delay_alu instid0(VALU_DEP_1) | instid1(SALU_CYCLE_1)
	v_fma_f64 v[2:3], v[0:1], v[2:3], s[0:1]
	s_mov_b32 s0, 0x62f9b6c5
	s_mov_b32 s1, 0x41d2d2be
	s_delay_alu instid0(SALU_CYCLE_1) | instskip(SKIP_2) | instid1(VALU_DEP_2)
	v_fma_f64 v[4:5], v[0:1], 0, s[0:1]
	s_mov_b32 s0, 0x58836521
	s_mov_b32 s1, 0xc262d72d
	v_fma_f64 v[2:3], v[0:1], v[2:3], s[2:3]
	s_mov_b32 s2, 0x906b7b83
	s_mov_b32 s3, 0x421178c3
	s_delay_alu instid0(VALU_DEP_2) | instskip(SKIP_2) | instid1(VALU_DEP_2)
	v_fma_f64 v[4:5], v[0:1], v[4:5], s[0:1]
	s_mov_b32 s0, 0xb0910fef
	s_mov_b32 s1, 0x42da0954
	v_fma_f64 v[2:3], v[0:1], v[2:3], s[2:3]
	s_mov_b32 s2, 0xfda99316
	s_mov_b32 s3, 0x428c3f5e
	s_delay_alu instid0(VALU_DEP_2) | instskip(SKIP_2) | instid1(VALU_DEP_2)
	;; [unrolled: 7-line block ×4, first 2 shown]
	v_fma_f64 v[4:5], v[0:1], v[4:5], s[0:1]
	s_mov_b32 s0, 0x5dde2b17
	s_mov_b32 s1, 0xc3a59e41
	v_fma_f64 v[2:3], v[0:1], v[2:3], s[2:3]
	s_mov_b32 s2, 0x90f6747f
	s_mov_b32 s3, 0x43cb90f1
	s_delay_alu instid0(VALU_DEP_2) | instskip(SKIP_3) | instid1(VALU_DEP_2)
	v_fma_f64 v[4:5], v[0:1], v[4:5], s[0:1]
	s_getpc_b64 s[0:1]
	s_add_u32 s0, s0, _Z17bessel_j1_forwardIdET_S0_@rel32@lo+4
	s_addc_u32 s1, s1, _Z17bessel_j1_forwardIdET_S0_@rel32@hi+12
	v_fma_f64 v[0:1], v[0:1], v[2:3], s[2:3]
	s_delay_alu instid0(VALU_DEP_1) | instskip(NEXT) | instid1(VALU_DEP_1)
	v_div_scale_f64 v[2:3], null, v[0:1], v[0:1], v[4:5]
	v_rcp_f64_e32 v[6:7], v[2:3]
	s_waitcnt_depctr 0xfff
	v_fma_f64 v[8:9], -v[2:3], v[6:7], 1.0
	s_delay_alu instid0(VALU_DEP_1) | instskip(NEXT) | instid1(VALU_DEP_1)
	v_fma_f64 v[6:7], v[6:7], v[8:9], v[6:7]
	v_fma_f64 v[8:9], -v[2:3], v[6:7], 1.0
	s_delay_alu instid0(VALU_DEP_1) | instskip(SKIP_1) | instid1(VALU_DEP_1)
	v_fma_f64 v[6:7], v[6:7], v[8:9], v[6:7]
	v_div_scale_f64 v[8:9], vcc_lo, v[4:5], v[0:1], v[4:5]
	v_mul_f64 v[10:11], v[8:9], v[6:7]
	s_delay_alu instid0(VALU_DEP_1) | instskip(NEXT) | instid1(VALU_DEP_1)
	v_fma_f64 v[2:3], -v[2:3], v[10:11], v[8:9]
	v_div_fmas_f64 v[2:3], v[2:3], v[6:7], v[10:11]
	s_delay_alu instid0(VALU_DEP_1)
	v_div_fixup_f64 v[56:57], v[2:3], v[0:1], v[4:5]
	v_dual_mov_b32 v0, v58 :: v_dual_mov_b32 v1, v59
	s_swappc_b64 s[30:31], s[0:1]
	v_frexp_mant_f64_e32 v[2:3], v[58:59]
	s_mov_b32 s1, 0x3fe55555
	s_mov_b32 s0, 0x55555555
	v_mov_b32_e32 v4, 0
	s_mov_b32 s2, 0x6b47b09a
	s_mov_b32 s4, 0xbf559e2b
	;; [unrolled: 1-line block ×4, first 2 shown]
	v_div_scale_f64 v[18:19], null, v[58:59], v[58:59], -1.0
	s_delay_alu instid0(VALU_DEP_3) | instskip(SKIP_1) | instid1(VALU_DEP_2)
	v_cmp_gt_f64_e32 vcc_lo, s[0:1], v[2:3]
	s_mov_b32 s0, 0x55555780
	v_rcp_f64_e32 v[22:23], v[18:19]
	v_cndmask_b32_e64 v5, 0x3ff00000, 2.0, vcc_lo
	s_delay_alu instid0(VALU_DEP_1) | instskip(NEXT) | instid1(VALU_DEP_1)
	v_mul_f64 v[2:3], v[2:3], v[4:5]
	v_add_f64 v[4:5], v[2:3], 1.0
	v_add_f64 v[10:11], v[2:3], -1.0
	s_delay_alu instid0(VALU_DEP_2) | instskip(SKIP_1) | instid1(VALU_DEP_1)
	v_rcp_f64_e32 v[6:7], v[4:5]
	v_add_f64 v[12:13], v[4:5], -1.0
	v_add_f64 v[2:3], v[2:3], -v[12:13]
	s_waitcnt_depctr 0xfff
	v_fma_f64 v[8:9], -v[4:5], v[6:7], 1.0
	s_delay_alu instid0(VALU_DEP_1) | instskip(NEXT) | instid1(VALU_DEP_1)
	v_fma_f64 v[6:7], v[8:9], v[6:7], v[6:7]
	v_fma_f64 v[8:9], -v[4:5], v[6:7], 1.0
	s_delay_alu instid0(VALU_DEP_1) | instskip(NEXT) | instid1(VALU_DEP_1)
	v_fma_f64 v[6:7], v[8:9], v[6:7], v[6:7]
	v_mul_f64 v[8:9], v[10:11], v[6:7]
	s_delay_alu instid0(VALU_DEP_1) | instskip(NEXT) | instid1(VALU_DEP_1)
	v_mul_f64 v[14:15], v[4:5], v[8:9]
	v_fma_f64 v[4:5], v[8:9], v[4:5], -v[14:15]
	s_delay_alu instid0(VALU_DEP_1) | instskip(NEXT) | instid1(VALU_DEP_1)
	v_fma_f64 v[2:3], v[8:9], v[2:3], v[4:5]
	v_add_f64 v[4:5], v[14:15], v[2:3]
	s_delay_alu instid0(VALU_DEP_1) | instskip(SKIP_1) | instid1(VALU_DEP_2)
	v_add_f64 v[12:13], v[10:11], -v[4:5]
	v_add_f64 v[14:15], v[4:5], -v[14:15]
	;; [unrolled: 1-line block ×3, first 2 shown]
	s_delay_alu instid0(VALU_DEP_2) | instskip(SKIP_1) | instid1(VALU_DEP_3)
	v_add_f64 v[2:3], v[14:15], -v[2:3]
	v_frexp_exp_i32_f64_e32 v14, v[58:59]
	v_add_f64 v[4:5], v[10:11], -v[4:5]
	s_delay_alu instid0(VALU_DEP_1) | instskip(NEXT) | instid1(VALU_DEP_1)
	v_add_f64 v[2:3], v[2:3], v[4:5]
	v_add_f64 v[2:3], v[12:13], v[2:3]
	s_delay_alu instid0(VALU_DEP_1) | instskip(NEXT) | instid1(VALU_DEP_1)
	v_mul_f64 v[2:3], v[6:7], v[2:3]
	v_add_f64 v[4:5], v[8:9], v[2:3]
	s_delay_alu instid0(VALU_DEP_1) | instskip(NEXT) | instid1(VALU_DEP_1)
	v_mul_f64 v[6:7], v[4:5], v[4:5]
	v_fma_f64 v[10:11], v[6:7], s[4:5], s[2:3]
	s_mov_b32 s2, 0xd7f4df2e
	s_mov_b32 s3, 0x3fc7474d
	v_mul_f64 v[12:13], v[4:5], v[6:7]
	s_delay_alu instid0(VALU_DEP_2)
	v_fma_f64 v[10:11], v[6:7], v[10:11], s[2:3]
	s_mov_b32 s2, 0x16291751
	s_mov_b32 s3, 0x3fcc71c0
	s_delay_alu instid0(VALU_DEP_1) | instid1(SALU_CYCLE_1)
	v_fma_f64 v[10:11], v[6:7], v[10:11], s[2:3]
	s_mov_b32 s2, 0x9b27acf1
	s_mov_b32 s3, 0x3fd24924
	s_delay_alu instid0(VALU_DEP_1) | instid1(SALU_CYCLE_1)
	;; [unrolled: 4-line block ×3, first 2 shown]
	v_fma_f64 v[10:11], v[6:7], v[10:11], s[2:3]
	s_delay_alu instid0(VALU_DEP_1) | instskip(SKIP_4) | instid1(VALU_DEP_3)
	v_fma_f64 v[6:7], v[6:7], v[10:11], s[0:1]
	v_ldexp_f64 v[10:11], v[4:5], 1
	v_add_f64 v[4:5], v[4:5], -v[8:9]
	s_mov_b32 s0, 0xfefa39ef
	s_mov_b32 s1, 0x3fe62e42
	v_mul_f64 v[6:7], v[12:13], v[6:7]
	v_subrev_co_ci_u32_e32 v12, vcc_lo, 0, v14, vcc_lo
	s_delay_alu instid0(VALU_DEP_3) | instskip(NEXT) | instid1(VALU_DEP_2)
	v_add_f64 v[2:3], v[2:3], -v[4:5]
	v_cvt_f64_i32_e32 v[12:13], v12
	s_delay_alu instid0(VALU_DEP_4) | instskip(NEXT) | instid1(VALU_DEP_3)
	v_add_f64 v[8:9], v[10:11], v[6:7]
	v_ldexp_f64 v[2:3], v[2:3], 1
	s_delay_alu instid0(VALU_DEP_3) | instskip(NEXT) | instid1(VALU_DEP_3)
	v_mul_f64 v[14:15], v[12:13], s[0:1]
	v_add_f64 v[4:5], v[8:9], -v[10:11]
	s_delay_alu instid0(VALU_DEP_2) | instskip(SKIP_2) | instid1(VALU_DEP_2)
	v_fma_f64 v[10:11], v[12:13], s[0:1], -v[14:15]
	s_mov_b32 s0, 0x3b39803f
	s_mov_b32 s1, 0x3c7abc9e
	v_add_f64 v[4:5], v[6:7], -v[4:5]
	s_delay_alu instid0(VALU_DEP_2) | instskip(SKIP_2) | instid1(VALU_DEP_2)
	v_fma_f64 v[6:7], v[12:13], s[0:1], v[10:11]
	s_mov_b32 s0, 0x6dc9c883
	s_mov_b32 s1, 0x3fe45f30
	v_add_f64 v[2:3], v[2:3], v[4:5]
	s_delay_alu instid0(VALU_DEP_2) | instskip(NEXT) | instid1(VALU_DEP_2)
	v_add_f64 v[4:5], v[14:15], v[6:7]
	v_add_f64 v[10:11], v[8:9], v[2:3]
	s_delay_alu instid0(VALU_DEP_2) | instskip(NEXT) | instid1(VALU_DEP_2)
	v_add_f64 v[14:15], v[4:5], -v[14:15]
	v_add_f64 v[12:13], v[4:5], v[10:11]
	v_add_f64 v[8:9], v[10:11], -v[8:9]
	s_delay_alu instid0(VALU_DEP_3) | instskip(NEXT) | instid1(VALU_DEP_3)
	v_add_f64 v[6:7], v[6:7], -v[14:15]
	v_add_f64 v[16:17], v[12:13], -v[4:5]
	s_delay_alu instid0(VALU_DEP_3) | instskip(NEXT) | instid1(VALU_DEP_2)
	v_add_f64 v[2:3], v[2:3], -v[8:9]
	v_add_f64 v[20:21], v[12:13], -v[16:17]
	;; [unrolled: 1-line block ×3, first 2 shown]
	v_fma_f64 v[10:11], -v[18:19], v[22:23], 1.0
	s_delay_alu instid0(VALU_DEP_4) | instskip(NEXT) | instid1(VALU_DEP_4)
	v_add_f64 v[14:15], v[6:7], v[2:3]
	v_add_f64 v[4:5], v[4:5], -v[20:21]
	s_delay_alu instid0(VALU_DEP_1) | instskip(NEXT) | instid1(VALU_DEP_4)
	v_add_f64 v[4:5], v[8:9], v[4:5]
	v_fma_f64 v[8:9], v[22:23], v[10:11], v[22:23]
	s_delay_alu instid0(VALU_DEP_4) | instskip(SKIP_1) | instid1(VALU_DEP_4)
	v_add_f64 v[10:11], v[14:15], -v[6:7]
	v_div_scale_f64 v[22:23], vcc_lo, -1.0, v[58:59], -1.0
	v_add_f64 v[4:5], v[14:15], v[4:5]
	s_delay_alu instid0(VALU_DEP_4) | instskip(NEXT) | instid1(VALU_DEP_4)
	v_fma_f64 v[16:17], -v[18:19], v[8:9], 1.0
	v_add_f64 v[14:15], v[14:15], -v[10:11]
	v_add_f64 v[2:3], v[2:3], -v[10:11]
	s_delay_alu instid0(VALU_DEP_4) | instskip(NEXT) | instid1(VALU_DEP_4)
	v_add_f64 v[20:21], v[12:13], v[4:5]
	v_fma_f64 v[8:9], v[8:9], v[16:17], v[8:9]
	s_delay_alu instid0(VALU_DEP_4) | instskip(NEXT) | instid1(VALU_DEP_3)
	v_add_f64 v[6:7], v[6:7], -v[14:15]
	v_add_f64 v[10:11], v[20:21], -v[12:13]
	s_delay_alu instid0(VALU_DEP_3) | instskip(NEXT) | instid1(VALU_DEP_3)
	v_mul_f64 v[12:13], v[22:23], v[8:9]
	v_add_f64 v[2:3], v[2:3], v[6:7]
	s_delay_alu instid0(VALU_DEP_3) | instskip(NEXT) | instid1(VALU_DEP_3)
	v_add_f64 v[4:5], v[4:5], -v[10:11]
	v_fma_f64 v[6:7], -v[18:19], v[12:13], v[22:23]
	s_delay_alu instid0(VALU_DEP_2) | instskip(NEXT) | instid1(VALU_DEP_2)
	v_add_f64 v[2:3], v[2:3], v[4:5]
	v_div_fmas_f64 v[4:5], v[6:7], v[8:9], v[12:13]
	s_delay_alu instid0(VALU_DEP_2) | instskip(NEXT) | instid1(VALU_DEP_2)
	v_add_f64 v[2:3], v[20:21], v[2:3]
	v_div_fixup_f64 v[4:5], v[4:5], v[58:59], -1.0
	s_delay_alu instid0(VALU_DEP_1) | instskip(NEXT) | instid1(VALU_DEP_1)
	v_fma_f64 v[0:1], v[2:3], v[0:1], v[4:5]
	v_mul_f64 v[0:1], v[0:1], s[0:1]
	s_delay_alu instid0(VALU_DEP_1)
	v_fma_f64 v[62:63], v[58:59], v[56:57], v[0:1]
.LBB2_20:
	s_or_b32 exec_lo, exec_lo, s39
.LBB2_21:
	s_delay_alu instid0(SALU_CYCLE_1)
	s_or_b32 exec_lo, exec_lo, s38
                                        ; implicit-def: $vgpr58_vgpr59
.LBB2_22:
	s_and_not1_saveexec_b32 s3, s35
	s_cbranch_execz .LBB2_32
; %bb.23:
	s_mov_b32 s0, 0x7f3321d2
	s_mov_b32 s1, 0xc002d97c
                                        ; implicit-def: $vgpr18
                                        ; implicit-def: $vgpr2_vgpr3
                                        ; implicit-def: $vgpr4_vgpr5
	s_delay_alu instid0(SALU_CYCLE_1) | instskip(NEXT) | instid1(VALU_DEP_1)
	v_add_f64 v[0:1], v[58:59], s[0:1]
	v_cmp_ngt_f64_e64 s1, 0x41d00000, |v[0:1]|
	v_trig_preop_f64 v[14:15], |v[0:1]|, 0
	v_trig_preop_f64 v[12:13], |v[0:1]|, 1
	v_ldexp_f64 v[16:17], |v[0:1]|, 0xffffff80
	v_trig_preop_f64 v[10:11], |v[0:1]|, 2
	v_and_b32_e32 v20, 0x7fffffff, v1
	s_and_saveexec_b32 s0, s1
	s_delay_alu instid0(SALU_CYCLE_1)
	s_xor_b32 s2, exec_lo, s0
	s_cbranch_execz .LBB2_25
; %bb.24:
	v_cmp_le_f64_e64 vcc_lo, 0x7b000000, |v[0:1]|
	v_mov_b32_e32 v31, 0
	s_mov_b32 s4, 0x54442d18
	s_mov_b32 s5, 0x3ff921fb
	;; [unrolled: 1-line block ×4, first 2 shown]
	v_cndmask_b32_e32 v3, v20, v17, vcc_lo
	v_cndmask_b32_e32 v2, v0, v16, vcc_lo
	s_delay_alu instid0(VALU_DEP_1) | instskip(SKIP_1) | instid1(VALU_DEP_2)
	v_mul_f64 v[4:5], v[14:15], v[2:3]
	v_mul_f64 v[6:7], v[12:13], v[2:3]
	v_fma_f64 v[8:9], v[14:15], v[2:3], -v[4:5]
	s_delay_alu instid0(VALU_DEP_2) | instskip(NEXT) | instid1(VALU_DEP_2)
	v_fma_f64 v[29:30], v[12:13], v[2:3], -v[6:7]
	v_add_f64 v[18:19], v[6:7], v[8:9]
	s_delay_alu instid0(VALU_DEP_1) | instskip(SKIP_1) | instid1(VALU_DEP_2)
	v_add_f64 v[21:22], v[18:19], -v[6:7]
	v_add_f64 v[25:26], v[4:5], v[18:19]
	v_add_f64 v[23:24], v[18:19], -v[21:22]
	v_add_f64 v[8:9], v[8:9], -v[21:22]
	s_delay_alu instid0(VALU_DEP_3) | instskip(SKIP_1) | instid1(VALU_DEP_4)
	v_ldexp_f64 v[21:22], v[25:26], -2
	v_add_f64 v[4:5], v[25:26], -v[4:5]
	v_add_f64 v[6:7], v[6:7], -v[23:24]
	s_delay_alu instid0(VALU_DEP_3) | instskip(NEXT) | instid1(VALU_DEP_3)
	v_cmp_neq_f64_e64 vcc_lo, 0x7ff00000, |v[21:22]|
	v_add_f64 v[4:5], v[18:19], -v[4:5]
	s_delay_alu instid0(VALU_DEP_3) | instskip(SKIP_1) | instid1(VALU_DEP_1)
	v_add_f64 v[6:7], v[8:9], v[6:7]
	v_fract_f64_e32 v[8:9], v[21:22]
	v_dual_cndmask_b32 v9, 0, v9 :: v_dual_cndmask_b32 v8, 0, v8
	v_mul_f64 v[27:28], v[10:11], v[2:3]
	s_delay_alu instid0(VALU_DEP_2) | instskip(NEXT) | instid1(VALU_DEP_2)
	v_ldexp_f64 v[8:9], v[8:9], 2
	v_add_f64 v[23:24], v[27:28], v[29:30]
	v_fma_f64 v[2:3], v[10:11], v[2:3], -v[27:28]
	s_delay_alu instid0(VALU_DEP_2) | instskip(NEXT) | instid1(VALU_DEP_1)
	v_add_f64 v[18:19], v[23:24], v[6:7]
	v_add_f64 v[21:22], v[4:5], v[18:19]
	s_delay_alu instid0(VALU_DEP_1) | instskip(SKIP_1) | instid1(VALU_DEP_2)
	v_add_f64 v[25:26], v[21:22], v[8:9]
	v_add_f64 v[4:5], v[21:22], -v[4:5]
	v_cmp_gt_f64_e32 vcc_lo, 0, v[25:26]
	v_add_f64 v[25:26], v[23:24], -v[27:28]
	s_delay_alu instid0(VALU_DEP_3) | instskip(SKIP_1) | instid1(VALU_DEP_3)
	v_add_f64 v[4:5], v[18:19], -v[4:5]
	v_cndmask_b32_e64 v32, 0, 0x40100000, vcc_lo
	v_add_f64 v[36:37], v[23:24], -v[25:26]
	v_add_f64 v[25:26], v[29:30], -v[25:26]
	s_delay_alu instid0(VALU_DEP_3) | instskip(SKIP_1) | instid1(VALU_DEP_4)
	v_add_f64 v[8:9], v[8:9], v[31:32]
	v_add_f64 v[32:33], v[18:19], -v[23:24]
	v_add_f64 v[29:30], v[27:28], -v[36:37]
	s_delay_alu instid0(VALU_DEP_3) | instskip(NEXT) | instid1(VALU_DEP_3)
	v_add_f64 v[34:35], v[21:22], v[8:9]
	v_add_f64 v[38:39], v[18:19], -v[32:33]
	v_add_f64 v[6:7], v[6:7], -v[32:33]
	s_delay_alu instid0(VALU_DEP_4) | instskip(NEXT) | instid1(VALU_DEP_4)
	v_add_f64 v[25:26], v[25:26], v[29:30]
	v_cvt_i32_f64_e32 v34, v[34:35]
	s_delay_alu instid0(VALU_DEP_4) | instskip(NEXT) | instid1(VALU_DEP_2)
	v_add_f64 v[23:24], v[23:24], -v[38:39]
	v_cvt_f64_i32_e32 v[32:33], v34
	s_delay_alu instid0(VALU_DEP_2) | instskip(NEXT) | instid1(VALU_DEP_2)
	v_add_f64 v[6:7], v[6:7], v[23:24]
	v_add_f64 v[8:9], v[8:9], -v[32:33]
	s_delay_alu instid0(VALU_DEP_2) | instskip(NEXT) | instid1(VALU_DEP_2)
	v_add_f64 v[6:7], v[25:26], v[6:7]
	v_add_f64 v[23:24], v[21:22], v[8:9]
	s_delay_alu instid0(VALU_DEP_2) | instskip(NEXT) | instid1(VALU_DEP_2)
	v_add_f64 v[2:3], v[2:3], v[6:7]
	v_add_f64 v[6:7], v[23:24], -v[8:9]
	v_cmp_le_f64_e32 vcc_lo, 0.5, v[23:24]
	s_delay_alu instid0(VALU_DEP_3) | instskip(NEXT) | instid1(VALU_DEP_3)
	v_add_f64 v[2:3], v[4:5], v[2:3]
	v_add_f64 v[4:5], v[21:22], -v[6:7]
	v_cndmask_b32_e64 v32, 0, 0x3ff00000, vcc_lo
	v_add_co_ci_u32_e64 v18, s0, 0, v34, vcc_lo
	s_delay_alu instid0(VALU_DEP_3) | instskip(NEXT) | instid1(VALU_DEP_3)
	v_add_f64 v[2:3], v[2:3], v[4:5]
	v_add_f64 v[4:5], v[23:24], -v[31:32]
	s_delay_alu instid0(VALU_DEP_1) | instskip(NEXT) | instid1(VALU_DEP_1)
	v_add_f64 v[6:7], v[4:5], v[2:3]
	v_mul_f64 v[8:9], v[6:7], s[4:5]
	v_add_f64 v[4:5], v[6:7], -v[4:5]
	s_delay_alu instid0(VALU_DEP_2) | instskip(NEXT) | instid1(VALU_DEP_2)
	v_fma_f64 v[21:22], v[6:7], s[4:5], -v[8:9]
	v_add_f64 v[2:3], v[2:3], -v[4:5]
	s_delay_alu instid0(VALU_DEP_2) | instskip(NEXT) | instid1(VALU_DEP_1)
	v_fma_f64 v[4:5], v[6:7], s[6:7], v[21:22]
	v_fma_f64 v[4:5], v[2:3], s[4:5], v[4:5]
	s_delay_alu instid0(VALU_DEP_1) | instskip(NEXT) | instid1(VALU_DEP_1)
	v_add_f64 v[2:3], v[8:9], v[4:5]
	v_add_f64 v[6:7], v[2:3], -v[8:9]
	s_delay_alu instid0(VALU_DEP_1)
	v_add_f64 v[4:5], v[4:5], -v[6:7]
	s_and_not1_saveexec_b32 s0, s2
	s_cbranch_execz .LBB2_27
	s_branch .LBB2_26
.LBB2_25:
	s_and_not1_saveexec_b32 s0, s2
	s_cbranch_execz .LBB2_27
.LBB2_26:
	s_mov_b32 s4, 0x6dc9c883
	s_mov_b32 s5, 0x3fe45f30
	s_mov_b32 s7, 0xbc91a626
	v_mul_f64 v[2:3], |v[0:1]|, s[4:5]
	s_mov_b32 s4, 0x54442d18
	s_mov_b32 s5, 0xbff921fb
	;; [unrolled: 1-line block ×3, first 2 shown]
	s_delay_alu instid0(VALU_DEP_1) | instskip(NEXT) | instid1(VALU_DEP_1)
	v_rndne_f64_e32 v[6:7], v[2:3]
	v_fma_f64 v[2:3], v[6:7], s[4:5], |v[0:1]|
	v_mul_f64 v[4:5], v[6:7], s[6:7]
	s_mov_b32 s4, 0x252049c0
	s_mov_b32 s5, 0xb97b839a
	s_delay_alu instid0(VALU_DEP_2) | instskip(NEXT) | instid1(VALU_DEP_2)
	v_fma_f64 v[18:19], v[6:7], s[6:7], v[2:3]
	v_add_f64 v[8:9], v[2:3], v[4:5]
	s_mov_b32 s7, 0x3c91a626
	s_delay_alu instid0(VALU_DEP_1) | instskip(NEXT) | instid1(VALU_DEP_3)
	v_add_f64 v[2:3], v[2:3], -v[8:9]
	v_add_f64 v[8:9], v[8:9], -v[18:19]
	s_delay_alu instid0(VALU_DEP_2) | instskip(SKIP_1) | instid1(VALU_DEP_2)
	v_add_f64 v[2:3], v[2:3], v[4:5]
	v_fma_f64 v[4:5], v[6:7], s[6:7], v[4:5]
	v_add_f64 v[2:3], v[8:9], v[2:3]
	s_delay_alu instid0(VALU_DEP_1) | instskip(NEXT) | instid1(VALU_DEP_1)
	v_add_f64 v[2:3], v[2:3], -v[4:5]
	v_fma_f64 v[4:5], v[6:7], s[4:5], v[2:3]
	s_delay_alu instid0(VALU_DEP_1) | instskip(NEXT) | instid1(VALU_DEP_1)
	v_add_f64 v[2:3], v[18:19], v[4:5]
	v_add_f64 v[8:9], v[2:3], -v[18:19]
	v_cvt_i32_f64_e32 v18, v[6:7]
	s_delay_alu instid0(VALU_DEP_2)
	v_add_f64 v[4:5], v[4:5], -v[8:9]
.LBB2_27:
	s_or_b32 exec_lo, exec_lo, s0
                                        ; implicit-def: $vgpr19
                                        ; implicit-def: $vgpr6_vgpr7
                                        ; implicit-def: $vgpr8_vgpr9
	s_and_saveexec_b32 s0, s1
	s_delay_alu instid0(SALU_CYCLE_1)
	s_xor_b32 s1, exec_lo, s0
	s_cbranch_execz .LBB2_29
; %bb.28:
	v_cmp_le_f64_e64 vcc_lo, 0x7b000000, |v[0:1]|
	v_mov_b32_e32 v29, 0
	s_mov_b32 s4, 0x54442d18
	s_mov_b32 s5, 0x3ff921fb
	;; [unrolled: 1-line block ×4, first 2 shown]
	v_cndmask_b32_e32 v7, v20, v17, vcc_lo
	v_cndmask_b32_e32 v6, v0, v16, vcc_lo
	s_delay_alu instid0(VALU_DEP_1) | instskip(SKIP_1) | instid1(VALU_DEP_2)
	v_mul_f64 v[8:9], v[14:15], v[6:7]
	v_mul_f64 v[16:17], v[12:13], v[6:7]
	v_fma_f64 v[14:15], v[14:15], v[6:7], -v[8:9]
	s_delay_alu instid0(VALU_DEP_2) | instskip(NEXT) | instid1(VALU_DEP_2)
	v_fma_f64 v[12:13], v[12:13], v[6:7], -v[16:17]
	v_add_f64 v[19:20], v[16:17], v[14:15]
	s_delay_alu instid0(VALU_DEP_1) | instskip(SKIP_1) | instid1(VALU_DEP_2)
	v_add_f64 v[21:22], v[19:20], -v[16:17]
	v_add_f64 v[25:26], v[8:9], v[19:20]
	v_add_f64 v[23:24], v[19:20], -v[21:22]
	v_add_f64 v[14:15], v[14:15], -v[21:22]
	s_delay_alu instid0(VALU_DEP_3) | instskip(SKIP_1) | instid1(VALU_DEP_4)
	v_ldexp_f64 v[21:22], v[25:26], -2
	v_add_f64 v[8:9], v[25:26], -v[8:9]
	v_add_f64 v[16:17], v[16:17], -v[23:24]
	s_delay_alu instid0(VALU_DEP_3) | instskip(NEXT) | instid1(VALU_DEP_3)
	v_cmp_neq_f64_e64 vcc_lo, 0x7ff00000, |v[21:22]|
	v_add_f64 v[8:9], v[19:20], -v[8:9]
	s_delay_alu instid0(VALU_DEP_3) | instskip(SKIP_1) | instid1(VALU_DEP_1)
	v_add_f64 v[14:15], v[14:15], v[16:17]
	v_fract_f64_e32 v[16:17], v[21:22]
	v_dual_cndmask_b32 v17, 0, v17 :: v_dual_cndmask_b32 v16, 0, v16
	v_mul_f64 v[27:28], v[10:11], v[6:7]
	s_delay_alu instid0(VALU_DEP_2) | instskip(NEXT) | instid1(VALU_DEP_2)
	v_ldexp_f64 v[16:17], v[16:17], 2
	v_add_f64 v[23:24], v[27:28], v[12:13]
	v_fma_f64 v[6:7], v[10:11], v[6:7], -v[27:28]
	s_delay_alu instid0(VALU_DEP_2) | instskip(NEXT) | instid1(VALU_DEP_1)
	v_add_f64 v[19:20], v[23:24], v[14:15]
	v_add_f64 v[21:22], v[8:9], v[19:20]
	s_delay_alu instid0(VALU_DEP_1) | instskip(SKIP_1) | instid1(VALU_DEP_2)
	v_add_f64 v[25:26], v[21:22], v[16:17]
	v_add_f64 v[8:9], v[21:22], -v[8:9]
	v_cmp_gt_f64_e32 vcc_lo, 0, v[25:26]
	v_add_f64 v[25:26], v[23:24], -v[27:28]
	s_delay_alu instid0(VALU_DEP_3) | instskip(SKIP_1) | instid1(VALU_DEP_3)
	v_add_f64 v[8:9], v[19:20], -v[8:9]
	v_cndmask_b32_e64 v30, 0, 0x40100000, vcc_lo
	v_add_f64 v[34:35], v[23:24], -v[25:26]
	v_add_f64 v[12:13], v[12:13], -v[25:26]
	s_delay_alu instid0(VALU_DEP_3) | instskip(SKIP_1) | instid1(VALU_DEP_4)
	v_add_f64 v[16:17], v[16:17], v[29:30]
	v_add_f64 v[30:31], v[19:20], -v[23:24]
	v_add_f64 v[25:26], v[27:28], -v[34:35]
	s_delay_alu instid0(VALU_DEP_3) | instskip(NEXT) | instid1(VALU_DEP_3)
	v_add_f64 v[32:33], v[21:22], v[16:17]
	v_add_f64 v[36:37], v[19:20], -v[30:31]
	v_add_f64 v[14:15], v[14:15], -v[30:31]
	s_delay_alu instid0(VALU_DEP_4) | instskip(NEXT) | instid1(VALU_DEP_4)
	v_add_f64 v[12:13], v[12:13], v[25:26]
	v_cvt_i32_f64_e32 v32, v[32:33]
	s_delay_alu instid0(VALU_DEP_4) | instskip(NEXT) | instid1(VALU_DEP_2)
	v_add_f64 v[23:24], v[23:24], -v[36:37]
	v_cvt_f64_i32_e32 v[30:31], v32
	s_delay_alu instid0(VALU_DEP_2) | instskip(NEXT) | instid1(VALU_DEP_2)
	v_add_f64 v[14:15], v[14:15], v[23:24]
	v_add_f64 v[16:17], v[16:17], -v[30:31]
	s_delay_alu instid0(VALU_DEP_2) | instskip(NEXT) | instid1(VALU_DEP_2)
	v_add_f64 v[10:11], v[12:13], v[14:15]
	v_add_f64 v[12:13], v[21:22], v[16:17]
	s_delay_alu instid0(VALU_DEP_2) | instskip(NEXT) | instid1(VALU_DEP_2)
	v_add_f64 v[6:7], v[6:7], v[10:11]
	v_add_f64 v[10:11], v[12:13], -v[16:17]
	v_cmp_le_f64_e32 vcc_lo, 0.5, v[12:13]
	s_delay_alu instid0(VALU_DEP_3) | instskip(NEXT) | instid1(VALU_DEP_3)
	v_add_f64 v[6:7], v[8:9], v[6:7]
	v_add_f64 v[8:9], v[21:22], -v[10:11]
	v_cndmask_b32_e64 v30, 0, 0x3ff00000, vcc_lo
	v_add_co_ci_u32_e64 v19, s0, 0, v32, vcc_lo
	s_delay_alu instid0(VALU_DEP_3) | instskip(NEXT) | instid1(VALU_DEP_3)
	v_add_f64 v[6:7], v[6:7], v[8:9]
	v_add_f64 v[8:9], v[12:13], -v[29:30]
	s_delay_alu instid0(VALU_DEP_1) | instskip(NEXT) | instid1(VALU_DEP_1)
	v_add_f64 v[10:11], v[8:9], v[6:7]
	v_mul_f64 v[12:13], v[10:11], s[4:5]
	v_add_f64 v[8:9], v[10:11], -v[8:9]
	s_delay_alu instid0(VALU_DEP_2) | instskip(NEXT) | instid1(VALU_DEP_2)
	v_fma_f64 v[14:15], v[10:11], s[4:5], -v[12:13]
	v_add_f64 v[6:7], v[6:7], -v[8:9]
	s_delay_alu instid0(VALU_DEP_2) | instskip(NEXT) | instid1(VALU_DEP_1)
	v_fma_f64 v[8:9], v[10:11], s[6:7], v[14:15]
	v_fma_f64 v[8:9], v[6:7], s[4:5], v[8:9]
	s_delay_alu instid0(VALU_DEP_1) | instskip(NEXT) | instid1(VALU_DEP_1)
	v_add_f64 v[6:7], v[12:13], v[8:9]
	v_add_f64 v[10:11], v[6:7], -v[12:13]
	s_delay_alu instid0(VALU_DEP_1)
	v_add_f64 v[8:9], v[8:9], -v[10:11]
	s_and_not1_saveexec_b32 s0, s1
	s_cbranch_execnz .LBB2_30
	s_branch .LBB2_31
.LBB2_29:
	s_and_not1_saveexec_b32 s0, s1
	s_cbranch_execz .LBB2_31
.LBB2_30:
	s_mov_b32 s4, 0x6dc9c883
	s_mov_b32 s5, 0x3fe45f30
	;; [unrolled: 1-line block ×3, first 2 shown]
	v_mul_f64 v[6:7], |v[0:1]|, s[4:5]
	s_mov_b32 s4, 0x54442d18
	s_mov_b32 s5, 0xbff921fb
	;; [unrolled: 1-line block ×3, first 2 shown]
	s_delay_alu instid0(VALU_DEP_1) | instskip(NEXT) | instid1(VALU_DEP_1)
	v_rndne_f64_e32 v[10:11], v[6:7]
	v_fma_f64 v[6:7], v[10:11], s[4:5], |v[0:1]|
	v_mul_f64 v[8:9], v[10:11], s[6:7]
	s_mov_b32 s4, 0x252049c0
	s_mov_b32 s5, 0xb97b839a
	v_cvt_i32_f64_e32 v19, v[10:11]
	s_delay_alu instid0(VALU_DEP_3) | instskip(NEXT) | instid1(VALU_DEP_3)
	v_fma_f64 v[14:15], v[10:11], s[6:7], v[6:7]
	v_add_f64 v[12:13], v[6:7], v[8:9]
	s_mov_b32 s7, 0x3c91a626
	s_delay_alu instid0(VALU_DEP_1) | instskip(NEXT) | instid1(VALU_DEP_3)
	v_add_f64 v[6:7], v[6:7], -v[12:13]
	v_add_f64 v[12:13], v[12:13], -v[14:15]
	s_delay_alu instid0(VALU_DEP_2) | instskip(SKIP_1) | instid1(VALU_DEP_2)
	v_add_f64 v[6:7], v[6:7], v[8:9]
	v_fma_f64 v[8:9], v[10:11], s[6:7], v[8:9]
	v_add_f64 v[6:7], v[12:13], v[6:7]
	s_delay_alu instid0(VALU_DEP_1) | instskip(NEXT) | instid1(VALU_DEP_1)
	v_add_f64 v[6:7], v[6:7], -v[8:9]
	v_fma_f64 v[8:9], v[10:11], s[4:5], v[6:7]
	s_delay_alu instid0(VALU_DEP_1) | instskip(NEXT) | instid1(VALU_DEP_1)
	v_add_f64 v[6:7], v[14:15], v[8:9]
	v_add_f64 v[12:13], v[6:7], -v[14:15]
	s_delay_alu instid0(VALU_DEP_1)
	v_add_f64 v[8:9], v[8:9], -v[12:13]
.LBB2_31:
	s_or_b32 exec_lo, exec_lo, s0
	v_div_scale_f64 v[10:11], null, v[58:59], v[58:59], 0x40140000
	v_div_scale_f64 v[16:17], vcc_lo, 0x40140000, v[58:59], 0x40140000
	s_mov_b32 s0, 0x6b70ba40
	s_mov_b32 s1, 0x3faa27fa
	;; [unrolled: 1-line block ×6, first 2 shown]
	v_mul_f64 v[26:27], v[2:3], v[2:3]
	v_mul_f64 v[32:33], v[6:7], v[6:7]
	s_mov_b32 s8, 0x796cde01
	s_mov_b32 s9, 0x3ec71de3
	v_mul_f64 v[82:83], v[4:5], 0.5
	v_rcp_f64_e32 v[12:13], v[10:11]
	s_delay_alu instid0(VALU_DEP_3) | instskip(SKIP_1) | instid1(VALU_DEP_4)
	v_mul_f64 v[52:53], v[26:27], 0.5
	v_mul_f64 v[84:85], v[2:3], -v[26:27]
	v_mul_f64 v[98:99], v[6:7], -v[32:33]
	s_waitcnt_depctr 0xfff
	v_fma_f64 v[14:15], -v[10:11], v[12:13], 1.0
	v_add_f64 v[64:65], -v[52:53], 1.0
	s_delay_alu instid0(VALU_DEP_2) | instskip(NEXT) | instid1(VALU_DEP_2)
	v_fma_f64 v[12:13], v[12:13], v[14:15], v[12:13]
	v_add_f64 v[86:87], -v[64:65], 1.0
	s_delay_alu instid0(VALU_DEP_2) | instskip(NEXT) | instid1(VALU_DEP_2)
	v_fma_f64 v[14:15], -v[10:11], v[12:13], 1.0
	v_add_f64 v[52:53], v[86:87], -v[52:53]
	s_delay_alu instid0(VALU_DEP_2) | instskip(NEXT) | instid1(VALU_DEP_2)
	v_fma_f64 v[12:13], v[12:13], v[14:15], v[12:13]
	v_fma_f64 v[52:53], v[2:3], -v[4:5], v[52:53]
	s_delay_alu instid0(VALU_DEP_2) | instskip(NEXT) | instid1(VALU_DEP_1)
	v_mul_f64 v[14:15], v[16:17], v[12:13]
	v_fma_f64 v[10:11], -v[10:11], v[14:15], v[16:17]
	s_delay_alu instid0(VALU_DEP_1) | instskip(NEXT) | instid1(VALU_DEP_1)
	v_div_fmas_f64 v[10:11], v[10:11], v[12:13], v[14:15]
	v_div_fixup_f64 v[10:11], v[10:11], v[58:59], 0x40140000
	s_delay_alu instid0(VALU_DEP_1) | instskip(NEXT) | instid1(VALU_DEP_1)
	v_mul_f64 v[12:13], v[10:11], v[10:11]
	v_fma_f64 v[14:15], v[12:13], 0, s[0:1]
	s_mov_b32 s0, 0x4c6c651b
	s_mov_b32 s1, 0x3f48f92c
	v_fma_f64 v[16:17], v[12:13], 0, s[4:5]
	v_fma_f64 v[20:21], v[12:13], 0, s[0:1]
	s_mov_b32 s0, 0xc66d8fd6
	s_mov_b32 s1, 0x4013edb5
	v_fma_f64 v[22:23], v[12:13], 0, s[6:7]
	s_mov_b32 s4, 0x5948aa83
	s_mov_b32 s5, 0x3fb19fdd
	s_mov_b32 s6, 0xa20e5f6f
	s_mov_b32 s7, 0x409081cb
	s_delay_alu instid0(VALU_DEP_4) | instskip(SKIP_2) | instid1(VALU_DEP_4)
	v_fma_f64 v[14:15], v[12:13], v[14:15], s[0:1]
	s_mov_b32 s0, 0xa3fec4b6
	s_mov_b32 s1, 0x3fb2b948
	v_fma_f64 v[16:17], v[12:13], v[16:17], s[4:5]
	s_delay_alu instid0(VALU_DEP_4) | instskip(SKIP_2) | instid1(VALU_DEP_4)
	v_fma_f64 v[20:21], v[12:13], v[20:21], s[0:1]
	s_mov_b32 s0, 0x9acf1c67
	s_mov_b32 s1, 0x4052f4b9
	v_fma_f64 v[22:23], v[12:13], v[22:23], s[6:7]
	s_mov_b32 s4, 0xb850eed6
	s_mov_b32 s5, 0x3ff1aea9
	s_mov_b32 s6, 0x1bfdfe81
	s_mov_b32 s7, 0x40b37a69
	s_delay_alu instid0(VALU_DEP_4) | instskip(SKIP_2) | instid1(VALU_DEP_4)
	v_fma_f64 v[14:15], v[12:13], v[14:15], s[0:1]
	s_mov_b32 s0, 0xc21596d6
	s_mov_b32 s1, 0x3ff208fe
	v_fma_f64 v[16:17], v[12:13], v[16:17], s[4:5]
	s_delay_alu instid0(VALU_DEP_4) | instskip(SKIP_2) | instid1(VALU_DEP_4)
	;; [unrolled: 14-line block ×5, first 2 shown]
	v_fma_f64 v[20:21], v[12:13], v[20:21], s[0:1]
	s_mov_b32 s0, 0x4c54bb0b
	s_mov_b32 s1, 0x406a760a
	v_fma_f64 v[22:23], v[12:13], v[22:23], s[6:7]
	s_mov_b32 s4, 0x4d159eb5
	s_mov_b32 s5, 0x403934ff
	;; [unrolled: 1-line block ×4, first 2 shown]
	s_delay_alu instid0(VALU_DEP_4) | instskip(SKIP_2) | instid1(VALU_DEP_4)
	v_fma_f64 v[14:15], v[12:13], v[14:15], s[0:1]
	s_mov_b32 s0, 0x6ae75997
	s_mov_b32 s1, 0x4075017f
	v_fma_f64 v[16:17], v[12:13], v[16:17], 1.0
	s_delay_alu instid0(VALU_DEP_4) | instskip(NEXT) | instid1(VALU_DEP_4)
	v_fma_f64 v[20:21], v[12:13], v[20:21], 1.0
	v_fma_f64 v[22:23], v[12:13], v[22:23], s[0:1]
	s_mov_b32 s0, 0xb42fdfa7
	s_mov_b32 s1, 0xbe5ae600
	s_delay_alu instid0(VALU_DEP_4) | instskip(SKIP_2) | instid1(VALU_DEP_3)
	v_fma_f64 v[12:13], v[12:13], v[14:15], s[4:5]
	s_mov_b32 s4, 0xf9a43bb8
	s_mov_b32 s5, 0x3de5e0b2
	v_div_scale_f64 v[14:15], null, v[16:17], v[16:17], v[20:21]
	v_fma_f64 v[34:35], v[26:27], s[4:5], s[0:1]
	v_fma_f64 v[48:49], v[32:33], s[4:5], s[0:1]
	v_cmp_gt_f64_e64 s0, 0x10000000, v[58:59]
	s_mov_b32 s4, 0x9037ab78
	s_mov_b32 s5, 0x3e21eeb6
	v_div_scale_f64 v[96:97], vcc_lo, v[20:21], v[16:17], v[20:21]
	v_fma_f64 v[50:51], v[26:27], s[6:7], s[4:5]
	v_div_scale_f64 v[24:25], null, v[22:23], v[22:23], v[12:13]
	v_rcp_f64_e32 v[28:29], v[14:15]
	v_fma_f64 v[34:35], v[26:27], v[34:35], s[8:9]
	s_delay_alu instid0(VALU_DEP_2) | instskip(SKIP_3) | instid1(VALU_DEP_2)
	v_rcp_f64_e32 v[30:31], v[24:25]
	s_waitcnt_depctr 0xfff
	v_fma_f64 v[36:37], -v[14:15], v[28:29], 1.0
	v_fma_f64 v[38:39], -v[24:25], v[30:31], 1.0
	v_fma_f64 v[28:29], v[28:29], v[36:37], v[28:29]
	v_fma_f64 v[36:37], v[32:33], v[48:49], s[8:9]
	;; [unrolled: 1-line block ×3, first 2 shown]
	s_mov_b32 s6, 0x19e83e5c
	s_mov_b32 s7, 0xbf2a01a0
	;; [unrolled: 1-line block ×3, first 2 shown]
	v_fma_f64 v[34:35], v[26:27], v[34:35], s[6:7]
	s_mov_b32 s5, 0xbe927e4f
	s_delay_alu instid0(SALU_CYCLE_1) | instskip(SKIP_4) | instid1(VALU_DEP_3)
	v_fma_f64 v[50:51], v[26:27], v[50:51], s[4:5]
	v_fma_f64 v[30:31], v[30:31], v[38:39], v[30:31]
	v_cndmask_b32_e64 v38, 0, 1, s0
	v_fma_f64 v[66:67], -v[14:15], v[28:29], 1.0
	v_fma_f64 v[36:37], v[32:33], v[36:37], s[6:7]
	v_lshlrev_b32_e32 v54, 8, v38
	v_mul_f64 v[38:39], v[32:33], 0.5
	v_fma_f64 v[48:49], v[32:33], v[48:49], s[4:5]
	s_mov_b32 s6, 0x11110bb3
	s_mov_b32 s7, 0x3f811111
	v_ldexp_f64 v[54:55], v[58:59], v54
	v_fma_f64 v[34:35], v[26:27], v[34:35], s[6:7]
	s_mov_b32 s4, 0x19f4ec90
	s_mov_b32 s5, 0x3efa01a0
	s_delay_alu instid0(SALU_CYCLE_1)
	v_fma_f64 v[50:51], v[26:27], v[50:51], s[4:5]
	v_fma_f64 v[68:69], -v[24:25], v[30:31], 1.0
	v_fma_f64 v[28:29], v[28:29], v[66:67], v[28:29]
	v_div_scale_f64 v[66:67], s1, v[12:13], v[22:23], v[12:13]
	v_add_f64 v[70:71], -v[38:39], 1.0
	v_fma_f64 v[36:37], v[32:33], v[36:37], s[6:7]
	v_fma_f64 v[48:49], v[32:33], v[48:49], s[4:5]
	s_mov_b32 s4, 0x16c16967
	v_rsq_f64_e32 v[80:81], v[54:55]
	v_fma_f64 v[34:35], v[84:85], v[34:35], v[82:83]
	s_mov_b32 s5, 0xbf56c16c
	s_delay_alu instid0(SALU_CYCLE_1)
	v_fma_f64 v[50:51], v[26:27], v[50:51], s[4:5]
	v_fma_f64 v[30:31], v[30:31], v[68:69], v[30:31]
	v_mul_f64 v[68:69], v[8:9], 0.5
	v_mul_f64 v[82:83], v[96:97], v[28:29]
	v_add_f64 v[100:101], -v[70:71], 1.0
	v_fma_f64 v[48:49], v[32:33], v[48:49], s[4:5]
	s_mov_b32 s4, 0x55555555
	s_mov_b32 s5, 0x3fa55555
	v_fma_f64 v[4:5], v[26:27], v[34:35], -v[4:5]
	s_delay_alu instid0(TRANS32_DEP_1)
	v_mul_f64 v[102:103], v[54:55], v[80:81]
	v_mul_f64 v[80:81], v[80:81], 0.5
	v_mul_f64 v[34:35], v[32:33], v[32:33]
	v_fma_f64 v[50:51], v[26:27], v[50:51], s[4:5]
	v_mul_f64 v[86:87], v[66:67], v[30:31]
	v_fma_f64 v[36:37], v[98:99], v[36:37], v[68:69]
	v_mul_f64 v[68:69], v[26:27], v[26:27]
	v_fma_f64 v[14:15], -v[14:15], v[82:83], v[96:97]
	v_add_f64 v[38:39], v[100:101], -v[38:39]
	v_fma_f64 v[100:101], -v[80:81], v[102:103], 0.5
	v_fma_f64 v[24:25], -v[24:25], v[86:87], v[66:67]
	v_fma_f64 v[26:27], v[32:33], v[36:37], -v[8:9]
	v_fma_f64 v[32:33], v[32:33], v[48:49], s[4:5]
	s_mov_b32 s5, 0xbfc55555
	v_div_fmas_f64 v[14:15], v[14:15], v[28:29], v[82:83]
	s_mov_b32 vcc_lo, s1
	v_fma_f64 v[4:5], v[84:85], s[4:5], v[4:5]
	v_fma_f64 v[8:9], v[6:7], -v[8:9], v[38:39]
	v_fma_f64 v[38:39], v[68:69], v[50:51], v[52:53]
	v_cmp_class_f64_e64 s1, v[0:1], 0x1f8
	v_and_b32_e32 v0, 1, v19
	v_fma_f64 v[36:37], v[102:103], v[100:101], v[102:103]
	v_fma_f64 v[28:29], v[80:81], v[100:101], v[80:81]
	s_delay_alu instid0(VALU_DEP_3)
	v_cmp_eq_u32_e64 s2, 0, v0
	v_div_fmas_f64 v[24:25], v[24:25], v[30:31], v[86:87]
	v_fma_f64 v[26:27], v[98:99], s[4:5], v[26:27]
	v_add_f64 v[2:3], v[2:3], -v[4:5]
	v_fma_f64 v[8:9], v[34:35], v[32:33], v[8:9]
	v_add_f64 v[32:33], v[64:65], v[38:39]
	v_fma_f64 v[30:31], -v[36:37], v[36:37], v[54:55]
	v_div_fixup_f64 v[4:5], v[24:25], v[22:23], v[12:13]
	v_add_f64 v[6:7], v[6:7], -v[26:27]
	v_and_b32_e32 v22, 1, v18
	v_add_f64 v[8:9], v[70:71], v[8:9]
	s_delay_alu instid0(VALU_DEP_2)
	v_cmp_eq_u32_e32 vcc_lo, 0, v22
	v_cndmask_b32_e32 v2, v32, v2, vcc_lo
	v_fma_f64 v[12:13], v[30:31], v[28:29], v[36:37]
	v_mul_f64 v[4:5], v[10:11], v[4:5]
	v_lshlrev_b32_e32 v10, 30, v19
	v_xor_b32_e32 v7, 0x80000000, v7
	s_delay_alu instid0(VALU_DEP_2) | instskip(SKIP_1) | instid1(VALU_DEP_3)
	v_and_b32_e32 v0, 0x80000000, v10
	v_cndmask_b32_e64 v8, v6, v8, s2
	v_cndmask_b32_e64 v6, v7, v9, s2
	v_div_fixup_f64 v[10:11], v[14:15], v[16:17], v[20:21]
	s_delay_alu instid0(VALU_DEP_3) | instskip(NEXT) | instid1(VALU_DEP_3)
	v_cndmask_b32_e64 v8, 0, v8, s1
	v_xor_b32_e32 v9, v6, v0
	v_fma_f64 v[6:7], -v[12:13], v[12:13], v[54:55]
	v_cndmask_b32_e64 v0, 0, v2, s1
	v_lshlrev_b32_e32 v2, 30, v18
	s_delay_alu instid0(VALU_DEP_4) | instskip(NEXT) | instid1(VALU_DEP_2)
	v_cndmask_b32_e64 v9, 0x7ff80000, v9, s1
	v_xor_b32_e32 v1, v2, v1
	v_cndmask_b32_e32 v2, v33, v3, vcc_lo
	v_cmp_class_f64_e64 vcc_lo, v[54:55], 0x260
	s_delay_alu instid0(VALU_DEP_3) | instskip(NEXT) | instid1(VALU_DEP_1)
	v_and_b32_e32 v1, 0x80000000, v1
	v_xor_b32_e32 v1, v2, v1
	s_delay_alu instid0(VALU_DEP_1) | instskip(SKIP_2) | instid1(VALU_DEP_2)
	v_cndmask_b32_e64 v1, 0x7ff80000, v1, s1
	v_mul_f64 v[4:5], v[4:5], v[8:9]
	v_fma_f64 v[2:3], v[6:7], v[28:29], v[12:13]
	v_fma_f64 v[0:1], v[10:11], v[0:1], v[4:5]
	v_cndmask_b32_e64 v4, 0, 0xffffff80, s0
	s_mov_b32 s0, 0x33d43651
	s_mov_b32 s1, 0x3fe98845
	s_delay_alu instid0(VALU_DEP_1) | instskip(NEXT) | instid1(VALU_DEP_3)
	v_ldexp_f64 v[2:3], v[2:3], v4
	v_mul_f64 v[0:1], v[0:1], s[0:1]
	s_delay_alu instid0(VALU_DEP_2) | instskip(NEXT) | instid1(VALU_DEP_1)
	v_dual_cndmask_b32 v3, v3, v55 :: v_dual_cndmask_b32 v2, v2, v54
	v_div_scale_f64 v[4:5], null, v[2:3], v[2:3], v[0:1]
	s_delay_alu instid0(VALU_DEP_1) | instskip(SKIP_2) | instid1(VALU_DEP_1)
	v_rcp_f64_e32 v[6:7], v[4:5]
	s_waitcnt_depctr 0xfff
	v_fma_f64 v[8:9], -v[4:5], v[6:7], 1.0
	v_fma_f64 v[6:7], v[6:7], v[8:9], v[6:7]
	s_delay_alu instid0(VALU_DEP_1) | instskip(NEXT) | instid1(VALU_DEP_1)
	v_fma_f64 v[8:9], -v[4:5], v[6:7], 1.0
	v_fma_f64 v[6:7], v[6:7], v[8:9], v[6:7]
	v_div_scale_f64 v[8:9], vcc_lo, v[0:1], v[2:3], v[0:1]
	s_delay_alu instid0(VALU_DEP_1) | instskip(NEXT) | instid1(VALU_DEP_1)
	v_mul_f64 v[10:11], v[8:9], v[6:7]
	v_fma_f64 v[4:5], -v[4:5], v[10:11], v[8:9]
	s_delay_alu instid0(VALU_DEP_1) | instskip(NEXT) | instid1(VALU_DEP_1)
	v_div_fmas_f64 v[4:5], v[4:5], v[6:7], v[10:11]
	v_div_fixup_f64 v[62:63], v[4:5], v[2:3], v[0:1]
.LBB2_32:
	s_or_b32 exec_lo, exec_lo, s3
                                        ; implicit-def: $vgpr56_vgpr57
	s_delay_alu instid0(SALU_CYCLE_1)
	s_mov_b32 s0, exec_lo
	s_waitcnt vmcnt(0) lgkmcnt(0)
	v_cmpx_ge_f64_e32 0x40140000, v[41:42]
	s_xor_b32 s35, exec_lo, s0
	s_cbranch_execz .LBB2_38
; %bb.33:
	v_mov_b32_e32 v56, 0
	v_mov_b32_e32 v57, 0xfff00000
	s_mov_b32 s38, exec_lo
	v_cmpx_neq_f64_e32 0, v[41:42]
	s_cbranch_execz .LBB2_37
; %bb.34:
	v_mov_b32_e32 v56, 0
	v_mov_b32_e32 v57, 0x7ff80000
	s_mov_b32 s39, exec_lo
	v_cmpx_nge_f64_e32 0, v[41:42]
	s_cbranch_execz .LBB2_36
; %bb.35:
	v_mul_f64 v[0:1], v[41:42], v[41:42]
	s_mov_b32 s0, 0xa93f7ac2
	s_mov_b32 s1, 0x40829269
	s_mov_b32 s2, 0xa9c8acee
	s_mov_b32 s3, 0x419184ef
	s_delay_alu instid0(VALU_DEP_1)
	v_fma_f64 v[2:3], v[0:1], 0, s[0:1]
	s_mov_b32 s0, 0xbe58ef7f
	s_mov_b32 s1, 0x410cc160
	s_delay_alu instid0(VALU_DEP_1) | instid1(SALU_CYCLE_1)
	v_fma_f64 v[2:3], v[0:1], v[2:3], s[0:1]
	s_mov_b32 s0, 0x62f9b6c5
	s_mov_b32 s1, 0x41d2d2be
	s_delay_alu instid0(SALU_CYCLE_1) | instskip(SKIP_2) | instid1(VALU_DEP_2)
	v_fma_f64 v[4:5], v[0:1], 0, s[0:1]
	s_mov_b32 s0, 0x58836521
	s_mov_b32 s1, 0xc262d72d
	v_fma_f64 v[2:3], v[0:1], v[2:3], s[2:3]
	s_mov_b32 s2, 0x906b7b83
	s_mov_b32 s3, 0x421178c3
	s_delay_alu instid0(VALU_DEP_2) | instskip(SKIP_2) | instid1(VALU_DEP_2)
	v_fma_f64 v[4:5], v[0:1], v[4:5], s[0:1]
	s_mov_b32 s0, 0xb0910fef
	s_mov_b32 s1, 0x42da0954
	v_fma_f64 v[2:3], v[0:1], v[2:3], s[2:3]
	s_mov_b32 s2, 0xfda99316
	s_mov_b32 s3, 0x428c3f5e
	s_delay_alu instid0(VALU_DEP_2) | instskip(SKIP_2) | instid1(VALU_DEP_2)
	;; [unrolled: 7-line block ×4, first 2 shown]
	v_fma_f64 v[4:5], v[0:1], v[4:5], s[0:1]
	s_mov_b32 s0, 0x5dde2b17
	s_mov_b32 s1, 0xc3a59e41
	v_fma_f64 v[2:3], v[0:1], v[2:3], s[2:3]
	s_mov_b32 s2, 0x90f6747f
	s_mov_b32 s3, 0x43cb90f1
	s_delay_alu instid0(VALU_DEP_2) | instskip(SKIP_3) | instid1(VALU_DEP_2)
	v_fma_f64 v[4:5], v[0:1], v[4:5], s[0:1]
	s_getpc_b64 s[0:1]
	s_add_u32 s0, s0, _Z17bessel_j1_forwardIdET_S0_@rel32@lo+4
	s_addc_u32 s1, s1, _Z17bessel_j1_forwardIdET_S0_@rel32@hi+12
	v_fma_f64 v[0:1], v[0:1], v[2:3], s[2:3]
	s_delay_alu instid0(VALU_DEP_1) | instskip(NEXT) | instid1(VALU_DEP_1)
	v_div_scale_f64 v[2:3], null, v[0:1], v[0:1], v[4:5]
	v_rcp_f64_e32 v[6:7], v[2:3]
	s_waitcnt_depctr 0xfff
	v_fma_f64 v[8:9], -v[2:3], v[6:7], 1.0
	s_delay_alu instid0(VALU_DEP_1) | instskip(NEXT) | instid1(VALU_DEP_1)
	v_fma_f64 v[6:7], v[6:7], v[8:9], v[6:7]
	v_fma_f64 v[8:9], -v[2:3], v[6:7], 1.0
	s_delay_alu instid0(VALU_DEP_1) | instskip(SKIP_1) | instid1(VALU_DEP_1)
	v_fma_f64 v[6:7], v[6:7], v[8:9], v[6:7]
	v_div_scale_f64 v[8:9], vcc_lo, v[4:5], v[0:1], v[4:5]
	v_mul_f64 v[10:11], v[8:9], v[6:7]
	s_delay_alu instid0(VALU_DEP_1) | instskip(NEXT) | instid1(VALU_DEP_1)
	v_fma_f64 v[2:3], -v[2:3], v[10:11], v[8:9]
	v_div_fmas_f64 v[2:3], v[2:3], v[6:7], v[10:11]
	s_delay_alu instid0(VALU_DEP_1)
	v_div_fixup_f64 v[56:57], v[2:3], v[0:1], v[4:5]
	v_dual_mov_b32 v0, v41 :: v_dual_mov_b32 v1, v42
	s_swappc_b64 s[30:31], s[0:1]
	v_frexp_mant_f64_e32 v[2:3], v[41:42]
	s_mov_b32 s1, 0x3fe55555
	s_mov_b32 s0, 0x55555555
	v_mov_b32_e32 v4, 0
	s_mov_b32 s2, 0x6b47b09a
	s_mov_b32 s4, 0xbf559e2b
	;; [unrolled: 1-line block ×4, first 2 shown]
	v_div_scale_f64 v[18:19], null, v[41:42], v[41:42], -1.0
	s_delay_alu instid0(VALU_DEP_3) | instskip(SKIP_1) | instid1(VALU_DEP_2)
	v_cmp_gt_f64_e32 vcc_lo, s[0:1], v[2:3]
	s_mov_b32 s0, 0x55555780
	v_rcp_f64_e32 v[22:23], v[18:19]
	v_cndmask_b32_e64 v5, 0x3ff00000, 2.0, vcc_lo
	s_delay_alu instid0(VALU_DEP_1) | instskip(NEXT) | instid1(VALU_DEP_1)
	v_mul_f64 v[2:3], v[2:3], v[4:5]
	v_add_f64 v[4:5], v[2:3], 1.0
	v_add_f64 v[10:11], v[2:3], -1.0
	s_delay_alu instid0(VALU_DEP_2) | instskip(SKIP_1) | instid1(VALU_DEP_1)
	v_rcp_f64_e32 v[6:7], v[4:5]
	v_add_f64 v[12:13], v[4:5], -1.0
	v_add_f64 v[2:3], v[2:3], -v[12:13]
	s_waitcnt_depctr 0xfff
	v_fma_f64 v[8:9], -v[4:5], v[6:7], 1.0
	s_delay_alu instid0(VALU_DEP_1) | instskip(NEXT) | instid1(VALU_DEP_1)
	v_fma_f64 v[6:7], v[8:9], v[6:7], v[6:7]
	v_fma_f64 v[8:9], -v[4:5], v[6:7], 1.0
	s_delay_alu instid0(VALU_DEP_1) | instskip(NEXT) | instid1(VALU_DEP_1)
	v_fma_f64 v[6:7], v[8:9], v[6:7], v[6:7]
	v_mul_f64 v[8:9], v[10:11], v[6:7]
	s_delay_alu instid0(VALU_DEP_1) | instskip(NEXT) | instid1(VALU_DEP_1)
	v_mul_f64 v[14:15], v[4:5], v[8:9]
	v_fma_f64 v[4:5], v[8:9], v[4:5], -v[14:15]
	s_delay_alu instid0(VALU_DEP_1) | instskip(NEXT) | instid1(VALU_DEP_1)
	v_fma_f64 v[2:3], v[8:9], v[2:3], v[4:5]
	v_add_f64 v[4:5], v[14:15], v[2:3]
	s_delay_alu instid0(VALU_DEP_1) | instskip(SKIP_1) | instid1(VALU_DEP_2)
	v_add_f64 v[12:13], v[10:11], -v[4:5]
	v_add_f64 v[14:15], v[4:5], -v[14:15]
	;; [unrolled: 1-line block ×3, first 2 shown]
	s_delay_alu instid0(VALU_DEP_2) | instskip(SKIP_1) | instid1(VALU_DEP_3)
	v_add_f64 v[2:3], v[14:15], -v[2:3]
	v_frexp_exp_i32_f64_e32 v14, v[41:42]
	v_add_f64 v[4:5], v[10:11], -v[4:5]
	s_delay_alu instid0(VALU_DEP_1) | instskip(NEXT) | instid1(VALU_DEP_1)
	v_add_f64 v[2:3], v[2:3], v[4:5]
	v_add_f64 v[2:3], v[12:13], v[2:3]
	s_delay_alu instid0(VALU_DEP_1) | instskip(NEXT) | instid1(VALU_DEP_1)
	v_mul_f64 v[2:3], v[6:7], v[2:3]
	v_add_f64 v[4:5], v[8:9], v[2:3]
	s_delay_alu instid0(VALU_DEP_1) | instskip(NEXT) | instid1(VALU_DEP_1)
	v_mul_f64 v[6:7], v[4:5], v[4:5]
	v_fma_f64 v[10:11], v[6:7], s[4:5], s[2:3]
	s_mov_b32 s2, 0xd7f4df2e
	s_mov_b32 s3, 0x3fc7474d
	v_mul_f64 v[12:13], v[4:5], v[6:7]
	s_delay_alu instid0(VALU_DEP_2)
	v_fma_f64 v[10:11], v[6:7], v[10:11], s[2:3]
	s_mov_b32 s2, 0x16291751
	s_mov_b32 s3, 0x3fcc71c0
	s_delay_alu instid0(VALU_DEP_1) | instid1(SALU_CYCLE_1)
	v_fma_f64 v[10:11], v[6:7], v[10:11], s[2:3]
	s_mov_b32 s2, 0x9b27acf1
	s_mov_b32 s3, 0x3fd24924
	s_delay_alu instid0(VALU_DEP_1) | instid1(SALU_CYCLE_1)
	v_fma_f64 v[10:11], v[6:7], v[10:11], s[2:3]
	s_mov_b32 s2, 0x998ef7b6
	s_mov_b32 s3, 0x3fd99999
	s_delay_alu instid0(VALU_DEP_1) | instid1(SALU_CYCLE_1)
	v_fma_f64 v[10:11], v[6:7], v[10:11], s[2:3]
	s_delay_alu instid0(VALU_DEP_1) | instskip(SKIP_4) | instid1(VALU_DEP_3)
	v_fma_f64 v[6:7], v[6:7], v[10:11], s[0:1]
	v_ldexp_f64 v[10:11], v[4:5], 1
	v_add_f64 v[4:5], v[4:5], -v[8:9]
	s_mov_b32 s0, 0xfefa39ef
	s_mov_b32 s1, 0x3fe62e42
	v_mul_f64 v[6:7], v[12:13], v[6:7]
	v_subrev_co_ci_u32_e32 v12, vcc_lo, 0, v14, vcc_lo
	s_delay_alu instid0(VALU_DEP_3) | instskip(NEXT) | instid1(VALU_DEP_2)
	v_add_f64 v[2:3], v[2:3], -v[4:5]
	v_cvt_f64_i32_e32 v[12:13], v12
	s_delay_alu instid0(VALU_DEP_4) | instskip(NEXT) | instid1(VALU_DEP_3)
	v_add_f64 v[8:9], v[10:11], v[6:7]
	v_ldexp_f64 v[2:3], v[2:3], 1
	s_delay_alu instid0(VALU_DEP_3) | instskip(NEXT) | instid1(VALU_DEP_3)
	v_mul_f64 v[14:15], v[12:13], s[0:1]
	v_add_f64 v[4:5], v[8:9], -v[10:11]
	s_delay_alu instid0(VALU_DEP_2) | instskip(SKIP_2) | instid1(VALU_DEP_2)
	v_fma_f64 v[10:11], v[12:13], s[0:1], -v[14:15]
	s_mov_b32 s0, 0x3b39803f
	s_mov_b32 s1, 0x3c7abc9e
	v_add_f64 v[4:5], v[6:7], -v[4:5]
	s_delay_alu instid0(VALU_DEP_2) | instskip(SKIP_2) | instid1(VALU_DEP_2)
	v_fma_f64 v[6:7], v[12:13], s[0:1], v[10:11]
	s_mov_b32 s0, 0x6dc9c883
	s_mov_b32 s1, 0x3fe45f30
	v_add_f64 v[2:3], v[2:3], v[4:5]
	s_delay_alu instid0(VALU_DEP_2) | instskip(NEXT) | instid1(VALU_DEP_2)
	v_add_f64 v[4:5], v[14:15], v[6:7]
	v_add_f64 v[10:11], v[8:9], v[2:3]
	s_delay_alu instid0(VALU_DEP_2) | instskip(NEXT) | instid1(VALU_DEP_2)
	v_add_f64 v[14:15], v[4:5], -v[14:15]
	v_add_f64 v[12:13], v[4:5], v[10:11]
	v_add_f64 v[8:9], v[10:11], -v[8:9]
	s_delay_alu instid0(VALU_DEP_3) | instskip(NEXT) | instid1(VALU_DEP_3)
	v_add_f64 v[6:7], v[6:7], -v[14:15]
	v_add_f64 v[16:17], v[12:13], -v[4:5]
	s_delay_alu instid0(VALU_DEP_3) | instskip(NEXT) | instid1(VALU_DEP_2)
	v_add_f64 v[2:3], v[2:3], -v[8:9]
	v_add_f64 v[20:21], v[12:13], -v[16:17]
	v_add_f64 v[8:9], v[10:11], -v[16:17]
	v_fma_f64 v[10:11], -v[18:19], v[22:23], 1.0
	s_delay_alu instid0(VALU_DEP_4) | instskip(NEXT) | instid1(VALU_DEP_4)
	v_add_f64 v[14:15], v[6:7], v[2:3]
	v_add_f64 v[4:5], v[4:5], -v[20:21]
	s_delay_alu instid0(VALU_DEP_1) | instskip(NEXT) | instid1(VALU_DEP_4)
	v_add_f64 v[4:5], v[8:9], v[4:5]
	v_fma_f64 v[8:9], v[22:23], v[10:11], v[22:23]
	s_delay_alu instid0(VALU_DEP_4) | instskip(SKIP_1) | instid1(VALU_DEP_4)
	v_add_f64 v[10:11], v[14:15], -v[6:7]
	v_div_scale_f64 v[22:23], vcc_lo, -1.0, v[41:42], -1.0
	v_add_f64 v[4:5], v[14:15], v[4:5]
	s_delay_alu instid0(VALU_DEP_4) | instskip(NEXT) | instid1(VALU_DEP_4)
	v_fma_f64 v[16:17], -v[18:19], v[8:9], 1.0
	v_add_f64 v[14:15], v[14:15], -v[10:11]
	v_add_f64 v[2:3], v[2:3], -v[10:11]
	s_delay_alu instid0(VALU_DEP_4) | instskip(NEXT) | instid1(VALU_DEP_4)
	v_add_f64 v[20:21], v[12:13], v[4:5]
	v_fma_f64 v[8:9], v[8:9], v[16:17], v[8:9]
	s_delay_alu instid0(VALU_DEP_4) | instskip(NEXT) | instid1(VALU_DEP_3)
	v_add_f64 v[6:7], v[6:7], -v[14:15]
	v_add_f64 v[10:11], v[20:21], -v[12:13]
	s_delay_alu instid0(VALU_DEP_3) | instskip(NEXT) | instid1(VALU_DEP_3)
	v_mul_f64 v[12:13], v[22:23], v[8:9]
	v_add_f64 v[2:3], v[2:3], v[6:7]
	s_delay_alu instid0(VALU_DEP_3) | instskip(NEXT) | instid1(VALU_DEP_3)
	v_add_f64 v[4:5], v[4:5], -v[10:11]
	v_fma_f64 v[6:7], -v[18:19], v[12:13], v[22:23]
	s_delay_alu instid0(VALU_DEP_2) | instskip(NEXT) | instid1(VALU_DEP_2)
	v_add_f64 v[2:3], v[2:3], v[4:5]
	v_div_fmas_f64 v[4:5], v[6:7], v[8:9], v[12:13]
	s_delay_alu instid0(VALU_DEP_2) | instskip(NEXT) | instid1(VALU_DEP_2)
	v_add_f64 v[2:3], v[20:21], v[2:3]
	v_div_fixup_f64 v[4:5], v[4:5], v[41:42], -1.0
	s_delay_alu instid0(VALU_DEP_1) | instskip(NEXT) | instid1(VALU_DEP_1)
	v_fma_f64 v[0:1], v[2:3], v[0:1], v[4:5]
	v_mul_f64 v[0:1], v[0:1], s[0:1]
	s_delay_alu instid0(VALU_DEP_1)
	v_fma_f64 v[56:57], v[41:42], v[56:57], v[0:1]
.LBB2_36:
	s_or_b32 exec_lo, exec_lo, s39
.LBB2_37:
	s_delay_alu instid0(SALU_CYCLE_1)
	s_or_b32 exec_lo, exec_lo, s38
.LBB2_38:
	s_and_not1_saveexec_b32 s3, s35
	s_cbranch_execz .LBB2_48
; %bb.39:
	s_mov_b32 s0, 0x7f3321d2
	s_mov_b32 s1, 0xc002d97c
                                        ; implicit-def: $vgpr18
                                        ; implicit-def: $vgpr2_vgpr3
                                        ; implicit-def: $vgpr4_vgpr5
	s_delay_alu instid0(SALU_CYCLE_1) | instskip(NEXT) | instid1(VALU_DEP_1)
	v_add_f64 v[0:1], v[41:42], s[0:1]
	v_cmp_ngt_f64_e64 s1, 0x41d00000, |v[0:1]|
	v_trig_preop_f64 v[14:15], |v[0:1]|, 0
	v_trig_preop_f64 v[12:13], |v[0:1]|, 1
	v_ldexp_f64 v[16:17], |v[0:1]|, 0xffffff80
	v_trig_preop_f64 v[10:11], |v[0:1]|, 2
	v_and_b32_e32 v20, 0x7fffffff, v1
	s_and_saveexec_b32 s0, s1
	s_delay_alu instid0(SALU_CYCLE_1)
	s_xor_b32 s2, exec_lo, s0
	s_cbranch_execz .LBB2_41
; %bb.40:
	v_cmp_le_f64_e64 vcc_lo, 0x7b000000, |v[0:1]|
	v_mov_b32_e32 v31, 0
	s_mov_b32 s4, 0x54442d18
	s_mov_b32 s5, 0x3ff921fb
	;; [unrolled: 1-line block ×4, first 2 shown]
	v_cndmask_b32_e32 v3, v20, v17, vcc_lo
	v_cndmask_b32_e32 v2, v0, v16, vcc_lo
	s_delay_alu instid0(VALU_DEP_1) | instskip(SKIP_1) | instid1(VALU_DEP_2)
	v_mul_f64 v[4:5], v[14:15], v[2:3]
	v_mul_f64 v[6:7], v[12:13], v[2:3]
	v_fma_f64 v[8:9], v[14:15], v[2:3], -v[4:5]
	s_delay_alu instid0(VALU_DEP_2) | instskip(NEXT) | instid1(VALU_DEP_2)
	v_fma_f64 v[29:30], v[12:13], v[2:3], -v[6:7]
	v_add_f64 v[18:19], v[6:7], v[8:9]
	s_delay_alu instid0(VALU_DEP_1) | instskip(SKIP_1) | instid1(VALU_DEP_2)
	v_add_f64 v[21:22], v[18:19], -v[6:7]
	v_add_f64 v[25:26], v[4:5], v[18:19]
	v_add_f64 v[23:24], v[18:19], -v[21:22]
	v_add_f64 v[8:9], v[8:9], -v[21:22]
	s_delay_alu instid0(VALU_DEP_3) | instskip(SKIP_1) | instid1(VALU_DEP_4)
	v_ldexp_f64 v[21:22], v[25:26], -2
	v_add_f64 v[4:5], v[25:26], -v[4:5]
	v_add_f64 v[6:7], v[6:7], -v[23:24]
	s_delay_alu instid0(VALU_DEP_3) | instskip(NEXT) | instid1(VALU_DEP_3)
	v_cmp_neq_f64_e64 vcc_lo, 0x7ff00000, |v[21:22]|
	v_add_f64 v[4:5], v[18:19], -v[4:5]
	s_delay_alu instid0(VALU_DEP_3) | instskip(SKIP_1) | instid1(VALU_DEP_1)
	v_add_f64 v[6:7], v[8:9], v[6:7]
	v_fract_f64_e32 v[8:9], v[21:22]
	v_dual_cndmask_b32 v9, 0, v9 :: v_dual_cndmask_b32 v8, 0, v8
	v_mul_f64 v[27:28], v[10:11], v[2:3]
	s_delay_alu instid0(VALU_DEP_2) | instskip(NEXT) | instid1(VALU_DEP_2)
	v_ldexp_f64 v[8:9], v[8:9], 2
	v_add_f64 v[23:24], v[27:28], v[29:30]
	v_fma_f64 v[2:3], v[10:11], v[2:3], -v[27:28]
	s_delay_alu instid0(VALU_DEP_2) | instskip(NEXT) | instid1(VALU_DEP_1)
	v_add_f64 v[18:19], v[23:24], v[6:7]
	v_add_f64 v[21:22], v[4:5], v[18:19]
	s_delay_alu instid0(VALU_DEP_1) | instskip(SKIP_1) | instid1(VALU_DEP_2)
	v_add_f64 v[25:26], v[21:22], v[8:9]
	v_add_f64 v[4:5], v[21:22], -v[4:5]
	v_cmp_gt_f64_e32 vcc_lo, 0, v[25:26]
	v_add_f64 v[25:26], v[23:24], -v[27:28]
	s_delay_alu instid0(VALU_DEP_3) | instskip(SKIP_1) | instid1(VALU_DEP_3)
	v_add_f64 v[4:5], v[18:19], -v[4:5]
	v_cndmask_b32_e64 v32, 0, 0x40100000, vcc_lo
	v_add_f64 v[36:37], v[23:24], -v[25:26]
	v_add_f64 v[25:26], v[29:30], -v[25:26]
	s_delay_alu instid0(VALU_DEP_3) | instskip(SKIP_1) | instid1(VALU_DEP_4)
	v_add_f64 v[8:9], v[8:9], v[31:32]
	v_add_f64 v[32:33], v[18:19], -v[23:24]
	v_add_f64 v[29:30], v[27:28], -v[36:37]
	s_delay_alu instid0(VALU_DEP_3) | instskip(NEXT) | instid1(VALU_DEP_3)
	v_add_f64 v[34:35], v[21:22], v[8:9]
	v_add_f64 v[38:39], v[18:19], -v[32:33]
	v_add_f64 v[6:7], v[6:7], -v[32:33]
	s_delay_alu instid0(VALU_DEP_4) | instskip(NEXT) | instid1(VALU_DEP_4)
	v_add_f64 v[25:26], v[25:26], v[29:30]
	v_cvt_i32_f64_e32 v34, v[34:35]
	s_delay_alu instid0(VALU_DEP_4) | instskip(NEXT) | instid1(VALU_DEP_2)
	v_add_f64 v[23:24], v[23:24], -v[38:39]
	v_cvt_f64_i32_e32 v[32:33], v34
	s_delay_alu instid0(VALU_DEP_2) | instskip(NEXT) | instid1(VALU_DEP_2)
	v_add_f64 v[6:7], v[6:7], v[23:24]
	v_add_f64 v[8:9], v[8:9], -v[32:33]
	s_delay_alu instid0(VALU_DEP_2) | instskip(NEXT) | instid1(VALU_DEP_2)
	v_add_f64 v[6:7], v[25:26], v[6:7]
	v_add_f64 v[23:24], v[21:22], v[8:9]
	s_delay_alu instid0(VALU_DEP_2) | instskip(NEXT) | instid1(VALU_DEP_2)
	v_add_f64 v[2:3], v[2:3], v[6:7]
	v_add_f64 v[6:7], v[23:24], -v[8:9]
	v_cmp_le_f64_e32 vcc_lo, 0.5, v[23:24]
	s_delay_alu instid0(VALU_DEP_3) | instskip(NEXT) | instid1(VALU_DEP_3)
	v_add_f64 v[2:3], v[4:5], v[2:3]
	v_add_f64 v[4:5], v[21:22], -v[6:7]
	v_cndmask_b32_e64 v32, 0, 0x3ff00000, vcc_lo
	v_add_co_ci_u32_e64 v18, s0, 0, v34, vcc_lo
	s_delay_alu instid0(VALU_DEP_3) | instskip(NEXT) | instid1(VALU_DEP_3)
	v_add_f64 v[2:3], v[2:3], v[4:5]
	v_add_f64 v[4:5], v[23:24], -v[31:32]
	s_delay_alu instid0(VALU_DEP_1) | instskip(NEXT) | instid1(VALU_DEP_1)
	v_add_f64 v[6:7], v[4:5], v[2:3]
	v_mul_f64 v[8:9], v[6:7], s[4:5]
	v_add_f64 v[4:5], v[6:7], -v[4:5]
	s_delay_alu instid0(VALU_DEP_2) | instskip(NEXT) | instid1(VALU_DEP_2)
	v_fma_f64 v[21:22], v[6:7], s[4:5], -v[8:9]
	v_add_f64 v[2:3], v[2:3], -v[4:5]
	s_delay_alu instid0(VALU_DEP_2) | instskip(NEXT) | instid1(VALU_DEP_1)
	v_fma_f64 v[4:5], v[6:7], s[6:7], v[21:22]
	v_fma_f64 v[4:5], v[2:3], s[4:5], v[4:5]
	s_delay_alu instid0(VALU_DEP_1) | instskip(NEXT) | instid1(VALU_DEP_1)
	v_add_f64 v[2:3], v[8:9], v[4:5]
	v_add_f64 v[6:7], v[2:3], -v[8:9]
	s_delay_alu instid0(VALU_DEP_1)
	v_add_f64 v[4:5], v[4:5], -v[6:7]
	s_and_not1_saveexec_b32 s0, s2
	s_cbranch_execz .LBB2_43
	s_branch .LBB2_42
.LBB2_41:
	s_and_not1_saveexec_b32 s0, s2
	s_cbranch_execz .LBB2_43
.LBB2_42:
	s_mov_b32 s4, 0x6dc9c883
	s_mov_b32 s5, 0x3fe45f30
	;; [unrolled: 1-line block ×3, first 2 shown]
	v_mul_f64 v[2:3], |v[0:1]|, s[4:5]
	s_mov_b32 s4, 0x54442d18
	s_mov_b32 s5, 0xbff921fb
	;; [unrolled: 1-line block ×3, first 2 shown]
	s_delay_alu instid0(VALU_DEP_1) | instskip(NEXT) | instid1(VALU_DEP_1)
	v_rndne_f64_e32 v[6:7], v[2:3]
	v_fma_f64 v[2:3], v[6:7], s[4:5], |v[0:1]|
	v_mul_f64 v[4:5], v[6:7], s[6:7]
	s_mov_b32 s4, 0x252049c0
	s_mov_b32 s5, 0xb97b839a
	s_delay_alu instid0(VALU_DEP_2) | instskip(NEXT) | instid1(VALU_DEP_2)
	v_fma_f64 v[18:19], v[6:7], s[6:7], v[2:3]
	v_add_f64 v[8:9], v[2:3], v[4:5]
	s_mov_b32 s7, 0x3c91a626
	s_delay_alu instid0(VALU_DEP_1) | instskip(NEXT) | instid1(VALU_DEP_3)
	v_add_f64 v[2:3], v[2:3], -v[8:9]
	v_add_f64 v[8:9], v[8:9], -v[18:19]
	s_delay_alu instid0(VALU_DEP_2) | instskip(SKIP_1) | instid1(VALU_DEP_2)
	v_add_f64 v[2:3], v[2:3], v[4:5]
	v_fma_f64 v[4:5], v[6:7], s[6:7], v[4:5]
	v_add_f64 v[2:3], v[8:9], v[2:3]
	s_delay_alu instid0(VALU_DEP_1) | instskip(NEXT) | instid1(VALU_DEP_1)
	v_add_f64 v[2:3], v[2:3], -v[4:5]
	v_fma_f64 v[4:5], v[6:7], s[4:5], v[2:3]
	s_delay_alu instid0(VALU_DEP_1) | instskip(NEXT) | instid1(VALU_DEP_1)
	v_add_f64 v[2:3], v[18:19], v[4:5]
	v_add_f64 v[8:9], v[2:3], -v[18:19]
	v_cvt_i32_f64_e32 v18, v[6:7]
	s_delay_alu instid0(VALU_DEP_2)
	v_add_f64 v[4:5], v[4:5], -v[8:9]
.LBB2_43:
	s_or_b32 exec_lo, exec_lo, s0
                                        ; implicit-def: $vgpr19
                                        ; implicit-def: $vgpr6_vgpr7
                                        ; implicit-def: $vgpr8_vgpr9
	s_and_saveexec_b32 s0, s1
	s_delay_alu instid0(SALU_CYCLE_1)
	s_xor_b32 s1, exec_lo, s0
	s_cbranch_execz .LBB2_45
; %bb.44:
	v_cmp_le_f64_e64 vcc_lo, 0x7b000000, |v[0:1]|
	v_mov_b32_e32 v29, 0
	s_mov_b32 s4, 0x54442d18
	s_mov_b32 s5, 0x3ff921fb
	;; [unrolled: 1-line block ×4, first 2 shown]
	v_cndmask_b32_e32 v7, v20, v17, vcc_lo
	v_cndmask_b32_e32 v6, v0, v16, vcc_lo
	s_delay_alu instid0(VALU_DEP_1) | instskip(SKIP_1) | instid1(VALU_DEP_2)
	v_mul_f64 v[8:9], v[14:15], v[6:7]
	v_mul_f64 v[16:17], v[12:13], v[6:7]
	v_fma_f64 v[14:15], v[14:15], v[6:7], -v[8:9]
	s_delay_alu instid0(VALU_DEP_2) | instskip(NEXT) | instid1(VALU_DEP_2)
	v_fma_f64 v[12:13], v[12:13], v[6:7], -v[16:17]
	v_add_f64 v[19:20], v[16:17], v[14:15]
	s_delay_alu instid0(VALU_DEP_1) | instskip(SKIP_1) | instid1(VALU_DEP_2)
	v_add_f64 v[21:22], v[19:20], -v[16:17]
	v_add_f64 v[25:26], v[8:9], v[19:20]
	v_add_f64 v[23:24], v[19:20], -v[21:22]
	v_add_f64 v[14:15], v[14:15], -v[21:22]
	s_delay_alu instid0(VALU_DEP_3) | instskip(SKIP_1) | instid1(VALU_DEP_4)
	v_ldexp_f64 v[21:22], v[25:26], -2
	v_add_f64 v[8:9], v[25:26], -v[8:9]
	v_add_f64 v[16:17], v[16:17], -v[23:24]
	s_delay_alu instid0(VALU_DEP_3) | instskip(NEXT) | instid1(VALU_DEP_3)
	v_cmp_neq_f64_e64 vcc_lo, 0x7ff00000, |v[21:22]|
	v_add_f64 v[8:9], v[19:20], -v[8:9]
	s_delay_alu instid0(VALU_DEP_3) | instskip(SKIP_1) | instid1(VALU_DEP_1)
	v_add_f64 v[14:15], v[14:15], v[16:17]
	v_fract_f64_e32 v[16:17], v[21:22]
	v_dual_cndmask_b32 v17, 0, v17 :: v_dual_cndmask_b32 v16, 0, v16
	v_mul_f64 v[27:28], v[10:11], v[6:7]
	s_delay_alu instid0(VALU_DEP_2) | instskip(NEXT) | instid1(VALU_DEP_2)
	v_ldexp_f64 v[16:17], v[16:17], 2
	v_add_f64 v[23:24], v[27:28], v[12:13]
	v_fma_f64 v[6:7], v[10:11], v[6:7], -v[27:28]
	s_delay_alu instid0(VALU_DEP_2) | instskip(NEXT) | instid1(VALU_DEP_1)
	v_add_f64 v[19:20], v[23:24], v[14:15]
	v_add_f64 v[21:22], v[8:9], v[19:20]
	s_delay_alu instid0(VALU_DEP_1) | instskip(SKIP_1) | instid1(VALU_DEP_2)
	v_add_f64 v[25:26], v[21:22], v[16:17]
	v_add_f64 v[8:9], v[21:22], -v[8:9]
	v_cmp_gt_f64_e32 vcc_lo, 0, v[25:26]
	v_add_f64 v[25:26], v[23:24], -v[27:28]
	s_delay_alu instid0(VALU_DEP_3) | instskip(SKIP_1) | instid1(VALU_DEP_3)
	v_add_f64 v[8:9], v[19:20], -v[8:9]
	v_cndmask_b32_e64 v30, 0, 0x40100000, vcc_lo
	v_add_f64 v[34:35], v[23:24], -v[25:26]
	v_add_f64 v[12:13], v[12:13], -v[25:26]
	s_delay_alu instid0(VALU_DEP_3) | instskip(SKIP_1) | instid1(VALU_DEP_4)
	v_add_f64 v[16:17], v[16:17], v[29:30]
	v_add_f64 v[30:31], v[19:20], -v[23:24]
	v_add_f64 v[25:26], v[27:28], -v[34:35]
	s_delay_alu instid0(VALU_DEP_3) | instskip(NEXT) | instid1(VALU_DEP_3)
	v_add_f64 v[32:33], v[21:22], v[16:17]
	v_add_f64 v[36:37], v[19:20], -v[30:31]
	v_add_f64 v[14:15], v[14:15], -v[30:31]
	s_delay_alu instid0(VALU_DEP_4) | instskip(NEXT) | instid1(VALU_DEP_4)
	v_add_f64 v[12:13], v[12:13], v[25:26]
	v_cvt_i32_f64_e32 v32, v[32:33]
	s_delay_alu instid0(VALU_DEP_4) | instskip(NEXT) | instid1(VALU_DEP_2)
	v_add_f64 v[23:24], v[23:24], -v[36:37]
	v_cvt_f64_i32_e32 v[30:31], v32
	s_delay_alu instid0(VALU_DEP_2) | instskip(NEXT) | instid1(VALU_DEP_2)
	v_add_f64 v[14:15], v[14:15], v[23:24]
	v_add_f64 v[16:17], v[16:17], -v[30:31]
	s_delay_alu instid0(VALU_DEP_2) | instskip(NEXT) | instid1(VALU_DEP_2)
	v_add_f64 v[10:11], v[12:13], v[14:15]
	v_add_f64 v[12:13], v[21:22], v[16:17]
	s_delay_alu instid0(VALU_DEP_2) | instskip(NEXT) | instid1(VALU_DEP_2)
	v_add_f64 v[6:7], v[6:7], v[10:11]
	v_add_f64 v[10:11], v[12:13], -v[16:17]
	v_cmp_le_f64_e32 vcc_lo, 0.5, v[12:13]
	s_delay_alu instid0(VALU_DEP_3) | instskip(NEXT) | instid1(VALU_DEP_3)
	v_add_f64 v[6:7], v[8:9], v[6:7]
	v_add_f64 v[8:9], v[21:22], -v[10:11]
	v_cndmask_b32_e64 v30, 0, 0x3ff00000, vcc_lo
	v_add_co_ci_u32_e64 v19, s0, 0, v32, vcc_lo
	s_delay_alu instid0(VALU_DEP_3) | instskip(NEXT) | instid1(VALU_DEP_3)
	v_add_f64 v[6:7], v[6:7], v[8:9]
	v_add_f64 v[8:9], v[12:13], -v[29:30]
	s_delay_alu instid0(VALU_DEP_1) | instskip(NEXT) | instid1(VALU_DEP_1)
	v_add_f64 v[10:11], v[8:9], v[6:7]
	v_mul_f64 v[12:13], v[10:11], s[4:5]
	v_add_f64 v[8:9], v[10:11], -v[8:9]
	s_delay_alu instid0(VALU_DEP_2) | instskip(NEXT) | instid1(VALU_DEP_2)
	v_fma_f64 v[14:15], v[10:11], s[4:5], -v[12:13]
	v_add_f64 v[6:7], v[6:7], -v[8:9]
	s_delay_alu instid0(VALU_DEP_2) | instskip(NEXT) | instid1(VALU_DEP_1)
	v_fma_f64 v[8:9], v[10:11], s[6:7], v[14:15]
	v_fma_f64 v[8:9], v[6:7], s[4:5], v[8:9]
	s_delay_alu instid0(VALU_DEP_1) | instskip(NEXT) | instid1(VALU_DEP_1)
	v_add_f64 v[6:7], v[12:13], v[8:9]
	v_add_f64 v[10:11], v[6:7], -v[12:13]
	s_delay_alu instid0(VALU_DEP_1)
	v_add_f64 v[8:9], v[8:9], -v[10:11]
	s_and_not1_saveexec_b32 s0, s1
	s_cbranch_execnz .LBB2_46
	s_branch .LBB2_47
.LBB2_45:
	s_and_not1_saveexec_b32 s0, s1
	s_cbranch_execz .LBB2_47
.LBB2_46:
	s_mov_b32 s4, 0x6dc9c883
	s_mov_b32 s5, 0x3fe45f30
	;; [unrolled: 1-line block ×3, first 2 shown]
	v_mul_f64 v[6:7], |v[0:1]|, s[4:5]
	s_mov_b32 s4, 0x54442d18
	s_mov_b32 s5, 0xbff921fb
	;; [unrolled: 1-line block ×3, first 2 shown]
	s_delay_alu instid0(VALU_DEP_1) | instskip(NEXT) | instid1(VALU_DEP_1)
	v_rndne_f64_e32 v[10:11], v[6:7]
	v_fma_f64 v[6:7], v[10:11], s[4:5], |v[0:1]|
	v_mul_f64 v[8:9], v[10:11], s[6:7]
	s_mov_b32 s4, 0x252049c0
	s_mov_b32 s5, 0xb97b839a
	v_cvt_i32_f64_e32 v19, v[10:11]
	s_delay_alu instid0(VALU_DEP_3) | instskip(NEXT) | instid1(VALU_DEP_3)
	v_fma_f64 v[14:15], v[10:11], s[6:7], v[6:7]
	v_add_f64 v[12:13], v[6:7], v[8:9]
	s_mov_b32 s7, 0x3c91a626
	s_delay_alu instid0(VALU_DEP_1) | instskip(NEXT) | instid1(VALU_DEP_3)
	v_add_f64 v[6:7], v[6:7], -v[12:13]
	v_add_f64 v[12:13], v[12:13], -v[14:15]
	s_delay_alu instid0(VALU_DEP_2) | instskip(SKIP_1) | instid1(VALU_DEP_2)
	v_add_f64 v[6:7], v[6:7], v[8:9]
	v_fma_f64 v[8:9], v[10:11], s[6:7], v[8:9]
	v_add_f64 v[6:7], v[12:13], v[6:7]
	s_delay_alu instid0(VALU_DEP_1) | instskip(NEXT) | instid1(VALU_DEP_1)
	v_add_f64 v[6:7], v[6:7], -v[8:9]
	v_fma_f64 v[8:9], v[10:11], s[4:5], v[6:7]
	s_delay_alu instid0(VALU_DEP_1) | instskip(NEXT) | instid1(VALU_DEP_1)
	v_add_f64 v[6:7], v[14:15], v[8:9]
	v_add_f64 v[12:13], v[6:7], -v[14:15]
	s_delay_alu instid0(VALU_DEP_1)
	v_add_f64 v[8:9], v[8:9], -v[12:13]
.LBB2_47:
	s_or_b32 exec_lo, exec_lo, s0
	v_div_scale_f64 v[10:11], null, v[41:42], v[41:42], 0x40140000
	v_div_scale_f64 v[16:17], vcc_lo, 0x40140000, v[41:42], 0x40140000
	s_mov_b32 s0, 0x6b70ba40
	s_mov_b32 s1, 0x3faa27fa
	;; [unrolled: 1-line block ×6, first 2 shown]
	v_mul_f64 v[26:27], v[2:3], v[2:3]
	v_mul_f64 v[32:33], v[6:7], v[6:7]
	s_mov_b32 s8, 0x796cde01
	s_mov_b32 s9, 0x3ec71de3
	v_mul_f64 v[82:83], v[4:5], 0.5
	v_rcp_f64_e32 v[12:13], v[10:11]
	s_delay_alu instid0(VALU_DEP_3) | instskip(SKIP_1) | instid1(VALU_DEP_4)
	v_mul_f64 v[52:53], v[26:27], 0.5
	v_mul_f64 v[84:85], v[2:3], -v[26:27]
	v_mul_f64 v[98:99], v[6:7], -v[32:33]
	s_waitcnt_depctr 0xfff
	v_fma_f64 v[14:15], -v[10:11], v[12:13], 1.0
	v_add_f64 v[64:65], -v[52:53], 1.0
	s_delay_alu instid0(VALU_DEP_2) | instskip(NEXT) | instid1(VALU_DEP_2)
	v_fma_f64 v[12:13], v[12:13], v[14:15], v[12:13]
	v_add_f64 v[86:87], -v[64:65], 1.0
	s_delay_alu instid0(VALU_DEP_2) | instskip(NEXT) | instid1(VALU_DEP_2)
	v_fma_f64 v[14:15], -v[10:11], v[12:13], 1.0
	v_add_f64 v[52:53], v[86:87], -v[52:53]
	s_delay_alu instid0(VALU_DEP_2) | instskip(NEXT) | instid1(VALU_DEP_2)
	v_fma_f64 v[12:13], v[12:13], v[14:15], v[12:13]
	v_fma_f64 v[52:53], v[2:3], -v[4:5], v[52:53]
	s_delay_alu instid0(VALU_DEP_2) | instskip(NEXT) | instid1(VALU_DEP_1)
	v_mul_f64 v[14:15], v[16:17], v[12:13]
	v_fma_f64 v[10:11], -v[10:11], v[14:15], v[16:17]
	s_delay_alu instid0(VALU_DEP_1) | instskip(NEXT) | instid1(VALU_DEP_1)
	v_div_fmas_f64 v[10:11], v[10:11], v[12:13], v[14:15]
	v_div_fixup_f64 v[10:11], v[10:11], v[41:42], 0x40140000
	s_delay_alu instid0(VALU_DEP_1) | instskip(NEXT) | instid1(VALU_DEP_1)
	v_mul_f64 v[12:13], v[10:11], v[10:11]
	v_fma_f64 v[14:15], v[12:13], 0, s[0:1]
	s_mov_b32 s0, 0x4c6c651b
	s_mov_b32 s1, 0x3f48f92c
	v_fma_f64 v[16:17], v[12:13], 0, s[4:5]
	v_fma_f64 v[20:21], v[12:13], 0, s[0:1]
	s_mov_b32 s0, 0xc66d8fd6
	s_mov_b32 s1, 0x4013edb5
	v_fma_f64 v[22:23], v[12:13], 0, s[6:7]
	s_mov_b32 s4, 0x5948aa83
	s_mov_b32 s5, 0x3fb19fdd
	s_mov_b32 s6, 0xa20e5f6f
	s_mov_b32 s7, 0x409081cb
	s_delay_alu instid0(VALU_DEP_4) | instskip(SKIP_2) | instid1(VALU_DEP_4)
	v_fma_f64 v[14:15], v[12:13], v[14:15], s[0:1]
	s_mov_b32 s0, 0xa3fec4b6
	s_mov_b32 s1, 0x3fb2b948
	v_fma_f64 v[16:17], v[12:13], v[16:17], s[4:5]
	s_delay_alu instid0(VALU_DEP_4) | instskip(SKIP_2) | instid1(VALU_DEP_4)
	v_fma_f64 v[20:21], v[12:13], v[20:21], s[0:1]
	s_mov_b32 s0, 0x9acf1c67
	s_mov_b32 s1, 0x4052f4b9
	v_fma_f64 v[22:23], v[12:13], v[22:23], s[6:7]
	s_mov_b32 s4, 0xb850eed6
	s_mov_b32 s5, 0x3ff1aea9
	s_mov_b32 s6, 0x1bfdfe81
	s_mov_b32 s7, 0x40b37a69
	s_delay_alu instid0(VALU_DEP_4) | instskip(SKIP_2) | instid1(VALU_DEP_4)
	v_fma_f64 v[14:15], v[12:13], v[14:15], s[0:1]
	s_mov_b32 s0, 0xc21596d6
	s_mov_b32 s1, 0x3ff208fe
	v_fma_f64 v[16:17], v[12:13], v[16:17], s[4:5]
	s_delay_alu instid0(VALU_DEP_4) | instskip(SKIP_2) | instid1(VALU_DEP_4)
	;; [unrolled: 14-line block ×5, first 2 shown]
	v_fma_f64 v[20:21], v[12:13], v[20:21], s[0:1]
	s_mov_b32 s0, 0x4c54bb0b
	s_mov_b32 s1, 0x406a760a
	v_fma_f64 v[22:23], v[12:13], v[22:23], s[6:7]
	s_mov_b32 s4, 0x4d159eb5
	s_mov_b32 s5, 0x403934ff
	;; [unrolled: 1-line block ×4, first 2 shown]
	s_delay_alu instid0(VALU_DEP_4) | instskip(SKIP_2) | instid1(VALU_DEP_4)
	v_fma_f64 v[14:15], v[12:13], v[14:15], s[0:1]
	s_mov_b32 s0, 0x6ae75997
	s_mov_b32 s1, 0x4075017f
	v_fma_f64 v[16:17], v[12:13], v[16:17], 1.0
	s_delay_alu instid0(VALU_DEP_4) | instskip(NEXT) | instid1(VALU_DEP_4)
	v_fma_f64 v[20:21], v[12:13], v[20:21], 1.0
	v_fma_f64 v[22:23], v[12:13], v[22:23], s[0:1]
	s_mov_b32 s0, 0xb42fdfa7
	s_mov_b32 s1, 0xbe5ae600
	s_delay_alu instid0(VALU_DEP_4) | instskip(SKIP_2) | instid1(VALU_DEP_3)
	v_fma_f64 v[12:13], v[12:13], v[14:15], s[4:5]
	s_mov_b32 s4, 0xf9a43bb8
	s_mov_b32 s5, 0x3de5e0b2
	v_div_scale_f64 v[14:15], null, v[16:17], v[16:17], v[20:21]
	v_fma_f64 v[34:35], v[26:27], s[4:5], s[0:1]
	v_fma_f64 v[48:49], v[32:33], s[4:5], s[0:1]
	v_cmp_gt_f64_e64 s0, 0x10000000, v[41:42]
	s_mov_b32 s4, 0x9037ab78
	s_mov_b32 s5, 0x3e21eeb6
	v_div_scale_f64 v[96:97], vcc_lo, v[20:21], v[16:17], v[20:21]
	v_fma_f64 v[50:51], v[26:27], s[6:7], s[4:5]
	v_div_scale_f64 v[24:25], null, v[22:23], v[22:23], v[12:13]
	v_rcp_f64_e32 v[28:29], v[14:15]
	v_fma_f64 v[34:35], v[26:27], v[34:35], s[8:9]
	s_delay_alu instid0(VALU_DEP_2) | instskip(SKIP_3) | instid1(VALU_DEP_2)
	v_rcp_f64_e32 v[30:31], v[24:25]
	s_waitcnt_depctr 0xfff
	v_fma_f64 v[36:37], -v[14:15], v[28:29], 1.0
	v_fma_f64 v[38:39], -v[24:25], v[30:31], 1.0
	v_fma_f64 v[28:29], v[28:29], v[36:37], v[28:29]
	v_fma_f64 v[36:37], v[32:33], v[48:49], s[8:9]
	;; [unrolled: 1-line block ×3, first 2 shown]
	s_mov_b32 s6, 0x19e83e5c
	s_mov_b32 s7, 0xbf2a01a0
	;; [unrolled: 1-line block ×3, first 2 shown]
	v_fma_f64 v[34:35], v[26:27], v[34:35], s[6:7]
	s_mov_b32 s5, 0xbe927e4f
	s_delay_alu instid0(SALU_CYCLE_1) | instskip(SKIP_4) | instid1(VALU_DEP_3)
	v_fma_f64 v[50:51], v[26:27], v[50:51], s[4:5]
	v_fma_f64 v[30:31], v[30:31], v[38:39], v[30:31]
	v_cndmask_b32_e64 v38, 0, 1, s0
	v_fma_f64 v[66:67], -v[14:15], v[28:29], 1.0
	v_fma_f64 v[36:37], v[32:33], v[36:37], s[6:7]
	v_lshlrev_b32_e32 v54, 8, v38
	v_mul_f64 v[38:39], v[32:33], 0.5
	v_fma_f64 v[48:49], v[32:33], v[48:49], s[4:5]
	s_mov_b32 s6, 0x11110bb3
	s_mov_b32 s7, 0x3f811111
	v_ldexp_f64 v[54:55], v[41:42], v54
	v_fma_f64 v[34:35], v[26:27], v[34:35], s[6:7]
	s_mov_b32 s4, 0x19f4ec90
	s_mov_b32 s5, 0x3efa01a0
	s_delay_alu instid0(SALU_CYCLE_1)
	v_fma_f64 v[50:51], v[26:27], v[50:51], s[4:5]
	v_fma_f64 v[68:69], -v[24:25], v[30:31], 1.0
	v_fma_f64 v[28:29], v[28:29], v[66:67], v[28:29]
	v_div_scale_f64 v[66:67], s1, v[12:13], v[22:23], v[12:13]
	v_add_f64 v[70:71], -v[38:39], 1.0
	v_fma_f64 v[36:37], v[32:33], v[36:37], s[6:7]
	v_fma_f64 v[48:49], v[32:33], v[48:49], s[4:5]
	s_mov_b32 s4, 0x16c16967
	v_rsq_f64_e32 v[80:81], v[54:55]
	v_fma_f64 v[34:35], v[84:85], v[34:35], v[82:83]
	s_mov_b32 s5, 0xbf56c16c
	s_delay_alu instid0(SALU_CYCLE_1)
	v_fma_f64 v[50:51], v[26:27], v[50:51], s[4:5]
	v_fma_f64 v[30:31], v[30:31], v[68:69], v[30:31]
	v_mul_f64 v[68:69], v[8:9], 0.5
	v_mul_f64 v[82:83], v[96:97], v[28:29]
	v_add_f64 v[100:101], -v[70:71], 1.0
	v_fma_f64 v[48:49], v[32:33], v[48:49], s[4:5]
	s_mov_b32 s4, 0x55555555
	s_mov_b32 s5, 0x3fa55555
	v_fma_f64 v[4:5], v[26:27], v[34:35], -v[4:5]
	s_delay_alu instid0(TRANS32_DEP_1)
	v_mul_f64 v[102:103], v[54:55], v[80:81]
	v_mul_f64 v[80:81], v[80:81], 0.5
	v_mul_f64 v[34:35], v[32:33], v[32:33]
	v_fma_f64 v[50:51], v[26:27], v[50:51], s[4:5]
	v_mul_f64 v[86:87], v[66:67], v[30:31]
	v_fma_f64 v[36:37], v[98:99], v[36:37], v[68:69]
	v_mul_f64 v[68:69], v[26:27], v[26:27]
	v_fma_f64 v[14:15], -v[14:15], v[82:83], v[96:97]
	v_add_f64 v[38:39], v[100:101], -v[38:39]
	v_fma_f64 v[100:101], -v[80:81], v[102:103], 0.5
	v_fma_f64 v[24:25], -v[24:25], v[86:87], v[66:67]
	v_fma_f64 v[26:27], v[32:33], v[36:37], -v[8:9]
	v_fma_f64 v[32:33], v[32:33], v[48:49], s[4:5]
	s_mov_b32 s5, 0xbfc55555
	v_div_fmas_f64 v[14:15], v[14:15], v[28:29], v[82:83]
	s_mov_b32 vcc_lo, s1
	v_fma_f64 v[4:5], v[84:85], s[4:5], v[4:5]
	v_fma_f64 v[8:9], v[6:7], -v[8:9], v[38:39]
	v_fma_f64 v[38:39], v[68:69], v[50:51], v[52:53]
	v_cmp_class_f64_e64 s1, v[0:1], 0x1f8
	v_and_b32_e32 v0, 1, v19
	v_fma_f64 v[36:37], v[102:103], v[100:101], v[102:103]
	v_fma_f64 v[28:29], v[80:81], v[100:101], v[80:81]
	s_delay_alu instid0(VALU_DEP_3)
	v_cmp_eq_u32_e64 s2, 0, v0
	v_div_fmas_f64 v[24:25], v[24:25], v[30:31], v[86:87]
	v_fma_f64 v[26:27], v[98:99], s[4:5], v[26:27]
	v_add_f64 v[2:3], v[2:3], -v[4:5]
	v_fma_f64 v[8:9], v[34:35], v[32:33], v[8:9]
	v_add_f64 v[32:33], v[64:65], v[38:39]
	v_fma_f64 v[30:31], -v[36:37], v[36:37], v[54:55]
	v_div_fixup_f64 v[4:5], v[24:25], v[22:23], v[12:13]
	v_add_f64 v[6:7], v[6:7], -v[26:27]
	v_and_b32_e32 v22, 1, v18
	v_add_f64 v[8:9], v[70:71], v[8:9]
	s_delay_alu instid0(VALU_DEP_2)
	v_cmp_eq_u32_e32 vcc_lo, 0, v22
	v_cndmask_b32_e32 v2, v32, v2, vcc_lo
	v_fma_f64 v[12:13], v[30:31], v[28:29], v[36:37]
	v_mul_f64 v[4:5], v[10:11], v[4:5]
	v_lshlrev_b32_e32 v10, 30, v19
	v_xor_b32_e32 v7, 0x80000000, v7
	s_delay_alu instid0(VALU_DEP_2) | instskip(SKIP_1) | instid1(VALU_DEP_3)
	v_and_b32_e32 v0, 0x80000000, v10
	v_cndmask_b32_e64 v8, v6, v8, s2
	v_cndmask_b32_e64 v6, v7, v9, s2
	v_div_fixup_f64 v[10:11], v[14:15], v[16:17], v[20:21]
	s_delay_alu instid0(VALU_DEP_3) | instskip(NEXT) | instid1(VALU_DEP_3)
	v_cndmask_b32_e64 v8, 0, v8, s1
	v_xor_b32_e32 v9, v6, v0
	v_fma_f64 v[6:7], -v[12:13], v[12:13], v[54:55]
	v_cndmask_b32_e64 v0, 0, v2, s1
	v_lshlrev_b32_e32 v2, 30, v18
	s_delay_alu instid0(VALU_DEP_4) | instskip(NEXT) | instid1(VALU_DEP_2)
	v_cndmask_b32_e64 v9, 0x7ff80000, v9, s1
	v_xor_b32_e32 v1, v2, v1
	v_cndmask_b32_e32 v2, v33, v3, vcc_lo
	v_cmp_class_f64_e64 vcc_lo, v[54:55], 0x260
	s_delay_alu instid0(VALU_DEP_3) | instskip(NEXT) | instid1(VALU_DEP_1)
	v_and_b32_e32 v1, 0x80000000, v1
	v_xor_b32_e32 v1, v2, v1
	s_delay_alu instid0(VALU_DEP_1) | instskip(SKIP_2) | instid1(VALU_DEP_2)
	v_cndmask_b32_e64 v1, 0x7ff80000, v1, s1
	v_mul_f64 v[4:5], v[4:5], v[8:9]
	v_fma_f64 v[2:3], v[6:7], v[28:29], v[12:13]
	v_fma_f64 v[0:1], v[10:11], v[0:1], v[4:5]
	v_cndmask_b32_e64 v4, 0, 0xffffff80, s0
	s_mov_b32 s0, 0x33d43651
	s_mov_b32 s1, 0x3fe98845
	s_delay_alu instid0(VALU_DEP_1) | instskip(NEXT) | instid1(VALU_DEP_3)
	v_ldexp_f64 v[2:3], v[2:3], v4
	v_mul_f64 v[0:1], v[0:1], s[0:1]
	s_delay_alu instid0(VALU_DEP_2) | instskip(NEXT) | instid1(VALU_DEP_1)
	v_dual_cndmask_b32 v3, v3, v55 :: v_dual_cndmask_b32 v2, v2, v54
	v_div_scale_f64 v[4:5], null, v[2:3], v[2:3], v[0:1]
	s_delay_alu instid0(VALU_DEP_1) | instskip(SKIP_2) | instid1(VALU_DEP_1)
	v_rcp_f64_e32 v[6:7], v[4:5]
	s_waitcnt_depctr 0xfff
	v_fma_f64 v[8:9], -v[4:5], v[6:7], 1.0
	v_fma_f64 v[6:7], v[6:7], v[8:9], v[6:7]
	s_delay_alu instid0(VALU_DEP_1) | instskip(NEXT) | instid1(VALU_DEP_1)
	v_fma_f64 v[8:9], -v[4:5], v[6:7], 1.0
	v_fma_f64 v[6:7], v[6:7], v[8:9], v[6:7]
	v_div_scale_f64 v[8:9], vcc_lo, v[0:1], v[2:3], v[0:1]
	s_delay_alu instid0(VALU_DEP_1) | instskip(NEXT) | instid1(VALU_DEP_1)
	v_mul_f64 v[10:11], v[8:9], v[6:7]
	v_fma_f64 v[4:5], -v[4:5], v[10:11], v[8:9]
	s_delay_alu instid0(VALU_DEP_1) | instskip(NEXT) | instid1(VALU_DEP_1)
	v_div_fmas_f64 v[4:5], v[4:5], v[6:7], v[10:11]
	v_div_fixup_f64 v[56:57], v[4:5], v[2:3], v[0:1]
.LBB2_48:
	s_or_b32 exec_lo, exec_lo, s3
	s_delay_alu instid0(SALU_CYCLE_1)
	s_mov_b32 s0, exec_lo
	v_cmpx_ge_f64_e32 0x40140000, v[43:44]
	s_xor_b32 s35, exec_lo, s0
	s_cbranch_execz .LBB2_54
; %bb.49:
	v_mov_b32_e32 v58, 0
	v_mov_b32_e32 v59, 0xfff00000
	s_mov_b32 s38, exec_lo
	v_cmpx_neq_f64_e32 0, v[43:44]
	s_cbranch_execz .LBB2_53
; %bb.50:
	v_mov_b32_e32 v58, 0
	v_mov_b32_e32 v59, 0x7ff80000
	s_mov_b32 s39, exec_lo
	v_cmpx_nge_f64_e32 0, v[43:44]
	s_cbranch_execz .LBB2_52
; %bb.51:
	v_mul_f64 v[0:1], v[43:44], v[43:44]
	s_mov_b32 s0, 0xa93f7ac2
	s_mov_b32 s1, 0x40829269
	;; [unrolled: 1-line block ×4, first 2 shown]
	s_delay_alu instid0(VALU_DEP_1)
	v_fma_f64 v[2:3], v[0:1], 0, s[0:1]
	s_mov_b32 s0, 0xbe58ef7f
	s_mov_b32 s1, 0x410cc160
	s_delay_alu instid0(VALU_DEP_1) | instid1(SALU_CYCLE_1)
	v_fma_f64 v[2:3], v[0:1], v[2:3], s[0:1]
	s_mov_b32 s0, 0x62f9b6c5
	s_mov_b32 s1, 0x41d2d2be
	s_delay_alu instid0(SALU_CYCLE_1) | instskip(SKIP_2) | instid1(VALU_DEP_2)
	v_fma_f64 v[4:5], v[0:1], 0, s[0:1]
	s_mov_b32 s0, 0x58836521
	s_mov_b32 s1, 0xc262d72d
	v_fma_f64 v[2:3], v[0:1], v[2:3], s[2:3]
	s_mov_b32 s2, 0x906b7b83
	s_mov_b32 s3, 0x421178c3
	s_delay_alu instid0(VALU_DEP_2) | instskip(SKIP_2) | instid1(VALU_DEP_2)
	v_fma_f64 v[4:5], v[0:1], v[4:5], s[0:1]
	s_mov_b32 s0, 0xb0910fef
	s_mov_b32 s1, 0x42da0954
	v_fma_f64 v[2:3], v[0:1], v[2:3], s[2:3]
	s_mov_b32 s2, 0xfda99316
	s_mov_b32 s3, 0x428c3f5e
	s_delay_alu instid0(VALU_DEP_2) | instskip(SKIP_2) | instid1(VALU_DEP_2)
	;; [unrolled: 7-line block ×4, first 2 shown]
	v_fma_f64 v[4:5], v[0:1], v[4:5], s[0:1]
	s_mov_b32 s0, 0x5dde2b17
	s_mov_b32 s1, 0xc3a59e41
	v_fma_f64 v[2:3], v[0:1], v[2:3], s[2:3]
	s_mov_b32 s2, 0x90f6747f
	s_mov_b32 s3, 0x43cb90f1
	s_delay_alu instid0(VALU_DEP_2) | instskip(SKIP_3) | instid1(VALU_DEP_2)
	v_fma_f64 v[4:5], v[0:1], v[4:5], s[0:1]
	s_getpc_b64 s[0:1]
	s_add_u32 s0, s0, _Z17bessel_j1_forwardIdET_S0_@rel32@lo+4
	s_addc_u32 s1, s1, _Z17bessel_j1_forwardIdET_S0_@rel32@hi+12
	v_fma_f64 v[0:1], v[0:1], v[2:3], s[2:3]
	s_delay_alu instid0(VALU_DEP_1) | instskip(NEXT) | instid1(VALU_DEP_1)
	v_div_scale_f64 v[2:3], null, v[0:1], v[0:1], v[4:5]
	v_rcp_f64_e32 v[6:7], v[2:3]
	s_waitcnt_depctr 0xfff
	v_fma_f64 v[8:9], -v[2:3], v[6:7], 1.0
	s_delay_alu instid0(VALU_DEP_1) | instskip(NEXT) | instid1(VALU_DEP_1)
	v_fma_f64 v[6:7], v[6:7], v[8:9], v[6:7]
	v_fma_f64 v[8:9], -v[2:3], v[6:7], 1.0
	s_delay_alu instid0(VALU_DEP_1) | instskip(SKIP_1) | instid1(VALU_DEP_1)
	v_fma_f64 v[6:7], v[6:7], v[8:9], v[6:7]
	v_div_scale_f64 v[8:9], vcc_lo, v[4:5], v[0:1], v[4:5]
	v_mul_f64 v[10:11], v[8:9], v[6:7]
	s_delay_alu instid0(VALU_DEP_1) | instskip(NEXT) | instid1(VALU_DEP_1)
	v_fma_f64 v[2:3], -v[2:3], v[10:11], v[8:9]
	v_div_fmas_f64 v[2:3], v[2:3], v[6:7], v[10:11]
	s_delay_alu instid0(VALU_DEP_1)
	v_div_fixup_f64 v[41:42], v[2:3], v[0:1], v[4:5]
	v_dual_mov_b32 v0, v43 :: v_dual_mov_b32 v1, v44
	s_swappc_b64 s[30:31], s[0:1]
	v_frexp_mant_f64_e32 v[2:3], v[43:44]
	s_mov_b32 s1, 0x3fe55555
	s_mov_b32 s0, 0x55555555
	v_mov_b32_e32 v4, 0
	s_mov_b32 s2, 0x6b47b09a
	s_mov_b32 s4, 0xbf559e2b
	;; [unrolled: 1-line block ×4, first 2 shown]
	v_div_scale_f64 v[18:19], null, v[43:44], v[43:44], -1.0
	s_delay_alu instid0(VALU_DEP_3) | instskip(SKIP_1) | instid1(VALU_DEP_2)
	v_cmp_gt_f64_e32 vcc_lo, s[0:1], v[2:3]
	s_mov_b32 s0, 0x55555780
	v_rcp_f64_e32 v[22:23], v[18:19]
	v_cndmask_b32_e64 v5, 0x3ff00000, 2.0, vcc_lo
	s_delay_alu instid0(VALU_DEP_1) | instskip(NEXT) | instid1(VALU_DEP_1)
	v_mul_f64 v[2:3], v[2:3], v[4:5]
	v_add_f64 v[4:5], v[2:3], 1.0
	v_add_f64 v[10:11], v[2:3], -1.0
	s_delay_alu instid0(VALU_DEP_2) | instskip(SKIP_1) | instid1(VALU_DEP_1)
	v_rcp_f64_e32 v[6:7], v[4:5]
	v_add_f64 v[12:13], v[4:5], -1.0
	v_add_f64 v[2:3], v[2:3], -v[12:13]
	s_waitcnt_depctr 0xfff
	v_fma_f64 v[8:9], -v[4:5], v[6:7], 1.0
	s_delay_alu instid0(VALU_DEP_1) | instskip(NEXT) | instid1(VALU_DEP_1)
	v_fma_f64 v[6:7], v[8:9], v[6:7], v[6:7]
	v_fma_f64 v[8:9], -v[4:5], v[6:7], 1.0
	s_delay_alu instid0(VALU_DEP_1) | instskip(NEXT) | instid1(VALU_DEP_1)
	v_fma_f64 v[6:7], v[8:9], v[6:7], v[6:7]
	v_mul_f64 v[8:9], v[10:11], v[6:7]
	s_delay_alu instid0(VALU_DEP_1) | instskip(NEXT) | instid1(VALU_DEP_1)
	v_mul_f64 v[14:15], v[4:5], v[8:9]
	v_fma_f64 v[4:5], v[8:9], v[4:5], -v[14:15]
	s_delay_alu instid0(VALU_DEP_1) | instskip(NEXT) | instid1(VALU_DEP_1)
	v_fma_f64 v[2:3], v[8:9], v[2:3], v[4:5]
	v_add_f64 v[4:5], v[14:15], v[2:3]
	s_delay_alu instid0(VALU_DEP_1) | instskip(SKIP_1) | instid1(VALU_DEP_2)
	v_add_f64 v[12:13], v[10:11], -v[4:5]
	v_add_f64 v[14:15], v[4:5], -v[14:15]
	;; [unrolled: 1-line block ×3, first 2 shown]
	s_delay_alu instid0(VALU_DEP_2) | instskip(SKIP_1) | instid1(VALU_DEP_3)
	v_add_f64 v[2:3], v[14:15], -v[2:3]
	v_frexp_exp_i32_f64_e32 v14, v[43:44]
	v_add_f64 v[4:5], v[10:11], -v[4:5]
	s_delay_alu instid0(VALU_DEP_1) | instskip(NEXT) | instid1(VALU_DEP_1)
	v_add_f64 v[2:3], v[2:3], v[4:5]
	v_add_f64 v[2:3], v[12:13], v[2:3]
	s_delay_alu instid0(VALU_DEP_1) | instskip(NEXT) | instid1(VALU_DEP_1)
	v_mul_f64 v[2:3], v[6:7], v[2:3]
	v_add_f64 v[4:5], v[8:9], v[2:3]
	s_delay_alu instid0(VALU_DEP_1) | instskip(NEXT) | instid1(VALU_DEP_1)
	v_mul_f64 v[6:7], v[4:5], v[4:5]
	v_fma_f64 v[10:11], v[6:7], s[4:5], s[2:3]
	s_mov_b32 s2, 0xd7f4df2e
	s_mov_b32 s3, 0x3fc7474d
	v_mul_f64 v[12:13], v[4:5], v[6:7]
	s_delay_alu instid0(VALU_DEP_2)
	v_fma_f64 v[10:11], v[6:7], v[10:11], s[2:3]
	s_mov_b32 s2, 0x16291751
	s_mov_b32 s3, 0x3fcc71c0
	s_delay_alu instid0(VALU_DEP_1) | instid1(SALU_CYCLE_1)
	v_fma_f64 v[10:11], v[6:7], v[10:11], s[2:3]
	s_mov_b32 s2, 0x9b27acf1
	s_mov_b32 s3, 0x3fd24924
	s_delay_alu instid0(VALU_DEP_1) | instid1(SALU_CYCLE_1)
	;; [unrolled: 4-line block ×3, first 2 shown]
	v_fma_f64 v[10:11], v[6:7], v[10:11], s[2:3]
	s_delay_alu instid0(VALU_DEP_1) | instskip(SKIP_4) | instid1(VALU_DEP_3)
	v_fma_f64 v[6:7], v[6:7], v[10:11], s[0:1]
	v_ldexp_f64 v[10:11], v[4:5], 1
	v_add_f64 v[4:5], v[4:5], -v[8:9]
	s_mov_b32 s0, 0xfefa39ef
	s_mov_b32 s1, 0x3fe62e42
	v_mul_f64 v[6:7], v[12:13], v[6:7]
	v_subrev_co_ci_u32_e32 v12, vcc_lo, 0, v14, vcc_lo
	s_delay_alu instid0(VALU_DEP_3) | instskip(NEXT) | instid1(VALU_DEP_2)
	v_add_f64 v[2:3], v[2:3], -v[4:5]
	v_cvt_f64_i32_e32 v[12:13], v12
	s_delay_alu instid0(VALU_DEP_4) | instskip(NEXT) | instid1(VALU_DEP_3)
	v_add_f64 v[8:9], v[10:11], v[6:7]
	v_ldexp_f64 v[2:3], v[2:3], 1
	s_delay_alu instid0(VALU_DEP_3) | instskip(NEXT) | instid1(VALU_DEP_3)
	v_mul_f64 v[14:15], v[12:13], s[0:1]
	v_add_f64 v[4:5], v[8:9], -v[10:11]
	s_delay_alu instid0(VALU_DEP_2) | instskip(SKIP_2) | instid1(VALU_DEP_2)
	v_fma_f64 v[10:11], v[12:13], s[0:1], -v[14:15]
	s_mov_b32 s0, 0x3b39803f
	s_mov_b32 s1, 0x3c7abc9e
	v_add_f64 v[4:5], v[6:7], -v[4:5]
	s_delay_alu instid0(VALU_DEP_2) | instskip(SKIP_2) | instid1(VALU_DEP_2)
	v_fma_f64 v[6:7], v[12:13], s[0:1], v[10:11]
	s_mov_b32 s0, 0x6dc9c883
	s_mov_b32 s1, 0x3fe45f30
	v_add_f64 v[2:3], v[2:3], v[4:5]
	s_delay_alu instid0(VALU_DEP_2) | instskip(NEXT) | instid1(VALU_DEP_2)
	v_add_f64 v[4:5], v[14:15], v[6:7]
	v_add_f64 v[10:11], v[8:9], v[2:3]
	s_delay_alu instid0(VALU_DEP_2) | instskip(NEXT) | instid1(VALU_DEP_2)
	v_add_f64 v[14:15], v[4:5], -v[14:15]
	v_add_f64 v[12:13], v[4:5], v[10:11]
	v_add_f64 v[8:9], v[10:11], -v[8:9]
	s_delay_alu instid0(VALU_DEP_3) | instskip(NEXT) | instid1(VALU_DEP_3)
	v_add_f64 v[6:7], v[6:7], -v[14:15]
	v_add_f64 v[16:17], v[12:13], -v[4:5]
	s_delay_alu instid0(VALU_DEP_3) | instskip(NEXT) | instid1(VALU_DEP_2)
	v_add_f64 v[2:3], v[2:3], -v[8:9]
	v_add_f64 v[20:21], v[12:13], -v[16:17]
	;; [unrolled: 1-line block ×3, first 2 shown]
	v_fma_f64 v[10:11], -v[18:19], v[22:23], 1.0
	s_delay_alu instid0(VALU_DEP_4) | instskip(NEXT) | instid1(VALU_DEP_4)
	v_add_f64 v[14:15], v[6:7], v[2:3]
	v_add_f64 v[4:5], v[4:5], -v[20:21]
	s_delay_alu instid0(VALU_DEP_1) | instskip(NEXT) | instid1(VALU_DEP_4)
	v_add_f64 v[4:5], v[8:9], v[4:5]
	v_fma_f64 v[8:9], v[22:23], v[10:11], v[22:23]
	s_delay_alu instid0(VALU_DEP_4) | instskip(SKIP_1) | instid1(VALU_DEP_4)
	v_add_f64 v[10:11], v[14:15], -v[6:7]
	v_div_scale_f64 v[22:23], vcc_lo, -1.0, v[43:44], -1.0
	v_add_f64 v[4:5], v[14:15], v[4:5]
	s_delay_alu instid0(VALU_DEP_4) | instskip(NEXT) | instid1(VALU_DEP_4)
	v_fma_f64 v[16:17], -v[18:19], v[8:9], 1.0
	v_add_f64 v[14:15], v[14:15], -v[10:11]
	v_add_f64 v[2:3], v[2:3], -v[10:11]
	s_delay_alu instid0(VALU_DEP_4) | instskip(NEXT) | instid1(VALU_DEP_4)
	v_add_f64 v[20:21], v[12:13], v[4:5]
	v_fma_f64 v[8:9], v[8:9], v[16:17], v[8:9]
	s_delay_alu instid0(VALU_DEP_4) | instskip(NEXT) | instid1(VALU_DEP_3)
	v_add_f64 v[6:7], v[6:7], -v[14:15]
	v_add_f64 v[10:11], v[20:21], -v[12:13]
	s_delay_alu instid0(VALU_DEP_3) | instskip(NEXT) | instid1(VALU_DEP_3)
	v_mul_f64 v[12:13], v[22:23], v[8:9]
	v_add_f64 v[2:3], v[2:3], v[6:7]
	s_delay_alu instid0(VALU_DEP_3) | instskip(NEXT) | instid1(VALU_DEP_3)
	v_add_f64 v[4:5], v[4:5], -v[10:11]
	v_fma_f64 v[6:7], -v[18:19], v[12:13], v[22:23]
	s_delay_alu instid0(VALU_DEP_2) | instskip(NEXT) | instid1(VALU_DEP_2)
	v_add_f64 v[2:3], v[2:3], v[4:5]
	v_div_fmas_f64 v[4:5], v[6:7], v[8:9], v[12:13]
	s_delay_alu instid0(VALU_DEP_2) | instskip(NEXT) | instid1(VALU_DEP_2)
	v_add_f64 v[2:3], v[20:21], v[2:3]
	v_div_fixup_f64 v[4:5], v[4:5], v[43:44], -1.0
	s_delay_alu instid0(VALU_DEP_1) | instskip(NEXT) | instid1(VALU_DEP_1)
	v_fma_f64 v[0:1], v[2:3], v[0:1], v[4:5]
	v_mul_f64 v[0:1], v[0:1], s[0:1]
	s_delay_alu instid0(VALU_DEP_1)
	v_fma_f64 v[58:59], v[43:44], v[41:42], v[0:1]
.LBB2_52:
	s_or_b32 exec_lo, exec_lo, s39
.LBB2_53:
	s_delay_alu instid0(SALU_CYCLE_1)
	s_or_b32 exec_lo, exec_lo, s38
                                        ; implicit-def: $vgpr43_vgpr44
.LBB2_54:
	s_and_not1_saveexec_b32 s3, s35
	s_cbranch_execz .LBB2_64
; %bb.55:
	s_mov_b32 s0, 0x7f3321d2
	s_mov_b32 s1, 0xc002d97c
                                        ; implicit-def: $vgpr18
                                        ; implicit-def: $vgpr2_vgpr3
                                        ; implicit-def: $vgpr4_vgpr5
	s_delay_alu instid0(SALU_CYCLE_1) | instskip(NEXT) | instid1(VALU_DEP_1)
	v_add_f64 v[0:1], v[43:44], s[0:1]
	v_cmp_ngt_f64_e64 s1, 0x41d00000, |v[0:1]|
	v_trig_preop_f64 v[14:15], |v[0:1]|, 0
	v_trig_preop_f64 v[12:13], |v[0:1]|, 1
	v_ldexp_f64 v[16:17], |v[0:1]|, 0xffffff80
	v_trig_preop_f64 v[10:11], |v[0:1]|, 2
	v_and_b32_e32 v20, 0x7fffffff, v1
	s_and_saveexec_b32 s0, s1
	s_delay_alu instid0(SALU_CYCLE_1)
	s_xor_b32 s2, exec_lo, s0
	s_cbranch_execz .LBB2_57
; %bb.56:
	v_cmp_le_f64_e64 vcc_lo, 0x7b000000, |v[0:1]|
	v_mov_b32_e32 v31, 0
	s_mov_b32 s4, 0x54442d18
	s_mov_b32 s5, 0x3ff921fb
	;; [unrolled: 1-line block ×4, first 2 shown]
	v_cndmask_b32_e32 v3, v20, v17, vcc_lo
	v_cndmask_b32_e32 v2, v0, v16, vcc_lo
	s_delay_alu instid0(VALU_DEP_1) | instskip(SKIP_1) | instid1(VALU_DEP_2)
	v_mul_f64 v[4:5], v[14:15], v[2:3]
	v_mul_f64 v[6:7], v[12:13], v[2:3]
	v_fma_f64 v[8:9], v[14:15], v[2:3], -v[4:5]
	s_delay_alu instid0(VALU_DEP_2) | instskip(NEXT) | instid1(VALU_DEP_2)
	v_fma_f64 v[29:30], v[12:13], v[2:3], -v[6:7]
	v_add_f64 v[18:19], v[6:7], v[8:9]
	s_delay_alu instid0(VALU_DEP_1) | instskip(SKIP_1) | instid1(VALU_DEP_2)
	v_add_f64 v[21:22], v[18:19], -v[6:7]
	v_add_f64 v[25:26], v[4:5], v[18:19]
	v_add_f64 v[23:24], v[18:19], -v[21:22]
	v_add_f64 v[8:9], v[8:9], -v[21:22]
	s_delay_alu instid0(VALU_DEP_3) | instskip(SKIP_1) | instid1(VALU_DEP_4)
	v_ldexp_f64 v[21:22], v[25:26], -2
	v_add_f64 v[4:5], v[25:26], -v[4:5]
	v_add_f64 v[6:7], v[6:7], -v[23:24]
	s_delay_alu instid0(VALU_DEP_3) | instskip(NEXT) | instid1(VALU_DEP_3)
	v_cmp_neq_f64_e64 vcc_lo, 0x7ff00000, |v[21:22]|
	v_add_f64 v[4:5], v[18:19], -v[4:5]
	s_delay_alu instid0(VALU_DEP_3) | instskip(SKIP_1) | instid1(VALU_DEP_1)
	v_add_f64 v[6:7], v[8:9], v[6:7]
	v_fract_f64_e32 v[8:9], v[21:22]
	v_dual_cndmask_b32 v9, 0, v9 :: v_dual_cndmask_b32 v8, 0, v8
	v_mul_f64 v[27:28], v[10:11], v[2:3]
	s_delay_alu instid0(VALU_DEP_2) | instskip(NEXT) | instid1(VALU_DEP_2)
	v_ldexp_f64 v[8:9], v[8:9], 2
	v_add_f64 v[23:24], v[27:28], v[29:30]
	v_fma_f64 v[2:3], v[10:11], v[2:3], -v[27:28]
	s_delay_alu instid0(VALU_DEP_2) | instskip(NEXT) | instid1(VALU_DEP_1)
	v_add_f64 v[18:19], v[23:24], v[6:7]
	v_add_f64 v[21:22], v[4:5], v[18:19]
	s_delay_alu instid0(VALU_DEP_1) | instskip(SKIP_1) | instid1(VALU_DEP_2)
	v_add_f64 v[25:26], v[21:22], v[8:9]
	v_add_f64 v[4:5], v[21:22], -v[4:5]
	v_cmp_gt_f64_e32 vcc_lo, 0, v[25:26]
	v_add_f64 v[25:26], v[23:24], -v[27:28]
	s_delay_alu instid0(VALU_DEP_3) | instskip(SKIP_1) | instid1(VALU_DEP_3)
	v_add_f64 v[4:5], v[18:19], -v[4:5]
	v_cndmask_b32_e64 v32, 0, 0x40100000, vcc_lo
	v_add_f64 v[36:37], v[23:24], -v[25:26]
	v_add_f64 v[25:26], v[29:30], -v[25:26]
	s_delay_alu instid0(VALU_DEP_3) | instskip(SKIP_1) | instid1(VALU_DEP_4)
	v_add_f64 v[8:9], v[8:9], v[31:32]
	v_add_f64 v[32:33], v[18:19], -v[23:24]
	v_add_f64 v[29:30], v[27:28], -v[36:37]
	s_delay_alu instid0(VALU_DEP_3) | instskip(NEXT) | instid1(VALU_DEP_3)
	v_add_f64 v[34:35], v[21:22], v[8:9]
	v_add_f64 v[38:39], v[18:19], -v[32:33]
	v_add_f64 v[6:7], v[6:7], -v[32:33]
	s_delay_alu instid0(VALU_DEP_4) | instskip(NEXT) | instid1(VALU_DEP_4)
	v_add_f64 v[25:26], v[25:26], v[29:30]
	v_cvt_i32_f64_e32 v34, v[34:35]
	s_delay_alu instid0(VALU_DEP_4) | instskip(NEXT) | instid1(VALU_DEP_2)
	v_add_f64 v[23:24], v[23:24], -v[38:39]
	v_cvt_f64_i32_e32 v[32:33], v34
	s_delay_alu instid0(VALU_DEP_2) | instskip(NEXT) | instid1(VALU_DEP_2)
	v_add_f64 v[6:7], v[6:7], v[23:24]
	v_add_f64 v[8:9], v[8:9], -v[32:33]
	s_delay_alu instid0(VALU_DEP_2) | instskip(NEXT) | instid1(VALU_DEP_2)
	v_add_f64 v[6:7], v[25:26], v[6:7]
	v_add_f64 v[23:24], v[21:22], v[8:9]
	s_delay_alu instid0(VALU_DEP_2) | instskip(NEXT) | instid1(VALU_DEP_2)
	v_add_f64 v[2:3], v[2:3], v[6:7]
	v_add_f64 v[6:7], v[23:24], -v[8:9]
	v_cmp_le_f64_e32 vcc_lo, 0.5, v[23:24]
	s_delay_alu instid0(VALU_DEP_3) | instskip(NEXT) | instid1(VALU_DEP_3)
	v_add_f64 v[2:3], v[4:5], v[2:3]
	v_add_f64 v[4:5], v[21:22], -v[6:7]
	v_cndmask_b32_e64 v32, 0, 0x3ff00000, vcc_lo
	v_add_co_ci_u32_e64 v18, s0, 0, v34, vcc_lo
	s_delay_alu instid0(VALU_DEP_3) | instskip(NEXT) | instid1(VALU_DEP_3)
	v_add_f64 v[2:3], v[2:3], v[4:5]
	v_add_f64 v[4:5], v[23:24], -v[31:32]
	s_delay_alu instid0(VALU_DEP_1) | instskip(NEXT) | instid1(VALU_DEP_1)
	v_add_f64 v[6:7], v[4:5], v[2:3]
	v_mul_f64 v[8:9], v[6:7], s[4:5]
	v_add_f64 v[4:5], v[6:7], -v[4:5]
	s_delay_alu instid0(VALU_DEP_2) | instskip(NEXT) | instid1(VALU_DEP_2)
	v_fma_f64 v[21:22], v[6:7], s[4:5], -v[8:9]
	v_add_f64 v[2:3], v[2:3], -v[4:5]
	s_delay_alu instid0(VALU_DEP_2) | instskip(NEXT) | instid1(VALU_DEP_1)
	v_fma_f64 v[4:5], v[6:7], s[6:7], v[21:22]
	v_fma_f64 v[4:5], v[2:3], s[4:5], v[4:5]
	s_delay_alu instid0(VALU_DEP_1) | instskip(NEXT) | instid1(VALU_DEP_1)
	v_add_f64 v[2:3], v[8:9], v[4:5]
	v_add_f64 v[6:7], v[2:3], -v[8:9]
	s_delay_alu instid0(VALU_DEP_1)
	v_add_f64 v[4:5], v[4:5], -v[6:7]
	s_and_not1_saveexec_b32 s0, s2
	s_cbranch_execz .LBB2_59
	s_branch .LBB2_58
.LBB2_57:
	s_and_not1_saveexec_b32 s0, s2
	s_cbranch_execz .LBB2_59
.LBB2_58:
	s_mov_b32 s4, 0x6dc9c883
	s_mov_b32 s5, 0x3fe45f30
	;; [unrolled: 1-line block ×3, first 2 shown]
	v_mul_f64 v[2:3], |v[0:1]|, s[4:5]
	s_mov_b32 s4, 0x54442d18
	s_mov_b32 s5, 0xbff921fb
	;; [unrolled: 1-line block ×3, first 2 shown]
	s_delay_alu instid0(VALU_DEP_1) | instskip(NEXT) | instid1(VALU_DEP_1)
	v_rndne_f64_e32 v[6:7], v[2:3]
	v_fma_f64 v[2:3], v[6:7], s[4:5], |v[0:1]|
	v_mul_f64 v[4:5], v[6:7], s[6:7]
	s_mov_b32 s4, 0x252049c0
	s_mov_b32 s5, 0xb97b839a
	s_delay_alu instid0(VALU_DEP_2) | instskip(NEXT) | instid1(VALU_DEP_2)
	v_fma_f64 v[18:19], v[6:7], s[6:7], v[2:3]
	v_add_f64 v[8:9], v[2:3], v[4:5]
	s_mov_b32 s7, 0x3c91a626
	s_delay_alu instid0(VALU_DEP_1) | instskip(NEXT) | instid1(VALU_DEP_3)
	v_add_f64 v[2:3], v[2:3], -v[8:9]
	v_add_f64 v[8:9], v[8:9], -v[18:19]
	s_delay_alu instid0(VALU_DEP_2) | instskip(SKIP_1) | instid1(VALU_DEP_2)
	v_add_f64 v[2:3], v[2:3], v[4:5]
	v_fma_f64 v[4:5], v[6:7], s[6:7], v[4:5]
	v_add_f64 v[2:3], v[8:9], v[2:3]
	s_delay_alu instid0(VALU_DEP_1) | instskip(NEXT) | instid1(VALU_DEP_1)
	v_add_f64 v[2:3], v[2:3], -v[4:5]
	v_fma_f64 v[4:5], v[6:7], s[4:5], v[2:3]
	s_delay_alu instid0(VALU_DEP_1) | instskip(NEXT) | instid1(VALU_DEP_1)
	v_add_f64 v[2:3], v[18:19], v[4:5]
	v_add_f64 v[8:9], v[2:3], -v[18:19]
	v_cvt_i32_f64_e32 v18, v[6:7]
	s_delay_alu instid0(VALU_DEP_2)
	v_add_f64 v[4:5], v[4:5], -v[8:9]
.LBB2_59:
	s_or_b32 exec_lo, exec_lo, s0
                                        ; implicit-def: $vgpr19
                                        ; implicit-def: $vgpr6_vgpr7
                                        ; implicit-def: $vgpr8_vgpr9
	s_and_saveexec_b32 s0, s1
	s_delay_alu instid0(SALU_CYCLE_1)
	s_xor_b32 s1, exec_lo, s0
	s_cbranch_execz .LBB2_61
; %bb.60:
	v_cmp_le_f64_e64 vcc_lo, 0x7b000000, |v[0:1]|
	v_mov_b32_e32 v29, 0
	s_mov_b32 s4, 0x54442d18
	s_mov_b32 s5, 0x3ff921fb
	;; [unrolled: 1-line block ×4, first 2 shown]
	v_cndmask_b32_e32 v7, v20, v17, vcc_lo
	v_cndmask_b32_e32 v6, v0, v16, vcc_lo
	s_delay_alu instid0(VALU_DEP_1) | instskip(SKIP_1) | instid1(VALU_DEP_2)
	v_mul_f64 v[8:9], v[14:15], v[6:7]
	v_mul_f64 v[16:17], v[12:13], v[6:7]
	v_fma_f64 v[14:15], v[14:15], v[6:7], -v[8:9]
	s_delay_alu instid0(VALU_DEP_2) | instskip(NEXT) | instid1(VALU_DEP_2)
	v_fma_f64 v[12:13], v[12:13], v[6:7], -v[16:17]
	v_add_f64 v[19:20], v[16:17], v[14:15]
	s_delay_alu instid0(VALU_DEP_1) | instskip(SKIP_1) | instid1(VALU_DEP_2)
	v_add_f64 v[21:22], v[19:20], -v[16:17]
	v_add_f64 v[25:26], v[8:9], v[19:20]
	v_add_f64 v[23:24], v[19:20], -v[21:22]
	v_add_f64 v[14:15], v[14:15], -v[21:22]
	s_delay_alu instid0(VALU_DEP_3) | instskip(SKIP_1) | instid1(VALU_DEP_4)
	v_ldexp_f64 v[21:22], v[25:26], -2
	v_add_f64 v[8:9], v[25:26], -v[8:9]
	v_add_f64 v[16:17], v[16:17], -v[23:24]
	s_delay_alu instid0(VALU_DEP_3) | instskip(NEXT) | instid1(VALU_DEP_3)
	v_cmp_neq_f64_e64 vcc_lo, 0x7ff00000, |v[21:22]|
	v_add_f64 v[8:9], v[19:20], -v[8:9]
	s_delay_alu instid0(VALU_DEP_3) | instskip(SKIP_1) | instid1(VALU_DEP_1)
	v_add_f64 v[14:15], v[14:15], v[16:17]
	v_fract_f64_e32 v[16:17], v[21:22]
	v_dual_cndmask_b32 v17, 0, v17 :: v_dual_cndmask_b32 v16, 0, v16
	v_mul_f64 v[27:28], v[10:11], v[6:7]
	s_delay_alu instid0(VALU_DEP_2) | instskip(NEXT) | instid1(VALU_DEP_2)
	v_ldexp_f64 v[16:17], v[16:17], 2
	v_add_f64 v[23:24], v[27:28], v[12:13]
	v_fma_f64 v[6:7], v[10:11], v[6:7], -v[27:28]
	s_delay_alu instid0(VALU_DEP_2) | instskip(NEXT) | instid1(VALU_DEP_1)
	v_add_f64 v[19:20], v[23:24], v[14:15]
	v_add_f64 v[21:22], v[8:9], v[19:20]
	s_delay_alu instid0(VALU_DEP_1) | instskip(SKIP_1) | instid1(VALU_DEP_2)
	v_add_f64 v[25:26], v[21:22], v[16:17]
	v_add_f64 v[8:9], v[21:22], -v[8:9]
	v_cmp_gt_f64_e32 vcc_lo, 0, v[25:26]
	v_add_f64 v[25:26], v[23:24], -v[27:28]
	s_delay_alu instid0(VALU_DEP_3) | instskip(SKIP_1) | instid1(VALU_DEP_3)
	v_add_f64 v[8:9], v[19:20], -v[8:9]
	v_cndmask_b32_e64 v30, 0, 0x40100000, vcc_lo
	v_add_f64 v[34:35], v[23:24], -v[25:26]
	v_add_f64 v[12:13], v[12:13], -v[25:26]
	s_delay_alu instid0(VALU_DEP_3) | instskip(SKIP_1) | instid1(VALU_DEP_4)
	v_add_f64 v[16:17], v[16:17], v[29:30]
	v_add_f64 v[30:31], v[19:20], -v[23:24]
	v_add_f64 v[25:26], v[27:28], -v[34:35]
	s_delay_alu instid0(VALU_DEP_3) | instskip(NEXT) | instid1(VALU_DEP_3)
	v_add_f64 v[32:33], v[21:22], v[16:17]
	v_add_f64 v[36:37], v[19:20], -v[30:31]
	v_add_f64 v[14:15], v[14:15], -v[30:31]
	s_delay_alu instid0(VALU_DEP_4) | instskip(NEXT) | instid1(VALU_DEP_4)
	v_add_f64 v[12:13], v[12:13], v[25:26]
	v_cvt_i32_f64_e32 v32, v[32:33]
	s_delay_alu instid0(VALU_DEP_4) | instskip(NEXT) | instid1(VALU_DEP_2)
	v_add_f64 v[23:24], v[23:24], -v[36:37]
	v_cvt_f64_i32_e32 v[30:31], v32
	s_delay_alu instid0(VALU_DEP_2) | instskip(NEXT) | instid1(VALU_DEP_2)
	v_add_f64 v[14:15], v[14:15], v[23:24]
	v_add_f64 v[16:17], v[16:17], -v[30:31]
	s_delay_alu instid0(VALU_DEP_2) | instskip(NEXT) | instid1(VALU_DEP_2)
	v_add_f64 v[10:11], v[12:13], v[14:15]
	v_add_f64 v[12:13], v[21:22], v[16:17]
	s_delay_alu instid0(VALU_DEP_2) | instskip(NEXT) | instid1(VALU_DEP_2)
	v_add_f64 v[6:7], v[6:7], v[10:11]
	v_add_f64 v[10:11], v[12:13], -v[16:17]
	v_cmp_le_f64_e32 vcc_lo, 0.5, v[12:13]
	s_delay_alu instid0(VALU_DEP_3) | instskip(NEXT) | instid1(VALU_DEP_3)
	v_add_f64 v[6:7], v[8:9], v[6:7]
	v_add_f64 v[8:9], v[21:22], -v[10:11]
	v_cndmask_b32_e64 v30, 0, 0x3ff00000, vcc_lo
	v_add_co_ci_u32_e64 v19, s0, 0, v32, vcc_lo
	s_delay_alu instid0(VALU_DEP_3) | instskip(NEXT) | instid1(VALU_DEP_3)
	v_add_f64 v[6:7], v[6:7], v[8:9]
	v_add_f64 v[8:9], v[12:13], -v[29:30]
	s_delay_alu instid0(VALU_DEP_1) | instskip(NEXT) | instid1(VALU_DEP_1)
	v_add_f64 v[10:11], v[8:9], v[6:7]
	v_mul_f64 v[12:13], v[10:11], s[4:5]
	v_add_f64 v[8:9], v[10:11], -v[8:9]
	s_delay_alu instid0(VALU_DEP_2) | instskip(NEXT) | instid1(VALU_DEP_2)
	v_fma_f64 v[14:15], v[10:11], s[4:5], -v[12:13]
	v_add_f64 v[6:7], v[6:7], -v[8:9]
	s_delay_alu instid0(VALU_DEP_2) | instskip(NEXT) | instid1(VALU_DEP_1)
	v_fma_f64 v[8:9], v[10:11], s[6:7], v[14:15]
	v_fma_f64 v[8:9], v[6:7], s[4:5], v[8:9]
	s_delay_alu instid0(VALU_DEP_1) | instskip(NEXT) | instid1(VALU_DEP_1)
	v_add_f64 v[6:7], v[12:13], v[8:9]
	v_add_f64 v[10:11], v[6:7], -v[12:13]
	s_delay_alu instid0(VALU_DEP_1)
	v_add_f64 v[8:9], v[8:9], -v[10:11]
	s_and_not1_saveexec_b32 s0, s1
	s_cbranch_execnz .LBB2_62
	s_branch .LBB2_63
.LBB2_61:
	s_and_not1_saveexec_b32 s0, s1
	s_cbranch_execz .LBB2_63
.LBB2_62:
	s_mov_b32 s4, 0x6dc9c883
	s_mov_b32 s5, 0x3fe45f30
	;; [unrolled: 1-line block ×3, first 2 shown]
	v_mul_f64 v[6:7], |v[0:1]|, s[4:5]
	s_mov_b32 s4, 0x54442d18
	s_mov_b32 s5, 0xbff921fb
	;; [unrolled: 1-line block ×3, first 2 shown]
	s_delay_alu instid0(VALU_DEP_1) | instskip(NEXT) | instid1(VALU_DEP_1)
	v_rndne_f64_e32 v[10:11], v[6:7]
	v_fma_f64 v[6:7], v[10:11], s[4:5], |v[0:1]|
	v_mul_f64 v[8:9], v[10:11], s[6:7]
	s_mov_b32 s4, 0x252049c0
	s_mov_b32 s5, 0xb97b839a
	v_cvt_i32_f64_e32 v19, v[10:11]
	s_delay_alu instid0(VALU_DEP_3) | instskip(NEXT) | instid1(VALU_DEP_3)
	v_fma_f64 v[14:15], v[10:11], s[6:7], v[6:7]
	v_add_f64 v[12:13], v[6:7], v[8:9]
	s_mov_b32 s7, 0x3c91a626
	s_delay_alu instid0(VALU_DEP_1) | instskip(NEXT) | instid1(VALU_DEP_3)
	v_add_f64 v[6:7], v[6:7], -v[12:13]
	v_add_f64 v[12:13], v[12:13], -v[14:15]
	s_delay_alu instid0(VALU_DEP_2) | instskip(SKIP_1) | instid1(VALU_DEP_2)
	v_add_f64 v[6:7], v[6:7], v[8:9]
	v_fma_f64 v[8:9], v[10:11], s[6:7], v[8:9]
	v_add_f64 v[6:7], v[12:13], v[6:7]
	s_delay_alu instid0(VALU_DEP_1) | instskip(NEXT) | instid1(VALU_DEP_1)
	v_add_f64 v[6:7], v[6:7], -v[8:9]
	v_fma_f64 v[8:9], v[10:11], s[4:5], v[6:7]
	s_delay_alu instid0(VALU_DEP_1) | instskip(NEXT) | instid1(VALU_DEP_1)
	v_add_f64 v[6:7], v[14:15], v[8:9]
	v_add_f64 v[12:13], v[6:7], -v[14:15]
	s_delay_alu instid0(VALU_DEP_1)
	v_add_f64 v[8:9], v[8:9], -v[12:13]
.LBB2_63:
	s_or_b32 exec_lo, exec_lo, s0
	v_div_scale_f64 v[10:11], null, v[43:44], v[43:44], 0x40140000
	v_div_scale_f64 v[16:17], vcc_lo, 0x40140000, v[43:44], 0x40140000
	s_mov_b32 s0, 0x6b70ba40
	s_mov_b32 s1, 0x3faa27fa
	;; [unrolled: 1-line block ×6, first 2 shown]
	v_mul_f64 v[26:27], v[2:3], v[2:3]
	v_mul_f64 v[32:33], v[6:7], v[6:7]
	s_mov_b32 s8, 0x796cde01
	s_mov_b32 s9, 0x3ec71de3
	v_mul_f64 v[82:83], v[4:5], 0.5
	v_rcp_f64_e32 v[12:13], v[10:11]
	s_delay_alu instid0(VALU_DEP_3) | instskip(SKIP_1) | instid1(VALU_DEP_4)
	v_mul_f64 v[52:53], v[26:27], 0.5
	v_mul_f64 v[84:85], v[2:3], -v[26:27]
	v_mul_f64 v[98:99], v[6:7], -v[32:33]
	s_waitcnt_depctr 0xfff
	v_fma_f64 v[14:15], -v[10:11], v[12:13], 1.0
	v_add_f64 v[64:65], -v[52:53], 1.0
	s_delay_alu instid0(VALU_DEP_2) | instskip(NEXT) | instid1(VALU_DEP_2)
	v_fma_f64 v[12:13], v[12:13], v[14:15], v[12:13]
	v_add_f64 v[86:87], -v[64:65], 1.0
	s_delay_alu instid0(VALU_DEP_2) | instskip(NEXT) | instid1(VALU_DEP_2)
	v_fma_f64 v[14:15], -v[10:11], v[12:13], 1.0
	v_add_f64 v[52:53], v[86:87], -v[52:53]
	s_delay_alu instid0(VALU_DEP_2) | instskip(NEXT) | instid1(VALU_DEP_2)
	v_fma_f64 v[12:13], v[12:13], v[14:15], v[12:13]
	v_fma_f64 v[52:53], v[2:3], -v[4:5], v[52:53]
	s_delay_alu instid0(VALU_DEP_2) | instskip(NEXT) | instid1(VALU_DEP_1)
	v_mul_f64 v[14:15], v[16:17], v[12:13]
	v_fma_f64 v[10:11], -v[10:11], v[14:15], v[16:17]
	s_delay_alu instid0(VALU_DEP_1) | instskip(NEXT) | instid1(VALU_DEP_1)
	v_div_fmas_f64 v[10:11], v[10:11], v[12:13], v[14:15]
	v_div_fixup_f64 v[10:11], v[10:11], v[43:44], 0x40140000
	s_delay_alu instid0(VALU_DEP_1) | instskip(NEXT) | instid1(VALU_DEP_1)
	v_mul_f64 v[12:13], v[10:11], v[10:11]
	v_fma_f64 v[14:15], v[12:13], 0, s[0:1]
	s_mov_b32 s0, 0x4c6c651b
	s_mov_b32 s1, 0x3f48f92c
	v_fma_f64 v[16:17], v[12:13], 0, s[4:5]
	v_fma_f64 v[20:21], v[12:13], 0, s[0:1]
	s_mov_b32 s0, 0xc66d8fd6
	s_mov_b32 s1, 0x4013edb5
	v_fma_f64 v[22:23], v[12:13], 0, s[6:7]
	s_mov_b32 s4, 0x5948aa83
	s_mov_b32 s5, 0x3fb19fdd
	s_mov_b32 s6, 0xa20e5f6f
	s_mov_b32 s7, 0x409081cb
	s_delay_alu instid0(VALU_DEP_4) | instskip(SKIP_2) | instid1(VALU_DEP_4)
	v_fma_f64 v[14:15], v[12:13], v[14:15], s[0:1]
	s_mov_b32 s0, 0xa3fec4b6
	s_mov_b32 s1, 0x3fb2b948
	v_fma_f64 v[16:17], v[12:13], v[16:17], s[4:5]
	s_delay_alu instid0(VALU_DEP_4) | instskip(SKIP_2) | instid1(VALU_DEP_4)
	v_fma_f64 v[20:21], v[12:13], v[20:21], s[0:1]
	s_mov_b32 s0, 0x9acf1c67
	s_mov_b32 s1, 0x4052f4b9
	v_fma_f64 v[22:23], v[12:13], v[22:23], s[6:7]
	s_mov_b32 s4, 0xb850eed6
	s_mov_b32 s5, 0x3ff1aea9
	s_mov_b32 s6, 0x1bfdfe81
	s_mov_b32 s7, 0x40b37a69
	s_delay_alu instid0(VALU_DEP_4) | instskip(SKIP_2) | instid1(VALU_DEP_4)
	v_fma_f64 v[14:15], v[12:13], v[14:15], s[0:1]
	s_mov_b32 s0, 0xc21596d6
	s_mov_b32 s1, 0x3ff208fe
	v_fma_f64 v[16:17], v[12:13], v[16:17], s[4:5]
	s_delay_alu instid0(VALU_DEP_4) | instskip(SKIP_2) | instid1(VALU_DEP_4)
	;; [unrolled: 14-line block ×5, first 2 shown]
	v_fma_f64 v[20:21], v[12:13], v[20:21], s[0:1]
	s_mov_b32 s0, 0x4c54bb0b
	s_mov_b32 s1, 0x406a760a
	v_fma_f64 v[22:23], v[12:13], v[22:23], s[6:7]
	s_mov_b32 s4, 0x4d159eb5
	s_mov_b32 s5, 0x403934ff
	;; [unrolled: 1-line block ×4, first 2 shown]
	s_delay_alu instid0(VALU_DEP_4) | instskip(SKIP_2) | instid1(VALU_DEP_4)
	v_fma_f64 v[14:15], v[12:13], v[14:15], s[0:1]
	s_mov_b32 s0, 0x6ae75997
	s_mov_b32 s1, 0x4075017f
	v_fma_f64 v[16:17], v[12:13], v[16:17], 1.0
	s_delay_alu instid0(VALU_DEP_4) | instskip(NEXT) | instid1(VALU_DEP_4)
	v_fma_f64 v[20:21], v[12:13], v[20:21], 1.0
	v_fma_f64 v[22:23], v[12:13], v[22:23], s[0:1]
	s_mov_b32 s0, 0xb42fdfa7
	s_mov_b32 s1, 0xbe5ae600
	s_delay_alu instid0(VALU_DEP_4) | instskip(SKIP_2) | instid1(VALU_DEP_3)
	v_fma_f64 v[12:13], v[12:13], v[14:15], s[4:5]
	s_mov_b32 s4, 0xf9a43bb8
	s_mov_b32 s5, 0x3de5e0b2
	v_div_scale_f64 v[14:15], null, v[16:17], v[16:17], v[20:21]
	v_fma_f64 v[34:35], v[26:27], s[4:5], s[0:1]
	v_fma_f64 v[48:49], v[32:33], s[4:5], s[0:1]
	v_cmp_gt_f64_e64 s0, 0x10000000, v[43:44]
	s_mov_b32 s4, 0x9037ab78
	s_mov_b32 s5, 0x3e21eeb6
	v_div_scale_f64 v[96:97], vcc_lo, v[20:21], v[16:17], v[20:21]
	v_fma_f64 v[50:51], v[26:27], s[6:7], s[4:5]
	v_div_scale_f64 v[24:25], null, v[22:23], v[22:23], v[12:13]
	v_rcp_f64_e32 v[28:29], v[14:15]
	v_fma_f64 v[34:35], v[26:27], v[34:35], s[8:9]
	s_delay_alu instid0(VALU_DEP_2) | instskip(SKIP_3) | instid1(VALU_DEP_2)
	v_rcp_f64_e32 v[30:31], v[24:25]
	s_waitcnt_depctr 0xfff
	v_fma_f64 v[36:37], -v[14:15], v[28:29], 1.0
	v_fma_f64 v[38:39], -v[24:25], v[30:31], 1.0
	v_fma_f64 v[28:29], v[28:29], v[36:37], v[28:29]
	v_fma_f64 v[36:37], v[32:33], v[48:49], s[8:9]
	v_fma_f64 v[48:49], v[32:33], s[6:7], s[4:5]
	s_mov_b32 s6, 0x19e83e5c
	s_mov_b32 s7, 0xbf2a01a0
	s_mov_b32 s4, 0xa17f65f6
	v_fma_f64 v[34:35], v[26:27], v[34:35], s[6:7]
	s_mov_b32 s5, 0xbe927e4f
	s_delay_alu instid0(SALU_CYCLE_1) | instskip(SKIP_4) | instid1(VALU_DEP_3)
	v_fma_f64 v[50:51], v[26:27], v[50:51], s[4:5]
	v_fma_f64 v[30:31], v[30:31], v[38:39], v[30:31]
	v_cndmask_b32_e64 v38, 0, 1, s0
	v_fma_f64 v[66:67], -v[14:15], v[28:29], 1.0
	v_fma_f64 v[36:37], v[32:33], v[36:37], s[6:7]
	v_lshlrev_b32_e32 v54, 8, v38
	v_mul_f64 v[38:39], v[32:33], 0.5
	v_fma_f64 v[48:49], v[32:33], v[48:49], s[4:5]
	s_mov_b32 s6, 0x11110bb3
	s_mov_b32 s7, 0x3f811111
	v_ldexp_f64 v[54:55], v[43:44], v54
	v_fma_f64 v[34:35], v[26:27], v[34:35], s[6:7]
	s_mov_b32 s4, 0x19f4ec90
	s_mov_b32 s5, 0x3efa01a0
	s_delay_alu instid0(SALU_CYCLE_1)
	v_fma_f64 v[50:51], v[26:27], v[50:51], s[4:5]
	v_fma_f64 v[68:69], -v[24:25], v[30:31], 1.0
	v_fma_f64 v[28:29], v[28:29], v[66:67], v[28:29]
	v_div_scale_f64 v[66:67], s1, v[12:13], v[22:23], v[12:13]
	v_add_f64 v[70:71], -v[38:39], 1.0
	v_fma_f64 v[36:37], v[32:33], v[36:37], s[6:7]
	v_fma_f64 v[48:49], v[32:33], v[48:49], s[4:5]
	s_mov_b32 s4, 0x16c16967
	v_rsq_f64_e32 v[80:81], v[54:55]
	v_fma_f64 v[34:35], v[84:85], v[34:35], v[82:83]
	s_mov_b32 s5, 0xbf56c16c
	s_delay_alu instid0(SALU_CYCLE_1)
	v_fma_f64 v[50:51], v[26:27], v[50:51], s[4:5]
	v_fma_f64 v[30:31], v[30:31], v[68:69], v[30:31]
	v_mul_f64 v[68:69], v[8:9], 0.5
	v_mul_f64 v[82:83], v[96:97], v[28:29]
	v_add_f64 v[100:101], -v[70:71], 1.0
	v_fma_f64 v[48:49], v[32:33], v[48:49], s[4:5]
	s_mov_b32 s4, 0x55555555
	s_mov_b32 s5, 0x3fa55555
	v_fma_f64 v[4:5], v[26:27], v[34:35], -v[4:5]
	s_delay_alu instid0(TRANS32_DEP_1)
	v_mul_f64 v[102:103], v[54:55], v[80:81]
	v_mul_f64 v[80:81], v[80:81], 0.5
	v_mul_f64 v[34:35], v[32:33], v[32:33]
	v_fma_f64 v[50:51], v[26:27], v[50:51], s[4:5]
	v_mul_f64 v[86:87], v[66:67], v[30:31]
	v_fma_f64 v[36:37], v[98:99], v[36:37], v[68:69]
	v_mul_f64 v[68:69], v[26:27], v[26:27]
	v_fma_f64 v[14:15], -v[14:15], v[82:83], v[96:97]
	v_add_f64 v[38:39], v[100:101], -v[38:39]
	v_fma_f64 v[100:101], -v[80:81], v[102:103], 0.5
	v_fma_f64 v[24:25], -v[24:25], v[86:87], v[66:67]
	v_fma_f64 v[26:27], v[32:33], v[36:37], -v[8:9]
	v_fma_f64 v[32:33], v[32:33], v[48:49], s[4:5]
	s_mov_b32 s5, 0xbfc55555
	v_div_fmas_f64 v[14:15], v[14:15], v[28:29], v[82:83]
	s_mov_b32 vcc_lo, s1
	v_fma_f64 v[4:5], v[84:85], s[4:5], v[4:5]
	v_fma_f64 v[8:9], v[6:7], -v[8:9], v[38:39]
	v_fma_f64 v[38:39], v[68:69], v[50:51], v[52:53]
	v_cmp_class_f64_e64 s1, v[0:1], 0x1f8
	v_and_b32_e32 v0, 1, v19
	v_fma_f64 v[36:37], v[102:103], v[100:101], v[102:103]
	v_fma_f64 v[28:29], v[80:81], v[100:101], v[80:81]
	s_delay_alu instid0(VALU_DEP_3)
	v_cmp_eq_u32_e64 s2, 0, v0
	v_div_fmas_f64 v[24:25], v[24:25], v[30:31], v[86:87]
	v_fma_f64 v[26:27], v[98:99], s[4:5], v[26:27]
	v_add_f64 v[2:3], v[2:3], -v[4:5]
	v_fma_f64 v[8:9], v[34:35], v[32:33], v[8:9]
	v_add_f64 v[32:33], v[64:65], v[38:39]
	v_fma_f64 v[30:31], -v[36:37], v[36:37], v[54:55]
	v_div_fixup_f64 v[4:5], v[24:25], v[22:23], v[12:13]
	v_add_f64 v[6:7], v[6:7], -v[26:27]
	v_and_b32_e32 v22, 1, v18
	v_add_f64 v[8:9], v[70:71], v[8:9]
	s_delay_alu instid0(VALU_DEP_2)
	v_cmp_eq_u32_e32 vcc_lo, 0, v22
	v_cndmask_b32_e32 v2, v32, v2, vcc_lo
	v_fma_f64 v[12:13], v[30:31], v[28:29], v[36:37]
	v_mul_f64 v[4:5], v[10:11], v[4:5]
	v_lshlrev_b32_e32 v10, 30, v19
	v_xor_b32_e32 v7, 0x80000000, v7
	s_delay_alu instid0(VALU_DEP_2) | instskip(SKIP_1) | instid1(VALU_DEP_3)
	v_and_b32_e32 v0, 0x80000000, v10
	v_cndmask_b32_e64 v8, v6, v8, s2
	v_cndmask_b32_e64 v6, v7, v9, s2
	v_div_fixup_f64 v[10:11], v[14:15], v[16:17], v[20:21]
	s_delay_alu instid0(VALU_DEP_3) | instskip(NEXT) | instid1(VALU_DEP_3)
	v_cndmask_b32_e64 v8, 0, v8, s1
	v_xor_b32_e32 v9, v6, v0
	v_fma_f64 v[6:7], -v[12:13], v[12:13], v[54:55]
	v_cndmask_b32_e64 v0, 0, v2, s1
	v_lshlrev_b32_e32 v2, 30, v18
	s_delay_alu instid0(VALU_DEP_4) | instskip(NEXT) | instid1(VALU_DEP_2)
	v_cndmask_b32_e64 v9, 0x7ff80000, v9, s1
	v_xor_b32_e32 v1, v2, v1
	v_cndmask_b32_e32 v2, v33, v3, vcc_lo
	v_cmp_class_f64_e64 vcc_lo, v[54:55], 0x260
	s_delay_alu instid0(VALU_DEP_3) | instskip(NEXT) | instid1(VALU_DEP_1)
	v_and_b32_e32 v1, 0x80000000, v1
	v_xor_b32_e32 v1, v2, v1
	s_delay_alu instid0(VALU_DEP_1) | instskip(SKIP_2) | instid1(VALU_DEP_2)
	v_cndmask_b32_e64 v1, 0x7ff80000, v1, s1
	v_mul_f64 v[4:5], v[4:5], v[8:9]
	v_fma_f64 v[2:3], v[6:7], v[28:29], v[12:13]
	v_fma_f64 v[0:1], v[10:11], v[0:1], v[4:5]
	v_cndmask_b32_e64 v4, 0, 0xffffff80, s0
	s_mov_b32 s0, 0x33d43651
	s_mov_b32 s1, 0x3fe98845
	s_delay_alu instid0(VALU_DEP_1) | instskip(NEXT) | instid1(VALU_DEP_3)
	v_ldexp_f64 v[2:3], v[2:3], v4
	v_mul_f64 v[0:1], v[0:1], s[0:1]
	s_delay_alu instid0(VALU_DEP_2) | instskip(NEXT) | instid1(VALU_DEP_1)
	v_dual_cndmask_b32 v3, v3, v55 :: v_dual_cndmask_b32 v2, v2, v54
	v_div_scale_f64 v[4:5], null, v[2:3], v[2:3], v[0:1]
	s_delay_alu instid0(VALU_DEP_1) | instskip(SKIP_2) | instid1(VALU_DEP_1)
	v_rcp_f64_e32 v[6:7], v[4:5]
	s_waitcnt_depctr 0xfff
	v_fma_f64 v[8:9], -v[4:5], v[6:7], 1.0
	v_fma_f64 v[6:7], v[6:7], v[8:9], v[6:7]
	s_delay_alu instid0(VALU_DEP_1) | instskip(NEXT) | instid1(VALU_DEP_1)
	v_fma_f64 v[8:9], -v[4:5], v[6:7], 1.0
	v_fma_f64 v[6:7], v[6:7], v[8:9], v[6:7]
	v_div_scale_f64 v[8:9], vcc_lo, v[0:1], v[2:3], v[0:1]
	s_delay_alu instid0(VALU_DEP_1) | instskip(NEXT) | instid1(VALU_DEP_1)
	v_mul_f64 v[10:11], v[8:9], v[6:7]
	v_fma_f64 v[4:5], -v[4:5], v[10:11], v[8:9]
	s_delay_alu instid0(VALU_DEP_1) | instskip(NEXT) | instid1(VALU_DEP_1)
	v_div_fmas_f64 v[4:5], v[4:5], v[6:7], v[10:11]
	v_div_fixup_f64 v[58:59], v[4:5], v[2:3], v[0:1]
.LBB2_64:
	s_or_b32 exec_lo, exec_lo, s3
	v_add_co_u32 v0, vcc_lo, v46, s36
	v_add_co_ci_u32_e32 v1, vcc_lo, s37, v45, vcc_lo
	v_readlane_b32 s30, v72, 6
	s_delay_alu instid0(VALU_DEP_3) | instskip(NEXT) | instid1(VALU_DEP_3)
	v_add_co_u32 v0, vcc_lo, v0, v47
	v_add_co_ci_u32_e32 v1, vcc_lo, 0, v1, vcc_lo
	v_readlane_b32 s31, v72, 7
	v_readlane_b32 s39, v72, 5
	;; [unrolled: 1-line block ×3, first 2 shown]
	s_clause 0x1
	flat_store_b128 v[0:1], v[60:63]
	flat_store_b128 v[0:1], v[56:59] offset:16
	s_clause 0xf
	scratch_load_b32 v63, off, s33
	scratch_load_b32 v62, off, s33 offset:4
	scratch_load_b32 v61, off, s33 offset:8
	;; [unrolled: 1-line block ×15, first 2 shown]
	v_readlane_b32 s37, v72, 3
	v_readlane_b32 s36, v72, 2
	;; [unrolled: 1-line block ×5, first 2 shown]
	s_or_saveexec_b32 s1, -1
	scratch_load_b32 v72, off, s33 offset:64 ; 4-byte Folded Reload
	s_mov_b32 exec_lo, s1
	s_addk_i32 s32, 0xffb0
	s_mov_b32 s33, s0
	s_waitcnt vmcnt(0) lgkmcnt(0)
	s_setpc_b64 s[30:31]
.Lfunc_end2:
	.size	_ZN2at6native25elementwise_kernel_helperILb0EZZZNS0_12_GLOBAL__N_121bessel_y1_kernel_cudaERNS_18TensorIteratorBaseEENKUlvE_clEvENKUlvE_clEvEUldE_NS0_6memory8policies10vectorizedILi4ESt5arrayIPcLm2EELi4EEEEEvT0_T1_, .Lfunc_end2-_ZN2at6native25elementwise_kernel_helperILb0EZZZNS0_12_GLOBAL__N_121bessel_y1_kernel_cudaERNS_18TensorIteratorBaseEENKUlvE_clEvENKUlvE_clEvEUldE_NS0_6memory8policies10vectorizedILi4ESt5arrayIPcLm2EELi4EEEEEvT0_T1_
                                        ; -- End function
	.section	.AMDGPU.csdata,"",@progbits
; Function info:
; codeLenInByte = 23184
; NumSgprs: 42
; NumVgprs: 104
; ScratchSize: 96
; MemoryBound: 0
	.section	.text._ZN2at6native29vectorized_elementwise_kernelILi16EZZZNS0_12_GLOBAL__N_121bessel_y1_kernel_cudaERNS_18TensorIteratorBaseEENKUlvE_clEvENKUlvE_clEvEUldE_St5arrayIPcLm2EEEEviT0_T1_,"axG",@progbits,_ZN2at6native29vectorized_elementwise_kernelILi16EZZZNS0_12_GLOBAL__N_121bessel_y1_kernel_cudaERNS_18TensorIteratorBaseEENKUlvE_clEvENKUlvE_clEvEUldE_St5arrayIPcLm2EEEEviT0_T1_,comdat
	.globl	_ZN2at6native29vectorized_elementwise_kernelILi16EZZZNS0_12_GLOBAL__N_121bessel_y1_kernel_cudaERNS_18TensorIteratorBaseEENKUlvE_clEvENKUlvE_clEvEUldE_St5arrayIPcLm2EEEEviT0_T1_ ; -- Begin function _ZN2at6native29vectorized_elementwise_kernelILi16EZZZNS0_12_GLOBAL__N_121bessel_y1_kernel_cudaERNS_18TensorIteratorBaseEENKUlvE_clEvENKUlvE_clEvEUldE_St5arrayIPcLm2EEEEviT0_T1_
	.p2align	8
	.type	_ZN2at6native29vectorized_elementwise_kernelILi16EZZZNS0_12_GLOBAL__N_121bessel_y1_kernel_cudaERNS_18TensorIteratorBaseEENKUlvE_clEvENKUlvE_clEvEUldE_St5arrayIPcLm2EEEEviT0_T1_,@function
_ZN2at6native29vectorized_elementwise_kernelILi16EZZZNS0_12_GLOBAL__N_121bessel_y1_kernel_cudaERNS_18TensorIteratorBaseEENKUlvE_clEvENKUlvE_clEvEUldE_St5arrayIPcLm2EEEEviT0_T1_: ; @_ZN2at6native29vectorized_elementwise_kernelILi16EZZZNS0_12_GLOBAL__N_121bessel_y1_kernel_cudaERNS_18TensorIteratorBaseEENKUlvE_clEvENKUlvE_clEvEUldE_St5arrayIPcLm2EEEEviT0_T1_
; %bb.0:
	s_clause 0x1
	s_load_b32 s2, s[0:1], 0x0
	s_load_b128 s[44:47], s[0:1], 0x8
	s_lshl_b32 s0, s15, 10
	v_mov_b32_e32 v40, v0
	s_mov_b32 s40, s15
	s_mov_b32 s32, 0
	s_waitcnt lgkmcnt(0)
	s_sub_i32 s41, s2, s0
	s_mov_b32 s0, -1
	s_cmpk_gt_i32 s41, 0x3ff
	s_cbranch_scc1 .LBB3_3
; %bb.1:
	s_and_not1_b32 vcc_lo, exec_lo, s0
	s_cbranch_vccz .LBB3_4
.LBB3_2:
	s_endpgm
.LBB3_3:
	v_dual_mov_b32 v31, v40 :: v_dual_mov_b32 v0, s44
	v_dual_mov_b32 v1, s45 :: v_dual_mov_b32 v2, s46
	v_mov_b32_e32 v3, s47
	s_mov_b32 s12, s40
	s_getpc_b64 s[0:1]
	s_add_u32 s0, s0, _ZN2at6native25elementwise_kernel_helperILb0EZZZNS0_12_GLOBAL__N_121bessel_y1_kernel_cudaERNS_18TensorIteratorBaseEENKUlvE_clEvENKUlvE_clEvEUldE_NS0_6memory8policies10vectorizedILi4ESt5arrayIPcLm2EELi4EEEEEvT0_T1_@rel32@lo+4
	s_addc_u32 s1, s1, _ZN2at6native25elementwise_kernel_helperILb0EZZZNS0_12_GLOBAL__N_121bessel_y1_kernel_cudaERNS_18TensorIteratorBaseEENKUlvE_clEvENKUlvE_clEvEUldE_NS0_6memory8policies10vectorizedILi4ESt5arrayIPcLm2EELi4EEEEEvT0_T1_@rel32@hi+12
	s_delay_alu instid0(SALU_CYCLE_1)
	s_swappc_b64 s[30:31], s[0:1]
	s_cbranch_execnz .LBB3_2
.LBB3_4:
	v_dual_mov_b32 v31, v40 :: v_dual_mov_b32 v0, s44
	v_dual_mov_b32 v1, s45 :: v_dual_mov_b32 v2, s46
	;; [unrolled: 1-line block ×3, first 2 shown]
	s_mov_b32 s12, s40
	s_getpc_b64 s[0:1]
	s_add_u32 s0, s0, _ZN2at6native25elementwise_kernel_helperILb0EZZZNS0_12_GLOBAL__N_121bessel_y1_kernel_cudaERNS_18TensorIteratorBaseEENKUlvE_clEvENKUlvE_clEvEUldE_NS0_6memory8policies11unroll_baseILi256ESt5arrayIPcLm2EE23TrivialOffsetCalculatorILi1EjESF_NS8_15LoadWithoutCastENS8_16StoreWithoutCastELi4ELi1EEEEEvT0_T1_@rel32@lo+4
	s_addc_u32 s1, s1, _ZN2at6native25elementwise_kernel_helperILb0EZZZNS0_12_GLOBAL__N_121bessel_y1_kernel_cudaERNS_18TensorIteratorBaseEENKUlvE_clEvENKUlvE_clEvEUldE_NS0_6memory8policies11unroll_baseILi256ESt5arrayIPcLm2EE23TrivialOffsetCalculatorILi1EjESF_NS8_15LoadWithoutCastENS8_16StoreWithoutCastELi4ELi1EEEEEvT0_T1_@rel32@hi+12
	s_delay_alu instid0(SALU_CYCLE_1)
	s_swappc_b64 s[30:31], s[0:1]
	s_endpgm
	.section	.rodata,"a",@progbits
	.p2align	6, 0x0
	.amdhsa_kernel _ZN2at6native29vectorized_elementwise_kernelILi16EZZZNS0_12_GLOBAL__N_121bessel_y1_kernel_cudaERNS_18TensorIteratorBaseEENKUlvE_clEvENKUlvE_clEvEUldE_St5arrayIPcLm2EEEEviT0_T1_
		.amdhsa_group_segment_fixed_size 0
		.amdhsa_private_segment_fixed_size 128
		.amdhsa_kernarg_size 24
		.amdhsa_user_sgpr_count 15
		.amdhsa_user_sgpr_dispatch_ptr 0
		.amdhsa_user_sgpr_queue_ptr 0
		.amdhsa_user_sgpr_kernarg_segment_ptr 1
		.amdhsa_user_sgpr_dispatch_id 0
		.amdhsa_user_sgpr_private_segment_size 0
		.amdhsa_wavefront_size32 1
		.amdhsa_uses_dynamic_stack 1
		.amdhsa_enable_private_segment 1
		.amdhsa_system_sgpr_workgroup_id_x 1
		.amdhsa_system_sgpr_workgroup_id_y 0
		.amdhsa_system_sgpr_workgroup_id_z 0
		.amdhsa_system_sgpr_workgroup_info 0
		.amdhsa_system_vgpr_workitem_id 0
		.amdhsa_next_free_vgpr 116
		.amdhsa_next_free_sgpr 48
		.amdhsa_reserve_vcc 1
		.amdhsa_float_round_mode_32 0
		.amdhsa_float_round_mode_16_64 0
		.amdhsa_float_denorm_mode_32 3
		.amdhsa_float_denorm_mode_16_64 3
		.amdhsa_dx10_clamp 1
		.amdhsa_ieee_mode 1
		.amdhsa_fp16_overflow 0
		.amdhsa_workgroup_processor_mode 1
		.amdhsa_memory_ordered 1
		.amdhsa_forward_progress 0
		.amdhsa_shared_vgpr_count 0
		.amdhsa_exception_fp_ieee_invalid_op 0
		.amdhsa_exception_fp_denorm_src 0
		.amdhsa_exception_fp_ieee_div_zero 0
		.amdhsa_exception_fp_ieee_overflow 0
		.amdhsa_exception_fp_ieee_underflow 0
		.amdhsa_exception_fp_ieee_inexact 0
		.amdhsa_exception_int_div_zero 0
	.end_amdhsa_kernel
	.section	.text._ZN2at6native29vectorized_elementwise_kernelILi16EZZZNS0_12_GLOBAL__N_121bessel_y1_kernel_cudaERNS_18TensorIteratorBaseEENKUlvE_clEvENKUlvE_clEvEUldE_St5arrayIPcLm2EEEEviT0_T1_,"axG",@progbits,_ZN2at6native29vectorized_elementwise_kernelILi16EZZZNS0_12_GLOBAL__N_121bessel_y1_kernel_cudaERNS_18TensorIteratorBaseEENKUlvE_clEvENKUlvE_clEvEUldE_St5arrayIPcLm2EEEEviT0_T1_,comdat
.Lfunc_end3:
	.size	_ZN2at6native29vectorized_elementwise_kernelILi16EZZZNS0_12_GLOBAL__N_121bessel_y1_kernel_cudaERNS_18TensorIteratorBaseEENKUlvE_clEvENKUlvE_clEvEUldE_St5arrayIPcLm2EEEEviT0_T1_, .Lfunc_end3-_ZN2at6native29vectorized_elementwise_kernelILi16EZZZNS0_12_GLOBAL__N_121bessel_y1_kernel_cudaERNS_18TensorIteratorBaseEENKUlvE_clEvENKUlvE_clEvEUldE_St5arrayIPcLm2EEEEviT0_T1_
                                        ; -- End function
	.section	.AMDGPU.csdata,"",@progbits
; Kernel info:
; codeLenInByte = 184
; NumSgprs: 50
; NumVgprs: 116
; ScratchSize: 128
; MemoryBound: 0
; FloatMode: 240
; IeeeMode: 1
; LDSByteSize: 0 bytes/workgroup (compile time only)
; SGPRBlocks: 6
; VGPRBlocks: 14
; NumSGPRsForWavesPerEU: 50
; NumVGPRsForWavesPerEU: 116
; Occupancy: 12
; WaveLimiterHint : 0
; COMPUTE_PGM_RSRC2:SCRATCH_EN: 1
; COMPUTE_PGM_RSRC2:USER_SGPR: 15
; COMPUTE_PGM_RSRC2:TRAP_HANDLER: 0
; COMPUTE_PGM_RSRC2:TGID_X_EN: 1
; COMPUTE_PGM_RSRC2:TGID_Y_EN: 0
; COMPUTE_PGM_RSRC2:TGID_Z_EN: 0
; COMPUTE_PGM_RSRC2:TIDIG_COMP_CNT: 0
	.section	.text._ZN2at6native29vectorized_elementwise_kernelILi8EZZZNS0_12_GLOBAL__N_121bessel_y1_kernel_cudaERNS_18TensorIteratorBaseEENKUlvE_clEvENKUlvE_clEvEUldE_St5arrayIPcLm2EEEEviT0_T1_,"axG",@progbits,_ZN2at6native29vectorized_elementwise_kernelILi8EZZZNS0_12_GLOBAL__N_121bessel_y1_kernel_cudaERNS_18TensorIteratorBaseEENKUlvE_clEvENKUlvE_clEvEUldE_St5arrayIPcLm2EEEEviT0_T1_,comdat
	.globl	_ZN2at6native29vectorized_elementwise_kernelILi8EZZZNS0_12_GLOBAL__N_121bessel_y1_kernel_cudaERNS_18TensorIteratorBaseEENKUlvE_clEvENKUlvE_clEvEUldE_St5arrayIPcLm2EEEEviT0_T1_ ; -- Begin function _ZN2at6native29vectorized_elementwise_kernelILi8EZZZNS0_12_GLOBAL__N_121bessel_y1_kernel_cudaERNS_18TensorIteratorBaseEENKUlvE_clEvENKUlvE_clEvEUldE_St5arrayIPcLm2EEEEviT0_T1_
	.p2align	8
	.type	_ZN2at6native29vectorized_elementwise_kernelILi8EZZZNS0_12_GLOBAL__N_121bessel_y1_kernel_cudaERNS_18TensorIteratorBaseEENKUlvE_clEvENKUlvE_clEvEUldE_St5arrayIPcLm2EEEEviT0_T1_,@function
_ZN2at6native29vectorized_elementwise_kernelILi8EZZZNS0_12_GLOBAL__N_121bessel_y1_kernel_cudaERNS_18TensorIteratorBaseEENKUlvE_clEvENKUlvE_clEvEUldE_St5arrayIPcLm2EEEEviT0_T1_: ; @_ZN2at6native29vectorized_elementwise_kernelILi8EZZZNS0_12_GLOBAL__N_121bessel_y1_kernel_cudaERNS_18TensorIteratorBaseEENKUlvE_clEvENKUlvE_clEvEUldE_St5arrayIPcLm2EEEEviT0_T1_
; %bb.0:
	s_clause 0x1
	s_load_b32 s2, s[0:1], 0x0
	s_load_b128 s[44:47], s[0:1], 0x8
	s_lshl_b32 s0, s15, 10
	v_mov_b32_e32 v40, v0
	s_mov_b32 s40, s15
	s_mov_b32 s32, 0
	s_waitcnt lgkmcnt(0)
	s_sub_i32 s41, s2, s0
	s_mov_b32 s0, -1
	s_cmpk_gt_i32 s41, 0x3ff
	s_cbranch_scc1 .LBB4_3
; %bb.1:
	s_and_not1_b32 vcc_lo, exec_lo, s0
	s_cbranch_vccz .LBB4_4
.LBB4_2:
	s_endpgm
.LBB4_3:
	v_dual_mov_b32 v31, v40 :: v_dual_mov_b32 v0, s44
	v_dual_mov_b32 v1, s45 :: v_dual_mov_b32 v2, s46
	v_mov_b32_e32 v3, s47
	s_mov_b32 s12, s40
	s_getpc_b64 s[0:1]
	s_add_u32 s0, s0, _ZN2at6native25elementwise_kernel_helperILb0EZZZNS0_12_GLOBAL__N_121bessel_y1_kernel_cudaERNS_18TensorIteratorBaseEENKUlvE_clEvENKUlvE_clEvEUldE_NS0_6memory8policies10vectorizedILi4ESt5arrayIPcLm2EELi4EEEEEvT0_T1_@rel32@lo+4
	s_addc_u32 s1, s1, _ZN2at6native25elementwise_kernel_helperILb0EZZZNS0_12_GLOBAL__N_121bessel_y1_kernel_cudaERNS_18TensorIteratorBaseEENKUlvE_clEvENKUlvE_clEvEUldE_NS0_6memory8policies10vectorizedILi4ESt5arrayIPcLm2EELi4EEEEEvT0_T1_@rel32@hi+12
	s_delay_alu instid0(SALU_CYCLE_1)
	s_swappc_b64 s[30:31], s[0:1]
	s_cbranch_execnz .LBB4_2
.LBB4_4:
	v_dual_mov_b32 v31, v40 :: v_dual_mov_b32 v0, s44
	v_dual_mov_b32 v1, s45 :: v_dual_mov_b32 v2, s46
	;; [unrolled: 1-line block ×3, first 2 shown]
	s_mov_b32 s12, s40
	s_getpc_b64 s[0:1]
	s_add_u32 s0, s0, _ZN2at6native25elementwise_kernel_helperILb0EZZZNS0_12_GLOBAL__N_121bessel_y1_kernel_cudaERNS_18TensorIteratorBaseEENKUlvE_clEvENKUlvE_clEvEUldE_NS0_6memory8policies11unroll_baseILi256ESt5arrayIPcLm2EE23TrivialOffsetCalculatorILi1EjESF_NS8_15LoadWithoutCastENS8_16StoreWithoutCastELi4ELi1EEEEEvT0_T1_@rel32@lo+4
	s_addc_u32 s1, s1, _ZN2at6native25elementwise_kernel_helperILb0EZZZNS0_12_GLOBAL__N_121bessel_y1_kernel_cudaERNS_18TensorIteratorBaseEENKUlvE_clEvENKUlvE_clEvEUldE_NS0_6memory8policies11unroll_baseILi256ESt5arrayIPcLm2EE23TrivialOffsetCalculatorILi1EjESF_NS8_15LoadWithoutCastENS8_16StoreWithoutCastELi4ELi1EEEEEvT0_T1_@rel32@hi+12
	s_delay_alu instid0(SALU_CYCLE_1)
	s_swappc_b64 s[30:31], s[0:1]
	s_endpgm
	.section	.rodata,"a",@progbits
	.p2align	6, 0x0
	.amdhsa_kernel _ZN2at6native29vectorized_elementwise_kernelILi8EZZZNS0_12_GLOBAL__N_121bessel_y1_kernel_cudaERNS_18TensorIteratorBaseEENKUlvE_clEvENKUlvE_clEvEUldE_St5arrayIPcLm2EEEEviT0_T1_
		.amdhsa_group_segment_fixed_size 0
		.amdhsa_private_segment_fixed_size 128
		.amdhsa_kernarg_size 24
		.amdhsa_user_sgpr_count 15
		.amdhsa_user_sgpr_dispatch_ptr 0
		.amdhsa_user_sgpr_queue_ptr 0
		.amdhsa_user_sgpr_kernarg_segment_ptr 1
		.amdhsa_user_sgpr_dispatch_id 0
		.amdhsa_user_sgpr_private_segment_size 0
		.amdhsa_wavefront_size32 1
		.amdhsa_uses_dynamic_stack 1
		.amdhsa_enable_private_segment 1
		.amdhsa_system_sgpr_workgroup_id_x 1
		.amdhsa_system_sgpr_workgroup_id_y 0
		.amdhsa_system_sgpr_workgroup_id_z 0
		.amdhsa_system_sgpr_workgroup_info 0
		.amdhsa_system_vgpr_workitem_id 0
		.amdhsa_next_free_vgpr 116
		.amdhsa_next_free_sgpr 48
		.amdhsa_reserve_vcc 1
		.amdhsa_float_round_mode_32 0
		.amdhsa_float_round_mode_16_64 0
		.amdhsa_float_denorm_mode_32 3
		.amdhsa_float_denorm_mode_16_64 3
		.amdhsa_dx10_clamp 1
		.amdhsa_ieee_mode 1
		.amdhsa_fp16_overflow 0
		.amdhsa_workgroup_processor_mode 1
		.amdhsa_memory_ordered 1
		.amdhsa_forward_progress 0
		.amdhsa_shared_vgpr_count 0
		.amdhsa_exception_fp_ieee_invalid_op 0
		.amdhsa_exception_fp_denorm_src 0
		.amdhsa_exception_fp_ieee_div_zero 0
		.amdhsa_exception_fp_ieee_overflow 0
		.amdhsa_exception_fp_ieee_underflow 0
		.amdhsa_exception_fp_ieee_inexact 0
		.amdhsa_exception_int_div_zero 0
	.end_amdhsa_kernel
	.section	.text._ZN2at6native29vectorized_elementwise_kernelILi8EZZZNS0_12_GLOBAL__N_121bessel_y1_kernel_cudaERNS_18TensorIteratorBaseEENKUlvE_clEvENKUlvE_clEvEUldE_St5arrayIPcLm2EEEEviT0_T1_,"axG",@progbits,_ZN2at6native29vectorized_elementwise_kernelILi8EZZZNS0_12_GLOBAL__N_121bessel_y1_kernel_cudaERNS_18TensorIteratorBaseEENKUlvE_clEvENKUlvE_clEvEUldE_St5arrayIPcLm2EEEEviT0_T1_,comdat
.Lfunc_end4:
	.size	_ZN2at6native29vectorized_elementwise_kernelILi8EZZZNS0_12_GLOBAL__N_121bessel_y1_kernel_cudaERNS_18TensorIteratorBaseEENKUlvE_clEvENKUlvE_clEvEUldE_St5arrayIPcLm2EEEEviT0_T1_, .Lfunc_end4-_ZN2at6native29vectorized_elementwise_kernelILi8EZZZNS0_12_GLOBAL__N_121bessel_y1_kernel_cudaERNS_18TensorIteratorBaseEENKUlvE_clEvENKUlvE_clEvEUldE_St5arrayIPcLm2EEEEviT0_T1_
                                        ; -- End function
	.section	.AMDGPU.csdata,"",@progbits
; Kernel info:
; codeLenInByte = 184
; NumSgprs: 50
; NumVgprs: 116
; ScratchSize: 128
; MemoryBound: 0
; FloatMode: 240
; IeeeMode: 1
; LDSByteSize: 0 bytes/workgroup (compile time only)
; SGPRBlocks: 6
; VGPRBlocks: 14
; NumSGPRsForWavesPerEU: 50
; NumVGPRsForWavesPerEU: 116
; Occupancy: 12
; WaveLimiterHint : 0
; COMPUTE_PGM_RSRC2:SCRATCH_EN: 1
; COMPUTE_PGM_RSRC2:USER_SGPR: 15
; COMPUTE_PGM_RSRC2:TRAP_HANDLER: 0
; COMPUTE_PGM_RSRC2:TGID_X_EN: 1
; COMPUTE_PGM_RSRC2:TGID_Y_EN: 0
; COMPUTE_PGM_RSRC2:TGID_Z_EN: 0
; COMPUTE_PGM_RSRC2:TIDIG_COMP_CNT: 0
	.section	.text._ZN2at6native29vectorized_elementwise_kernelILi4EZZZNS0_12_GLOBAL__N_121bessel_y1_kernel_cudaERNS_18TensorIteratorBaseEENKUlvE_clEvENKUlvE_clEvEUldE_St5arrayIPcLm2EEEEviT0_T1_,"axG",@progbits,_ZN2at6native29vectorized_elementwise_kernelILi4EZZZNS0_12_GLOBAL__N_121bessel_y1_kernel_cudaERNS_18TensorIteratorBaseEENKUlvE_clEvENKUlvE_clEvEUldE_St5arrayIPcLm2EEEEviT0_T1_,comdat
	.globl	_ZN2at6native29vectorized_elementwise_kernelILi4EZZZNS0_12_GLOBAL__N_121bessel_y1_kernel_cudaERNS_18TensorIteratorBaseEENKUlvE_clEvENKUlvE_clEvEUldE_St5arrayIPcLm2EEEEviT0_T1_ ; -- Begin function _ZN2at6native29vectorized_elementwise_kernelILi4EZZZNS0_12_GLOBAL__N_121bessel_y1_kernel_cudaERNS_18TensorIteratorBaseEENKUlvE_clEvENKUlvE_clEvEUldE_St5arrayIPcLm2EEEEviT0_T1_
	.p2align	8
	.type	_ZN2at6native29vectorized_elementwise_kernelILi4EZZZNS0_12_GLOBAL__N_121bessel_y1_kernel_cudaERNS_18TensorIteratorBaseEENKUlvE_clEvENKUlvE_clEvEUldE_St5arrayIPcLm2EEEEviT0_T1_,@function
_ZN2at6native29vectorized_elementwise_kernelILi4EZZZNS0_12_GLOBAL__N_121bessel_y1_kernel_cudaERNS_18TensorIteratorBaseEENKUlvE_clEvENKUlvE_clEvEUldE_St5arrayIPcLm2EEEEviT0_T1_: ; @_ZN2at6native29vectorized_elementwise_kernelILi4EZZZNS0_12_GLOBAL__N_121bessel_y1_kernel_cudaERNS_18TensorIteratorBaseEENKUlvE_clEvENKUlvE_clEvEUldE_St5arrayIPcLm2EEEEviT0_T1_
; %bb.0:
	s_clause 0x1
	s_load_b32 s2, s[0:1], 0x0
	s_load_b128 s[44:47], s[0:1], 0x8
	s_lshl_b32 s0, s15, 10
	v_mov_b32_e32 v40, v0
	s_mov_b32 s40, s15
	s_mov_b32 s32, 0
	s_waitcnt lgkmcnt(0)
	s_sub_i32 s41, s2, s0
	s_mov_b32 s0, -1
	s_cmpk_gt_i32 s41, 0x3ff
	s_cbranch_scc1 .LBB5_3
; %bb.1:
	s_and_not1_b32 vcc_lo, exec_lo, s0
	s_cbranch_vccz .LBB5_4
.LBB5_2:
	s_endpgm
.LBB5_3:
	v_dual_mov_b32 v31, v40 :: v_dual_mov_b32 v0, s44
	v_dual_mov_b32 v1, s45 :: v_dual_mov_b32 v2, s46
	v_mov_b32_e32 v3, s47
	s_mov_b32 s12, s40
	s_getpc_b64 s[0:1]
	s_add_u32 s0, s0, _ZN2at6native25elementwise_kernel_helperILb0EZZZNS0_12_GLOBAL__N_121bessel_y1_kernel_cudaERNS_18TensorIteratorBaseEENKUlvE_clEvENKUlvE_clEvEUldE_NS0_6memory8policies10vectorizedILi4ESt5arrayIPcLm2EELi4EEEEEvT0_T1_@rel32@lo+4
	s_addc_u32 s1, s1, _ZN2at6native25elementwise_kernel_helperILb0EZZZNS0_12_GLOBAL__N_121bessel_y1_kernel_cudaERNS_18TensorIteratorBaseEENKUlvE_clEvENKUlvE_clEvEUldE_NS0_6memory8policies10vectorizedILi4ESt5arrayIPcLm2EELi4EEEEEvT0_T1_@rel32@hi+12
	s_delay_alu instid0(SALU_CYCLE_1)
	s_swappc_b64 s[30:31], s[0:1]
	s_cbranch_execnz .LBB5_2
.LBB5_4:
	v_dual_mov_b32 v31, v40 :: v_dual_mov_b32 v0, s44
	v_dual_mov_b32 v1, s45 :: v_dual_mov_b32 v2, s46
	;; [unrolled: 1-line block ×3, first 2 shown]
	s_mov_b32 s12, s40
	s_getpc_b64 s[0:1]
	s_add_u32 s0, s0, _ZN2at6native25elementwise_kernel_helperILb0EZZZNS0_12_GLOBAL__N_121bessel_y1_kernel_cudaERNS_18TensorIteratorBaseEENKUlvE_clEvENKUlvE_clEvEUldE_NS0_6memory8policies11unroll_baseILi256ESt5arrayIPcLm2EE23TrivialOffsetCalculatorILi1EjESF_NS8_15LoadWithoutCastENS8_16StoreWithoutCastELi4ELi1EEEEEvT0_T1_@rel32@lo+4
	s_addc_u32 s1, s1, _ZN2at6native25elementwise_kernel_helperILb0EZZZNS0_12_GLOBAL__N_121bessel_y1_kernel_cudaERNS_18TensorIteratorBaseEENKUlvE_clEvENKUlvE_clEvEUldE_NS0_6memory8policies11unroll_baseILi256ESt5arrayIPcLm2EE23TrivialOffsetCalculatorILi1EjESF_NS8_15LoadWithoutCastENS8_16StoreWithoutCastELi4ELi1EEEEEvT0_T1_@rel32@hi+12
	s_delay_alu instid0(SALU_CYCLE_1)
	s_swappc_b64 s[30:31], s[0:1]
	s_endpgm
	.section	.rodata,"a",@progbits
	.p2align	6, 0x0
	.amdhsa_kernel _ZN2at6native29vectorized_elementwise_kernelILi4EZZZNS0_12_GLOBAL__N_121bessel_y1_kernel_cudaERNS_18TensorIteratorBaseEENKUlvE_clEvENKUlvE_clEvEUldE_St5arrayIPcLm2EEEEviT0_T1_
		.amdhsa_group_segment_fixed_size 0
		.amdhsa_private_segment_fixed_size 128
		.amdhsa_kernarg_size 24
		.amdhsa_user_sgpr_count 15
		.amdhsa_user_sgpr_dispatch_ptr 0
		.amdhsa_user_sgpr_queue_ptr 0
		.amdhsa_user_sgpr_kernarg_segment_ptr 1
		.amdhsa_user_sgpr_dispatch_id 0
		.amdhsa_user_sgpr_private_segment_size 0
		.amdhsa_wavefront_size32 1
		.amdhsa_uses_dynamic_stack 1
		.amdhsa_enable_private_segment 1
		.amdhsa_system_sgpr_workgroup_id_x 1
		.amdhsa_system_sgpr_workgroup_id_y 0
		.amdhsa_system_sgpr_workgroup_id_z 0
		.amdhsa_system_sgpr_workgroup_info 0
		.amdhsa_system_vgpr_workitem_id 0
		.amdhsa_next_free_vgpr 116
		.amdhsa_next_free_sgpr 48
		.amdhsa_reserve_vcc 1
		.amdhsa_float_round_mode_32 0
		.amdhsa_float_round_mode_16_64 0
		.amdhsa_float_denorm_mode_32 3
		.amdhsa_float_denorm_mode_16_64 3
		.amdhsa_dx10_clamp 1
		.amdhsa_ieee_mode 1
		.amdhsa_fp16_overflow 0
		.amdhsa_workgroup_processor_mode 1
		.amdhsa_memory_ordered 1
		.amdhsa_forward_progress 0
		.amdhsa_shared_vgpr_count 0
		.amdhsa_exception_fp_ieee_invalid_op 0
		.amdhsa_exception_fp_denorm_src 0
		.amdhsa_exception_fp_ieee_div_zero 0
		.amdhsa_exception_fp_ieee_overflow 0
		.amdhsa_exception_fp_ieee_underflow 0
		.amdhsa_exception_fp_ieee_inexact 0
		.amdhsa_exception_int_div_zero 0
	.end_amdhsa_kernel
	.section	.text._ZN2at6native29vectorized_elementwise_kernelILi4EZZZNS0_12_GLOBAL__N_121bessel_y1_kernel_cudaERNS_18TensorIteratorBaseEENKUlvE_clEvENKUlvE_clEvEUldE_St5arrayIPcLm2EEEEviT0_T1_,"axG",@progbits,_ZN2at6native29vectorized_elementwise_kernelILi4EZZZNS0_12_GLOBAL__N_121bessel_y1_kernel_cudaERNS_18TensorIteratorBaseEENKUlvE_clEvENKUlvE_clEvEUldE_St5arrayIPcLm2EEEEviT0_T1_,comdat
.Lfunc_end5:
	.size	_ZN2at6native29vectorized_elementwise_kernelILi4EZZZNS0_12_GLOBAL__N_121bessel_y1_kernel_cudaERNS_18TensorIteratorBaseEENKUlvE_clEvENKUlvE_clEvEUldE_St5arrayIPcLm2EEEEviT0_T1_, .Lfunc_end5-_ZN2at6native29vectorized_elementwise_kernelILi4EZZZNS0_12_GLOBAL__N_121bessel_y1_kernel_cudaERNS_18TensorIteratorBaseEENKUlvE_clEvENKUlvE_clEvEUldE_St5arrayIPcLm2EEEEviT0_T1_
                                        ; -- End function
	.section	.AMDGPU.csdata,"",@progbits
; Kernel info:
; codeLenInByte = 184
; NumSgprs: 50
; NumVgprs: 116
; ScratchSize: 128
; MemoryBound: 0
; FloatMode: 240
; IeeeMode: 1
; LDSByteSize: 0 bytes/workgroup (compile time only)
; SGPRBlocks: 6
; VGPRBlocks: 14
; NumSGPRsForWavesPerEU: 50
; NumVGPRsForWavesPerEU: 116
; Occupancy: 12
; WaveLimiterHint : 0
; COMPUTE_PGM_RSRC2:SCRATCH_EN: 1
; COMPUTE_PGM_RSRC2:USER_SGPR: 15
; COMPUTE_PGM_RSRC2:TRAP_HANDLER: 0
; COMPUTE_PGM_RSRC2:TGID_X_EN: 1
; COMPUTE_PGM_RSRC2:TGID_Y_EN: 0
; COMPUTE_PGM_RSRC2:TGID_Z_EN: 0
; COMPUTE_PGM_RSRC2:TIDIG_COMP_CNT: 0
	.section	.text._ZN2at6native29vectorized_elementwise_kernelILi2EZZZNS0_12_GLOBAL__N_121bessel_y1_kernel_cudaERNS_18TensorIteratorBaseEENKUlvE_clEvENKUlvE_clEvEUldE_St5arrayIPcLm2EEEEviT0_T1_,"axG",@progbits,_ZN2at6native29vectorized_elementwise_kernelILi2EZZZNS0_12_GLOBAL__N_121bessel_y1_kernel_cudaERNS_18TensorIteratorBaseEENKUlvE_clEvENKUlvE_clEvEUldE_St5arrayIPcLm2EEEEviT0_T1_,comdat
	.globl	_ZN2at6native29vectorized_elementwise_kernelILi2EZZZNS0_12_GLOBAL__N_121bessel_y1_kernel_cudaERNS_18TensorIteratorBaseEENKUlvE_clEvENKUlvE_clEvEUldE_St5arrayIPcLm2EEEEviT0_T1_ ; -- Begin function _ZN2at6native29vectorized_elementwise_kernelILi2EZZZNS0_12_GLOBAL__N_121bessel_y1_kernel_cudaERNS_18TensorIteratorBaseEENKUlvE_clEvENKUlvE_clEvEUldE_St5arrayIPcLm2EEEEviT0_T1_
	.p2align	8
	.type	_ZN2at6native29vectorized_elementwise_kernelILi2EZZZNS0_12_GLOBAL__N_121bessel_y1_kernel_cudaERNS_18TensorIteratorBaseEENKUlvE_clEvENKUlvE_clEvEUldE_St5arrayIPcLm2EEEEviT0_T1_,@function
_ZN2at6native29vectorized_elementwise_kernelILi2EZZZNS0_12_GLOBAL__N_121bessel_y1_kernel_cudaERNS_18TensorIteratorBaseEENKUlvE_clEvENKUlvE_clEvEUldE_St5arrayIPcLm2EEEEviT0_T1_: ; @_ZN2at6native29vectorized_elementwise_kernelILi2EZZZNS0_12_GLOBAL__N_121bessel_y1_kernel_cudaERNS_18TensorIteratorBaseEENKUlvE_clEvENKUlvE_clEvEUldE_St5arrayIPcLm2EEEEviT0_T1_
; %bb.0:
	s_clause 0x1
	s_load_b32 s2, s[0:1], 0x0
	s_load_b128 s[36:39], s[0:1], 0x8
	s_lshl_b32 s0, s15, 10
	s_mov_b32 s1, -1
	s_mov_b32 s32, 0
	s_waitcnt lgkmcnt(0)
	s_sub_i32 s35, s2, s0
	s_delay_alu instid0(SALU_CYCLE_1)
	s_cmpk_gt_i32 s35, 0x3ff
	s_cbranch_scc0 .LBB6_10
; %bb.1:
	s_ashr_i32 s1, s0, 31
	v_lshlrev_b32_e32 v45, 4, v0
	s_lshl_b64 s[40:41], s[0:1], 3
                                        ; implicit-def: $vgpr60_vgpr61
	s_delay_alu instid0(SALU_CYCLE_1) | instskip(SKIP_3) | instid1(VALU_DEP_1)
	s_add_u32 s0, s38, s40
	s_addc_u32 s1, s39, s41
	global_load_b128 v[56:59], v45, s[0:1]
	v_add_co_u32 v1, s0, s0, v45
	v_add_co_ci_u32_e64 v2, null, s1, 0, s0
	s_mov_b32 s0, exec_lo
	s_delay_alu instid0(VALU_DEP_2) | instskip(NEXT) | instid1(VALU_DEP_2)
	v_add_co_u32 v1, vcc_lo, 0x1000, v1
	v_add_co_ci_u32_e32 v2, vcc_lo, 0, v2, vcc_lo
	global_load_b128 v[41:44], v[1:2], off
	s_waitcnt vmcnt(1)
	v_cmpx_ge_f64_e32 0x40140000, v[56:57]
	s_xor_b32 s42, exec_lo, s0
	s_cbranch_execz .LBB6_7
; %bb.2:
	v_mov_b32_e32 v60, 0
	v_mov_b32_e32 v61, 0xfff00000
	s_mov_b32 s43, exec_lo
	v_cmpx_neq_f64_e32 0, v[56:57]
	s_cbranch_execz .LBB6_6
; %bb.3:
	v_mov_b32_e32 v60, 0
	v_mov_b32_e32 v61, 0x7ff80000
	s_mov_b32 s44, exec_lo
	v_cmpx_nge_f64_e32 0, v[56:57]
	s_cbranch_execz .LBB6_5
; %bb.4:
	v_mul_f64 v[1:2], v[56:57], v[56:57]
	s_mov_b32 s0, 0xa93f7ac2
	s_mov_b32 s1, 0x40829269
	;; [unrolled: 1-line block ×4, first 2 shown]
	v_mov_b32_e32 v46, v0
	v_mov_b32_e32 v0, v56
	s_mov_b32 s45, s15
	s_delay_alu instid0(VALU_DEP_3)
	v_fma_f64 v[3:4], v[1:2], 0, s[0:1]
	s_mov_b32 s0, 0xbe58ef7f
	s_mov_b32 s1, 0x410cc160
	s_delay_alu instid0(VALU_DEP_1) | instid1(SALU_CYCLE_1)
	v_fma_f64 v[3:4], v[1:2], v[3:4], s[0:1]
	s_mov_b32 s0, 0x62f9b6c5
	s_mov_b32 s1, 0x41d2d2be
	s_delay_alu instid0(SALU_CYCLE_1) | instskip(SKIP_2) | instid1(VALU_DEP_2)
	v_fma_f64 v[5:6], v[1:2], 0, s[0:1]
	s_mov_b32 s0, 0x58836521
	s_mov_b32 s1, 0xc262d72d
	v_fma_f64 v[3:4], v[1:2], v[3:4], s[2:3]
	s_mov_b32 s2, 0x906b7b83
	s_mov_b32 s3, 0x421178c3
	s_delay_alu instid0(VALU_DEP_2) | instskip(SKIP_2) | instid1(VALU_DEP_2)
	v_fma_f64 v[5:6], v[1:2], v[5:6], s[0:1]
	s_mov_b32 s0, 0xb0910fef
	s_mov_b32 s1, 0x42da0954
	v_fma_f64 v[3:4], v[1:2], v[3:4], s[2:3]
	s_mov_b32 s2, 0xfda99316
	s_mov_b32 s3, 0x428c3f5e
	s_delay_alu instid0(VALU_DEP_2) | instskip(SKIP_2) | instid1(VALU_DEP_2)
	;; [unrolled: 7-line block ×4, first 2 shown]
	v_fma_f64 v[5:6], v[1:2], v[5:6], s[0:1]
	s_mov_b32 s0, 0x5dde2b17
	s_mov_b32 s1, 0xc3a59e41
	v_fma_f64 v[3:4], v[1:2], v[3:4], s[2:3]
	s_mov_b32 s2, 0x90f6747f
	s_mov_b32 s3, 0x43cb90f1
	s_delay_alu instid0(VALU_DEP_2) | instskip(SKIP_3) | instid1(VALU_DEP_2)
	v_fma_f64 v[5:6], v[1:2], v[5:6], s[0:1]
	s_getpc_b64 s[0:1]
	s_add_u32 s0, s0, _Z17bessel_j1_forwardIdET_S0_@rel32@lo+4
	s_addc_u32 s1, s1, _Z17bessel_j1_forwardIdET_S0_@rel32@hi+12
	v_fma_f64 v[1:2], v[1:2], v[3:4], s[2:3]
	s_delay_alu instid0(VALU_DEP_1) | instskip(NEXT) | instid1(VALU_DEP_1)
	v_div_scale_f64 v[3:4], null, v[1:2], v[1:2], v[5:6]
	v_rcp_f64_e32 v[7:8], v[3:4]
	s_waitcnt_depctr 0xfff
	v_fma_f64 v[9:10], -v[3:4], v[7:8], 1.0
	s_delay_alu instid0(VALU_DEP_1) | instskip(NEXT) | instid1(VALU_DEP_1)
	v_fma_f64 v[7:8], v[7:8], v[9:10], v[7:8]
	v_fma_f64 v[9:10], -v[3:4], v[7:8], 1.0
	s_delay_alu instid0(VALU_DEP_1) | instskip(SKIP_1) | instid1(VALU_DEP_1)
	v_fma_f64 v[7:8], v[7:8], v[9:10], v[7:8]
	v_div_scale_f64 v[9:10], vcc_lo, v[5:6], v[1:2], v[5:6]
	v_mul_f64 v[11:12], v[9:10], v[7:8]
	s_delay_alu instid0(VALU_DEP_1) | instskip(NEXT) | instid1(VALU_DEP_1)
	v_fma_f64 v[3:4], -v[3:4], v[11:12], v[9:10]
	v_div_fmas_f64 v[3:4], v[3:4], v[7:8], v[11:12]
	s_delay_alu instid0(VALU_DEP_1)
	v_div_fixup_f64 v[60:61], v[3:4], v[1:2], v[5:6]
	v_mov_b32_e32 v1, v57
	s_swappc_b64 s[30:31], s[0:1]
	v_frexp_mant_f64_e32 v[4:5], v[56:57]
	s_mov_b32 s1, 0x3fe55555
	s_mov_b32 s0, 0x55555555
	v_mov_b32_e32 v6, 0
	s_mov_b32 s2, 0x6b47b09a
	s_mov_b32 s4, 0xbf559e2b
	;; [unrolled: 1-line block ×4, first 2 shown]
	v_dual_mov_b32 v2, v0 :: v_dual_mov_b32 v3, v1
	v_frexp_exp_i32_f64_e32 v1, v[56:57]
	v_div_scale_f64 v[20:21], null, v[56:57], v[56:57], -1.0
	v_mov_b32_e32 v0, v46
	s_mov_b32 s15, s45
	v_cmp_gt_f64_e32 vcc_lo, s[0:1], v[4:5]
	s_mov_b32 s0, 0x55555780
	s_delay_alu instid0(VALU_DEP_3) | instskip(SKIP_2) | instid1(VALU_DEP_2)
	v_rcp_f64_e32 v[24:25], v[20:21]
	v_cndmask_b32_e64 v7, 0x3ff00000, 2.0, vcc_lo
	v_subrev_co_ci_u32_e32 v1, vcc_lo, 0, v1, vcc_lo
	v_mul_f64 v[4:5], v[4:5], v[6:7]
	s_delay_alu instid0(VALU_DEP_1) | instskip(SKIP_1) | instid1(VALU_DEP_2)
	v_add_f64 v[6:7], v[4:5], 1.0
	v_add_f64 v[12:13], v[4:5], -1.0
	v_rcp_f64_e32 v[8:9], v[6:7]
	v_add_f64 v[14:15], v[6:7], -1.0
	s_delay_alu instid0(VALU_DEP_1) | instskip(SKIP_2) | instid1(VALU_DEP_1)
	v_add_f64 v[4:5], v[4:5], -v[14:15]
	s_waitcnt_depctr 0xfff
	v_fma_f64 v[10:11], -v[6:7], v[8:9], 1.0
	v_fma_f64 v[8:9], v[10:11], v[8:9], v[8:9]
	s_delay_alu instid0(VALU_DEP_1) | instskip(NEXT) | instid1(VALU_DEP_1)
	v_fma_f64 v[10:11], -v[6:7], v[8:9], 1.0
	v_fma_f64 v[8:9], v[10:11], v[8:9], v[8:9]
	s_delay_alu instid0(VALU_DEP_1) | instskip(NEXT) | instid1(VALU_DEP_1)
	v_mul_f64 v[10:11], v[12:13], v[8:9]
	v_mul_f64 v[16:17], v[6:7], v[10:11]
	s_delay_alu instid0(VALU_DEP_1) | instskip(NEXT) | instid1(VALU_DEP_1)
	v_fma_f64 v[6:7], v[10:11], v[6:7], -v[16:17]
	v_fma_f64 v[4:5], v[10:11], v[4:5], v[6:7]
	s_delay_alu instid0(VALU_DEP_1) | instskip(NEXT) | instid1(VALU_DEP_1)
	v_add_f64 v[6:7], v[16:17], v[4:5]
	v_add_f64 v[14:15], v[12:13], -v[6:7]
	v_add_f64 v[16:17], v[6:7], -v[16:17]
	s_delay_alu instid0(VALU_DEP_2) | instskip(NEXT) | instid1(VALU_DEP_2)
	v_add_f64 v[12:13], v[12:13], -v[14:15]
	v_add_f64 v[4:5], v[16:17], -v[4:5]
	s_delay_alu instid0(VALU_DEP_2) | instskip(NEXT) | instid1(VALU_DEP_1)
	v_add_f64 v[6:7], v[12:13], -v[6:7]
	v_add_f64 v[4:5], v[4:5], v[6:7]
	s_delay_alu instid0(VALU_DEP_1) | instskip(NEXT) | instid1(VALU_DEP_1)
	v_add_f64 v[4:5], v[14:15], v[4:5]
	v_mul_f64 v[4:5], v[8:9], v[4:5]
	s_delay_alu instid0(VALU_DEP_1) | instskip(NEXT) | instid1(VALU_DEP_1)
	v_add_f64 v[6:7], v[10:11], v[4:5]
	v_mul_f64 v[8:9], v[6:7], v[6:7]
	s_delay_alu instid0(VALU_DEP_1) | instskip(SKIP_3) | instid1(VALU_DEP_2)
	v_fma_f64 v[12:13], v[8:9], s[4:5], s[2:3]
	s_mov_b32 s2, 0xd7f4df2e
	s_mov_b32 s3, 0x3fc7474d
	v_mul_f64 v[14:15], v[6:7], v[8:9]
	v_fma_f64 v[12:13], v[8:9], v[12:13], s[2:3]
	s_mov_b32 s2, 0x16291751
	s_mov_b32 s3, 0x3fcc71c0
	s_delay_alu instid0(VALU_DEP_1) | instid1(SALU_CYCLE_1)
	v_fma_f64 v[12:13], v[8:9], v[12:13], s[2:3]
	s_mov_b32 s2, 0x9b27acf1
	s_mov_b32 s3, 0x3fd24924
	s_delay_alu instid0(VALU_DEP_1) | instid1(SALU_CYCLE_1)
	;; [unrolled: 4-line block ×3, first 2 shown]
	v_fma_f64 v[12:13], v[8:9], v[12:13], s[2:3]
	s_delay_alu instid0(VALU_DEP_1) | instskip(SKIP_4) | instid1(VALU_DEP_3)
	v_fma_f64 v[8:9], v[8:9], v[12:13], s[0:1]
	v_ldexp_f64 v[12:13], v[6:7], 1
	v_add_f64 v[6:7], v[6:7], -v[10:11]
	s_mov_b32 s0, 0xfefa39ef
	s_mov_b32 s1, 0x3fe62e42
	v_mul_f64 v[8:9], v[14:15], v[8:9]
	v_cvt_f64_i32_e32 v[14:15], v1
	s_delay_alu instid0(VALU_DEP_3) | instskip(NEXT) | instid1(VALU_DEP_3)
	v_add_f64 v[4:5], v[4:5], -v[6:7]
	v_add_f64 v[10:11], v[12:13], v[8:9]
	s_delay_alu instid0(VALU_DEP_3) | instskip(NEXT) | instid1(VALU_DEP_3)
	v_mul_f64 v[16:17], v[14:15], s[0:1]
	v_ldexp_f64 v[4:5], v[4:5], 1
	s_delay_alu instid0(VALU_DEP_3) | instskip(NEXT) | instid1(VALU_DEP_3)
	v_add_f64 v[6:7], v[10:11], -v[12:13]
	v_fma_f64 v[12:13], v[14:15], s[0:1], -v[16:17]
	s_mov_b32 s0, 0x3b39803f
	s_mov_b32 s1, 0x3c7abc9e
	s_delay_alu instid0(VALU_DEP_2) | instskip(NEXT) | instid1(VALU_DEP_2)
	v_add_f64 v[6:7], v[8:9], -v[6:7]
	v_fma_f64 v[8:9], v[14:15], s[0:1], v[12:13]
	s_mov_b32 s0, 0x6dc9c883
	s_mov_b32 s1, 0x3fe45f30
	s_delay_alu instid0(VALU_DEP_2) | instskip(NEXT) | instid1(VALU_DEP_2)
	v_add_f64 v[4:5], v[4:5], v[6:7]
	v_add_f64 v[6:7], v[16:17], v[8:9]
	s_delay_alu instid0(VALU_DEP_2) | instskip(NEXT) | instid1(VALU_DEP_2)
	v_add_f64 v[12:13], v[10:11], v[4:5]
	v_add_f64 v[16:17], v[6:7], -v[16:17]
	s_delay_alu instid0(VALU_DEP_2) | instskip(SKIP_1) | instid1(VALU_DEP_3)
	v_add_f64 v[14:15], v[6:7], v[12:13]
	v_add_f64 v[10:11], v[12:13], -v[10:11]
	v_add_f64 v[8:9], v[8:9], -v[16:17]
	s_delay_alu instid0(VALU_DEP_3) | instskip(NEXT) | instid1(VALU_DEP_3)
	v_add_f64 v[18:19], v[14:15], -v[6:7]
	v_add_f64 v[4:5], v[4:5], -v[10:11]
	s_delay_alu instid0(VALU_DEP_2) | instskip(SKIP_2) | instid1(VALU_DEP_4)
	v_add_f64 v[22:23], v[14:15], -v[18:19]
	v_add_f64 v[10:11], v[12:13], -v[18:19]
	v_fma_f64 v[12:13], -v[20:21], v[24:25], 1.0
	v_add_f64 v[16:17], v[8:9], v[4:5]
	s_delay_alu instid0(VALU_DEP_4) | instskip(NEXT) | instid1(VALU_DEP_1)
	v_add_f64 v[6:7], v[6:7], -v[22:23]
	v_add_f64 v[6:7], v[10:11], v[6:7]
	s_delay_alu instid0(VALU_DEP_4) | instskip(NEXT) | instid1(VALU_DEP_4)
	v_fma_f64 v[10:11], v[24:25], v[12:13], v[24:25]
	v_add_f64 v[12:13], v[16:17], -v[8:9]
	v_div_scale_f64 v[24:25], vcc_lo, -1.0, v[56:57], -1.0
	s_delay_alu instid0(VALU_DEP_4) | instskip(NEXT) | instid1(VALU_DEP_4)
	v_add_f64 v[6:7], v[16:17], v[6:7]
	v_fma_f64 v[18:19], -v[20:21], v[10:11], 1.0
	s_delay_alu instid0(VALU_DEP_4) | instskip(SKIP_1) | instid1(VALU_DEP_4)
	v_add_f64 v[16:17], v[16:17], -v[12:13]
	v_add_f64 v[4:5], v[4:5], -v[12:13]
	v_add_f64 v[22:23], v[14:15], v[6:7]
	s_delay_alu instid0(VALU_DEP_4) | instskip(NEXT) | instid1(VALU_DEP_4)
	v_fma_f64 v[10:11], v[10:11], v[18:19], v[10:11]
	v_add_f64 v[8:9], v[8:9], -v[16:17]
	s_delay_alu instid0(VALU_DEP_3) | instskip(NEXT) | instid1(VALU_DEP_3)
	v_add_f64 v[12:13], v[22:23], -v[14:15]
	v_mul_f64 v[14:15], v[24:25], v[10:11]
	s_delay_alu instid0(VALU_DEP_3) | instskip(NEXT) | instid1(VALU_DEP_3)
	v_add_f64 v[4:5], v[4:5], v[8:9]
	v_add_f64 v[6:7], v[6:7], -v[12:13]
	s_delay_alu instid0(VALU_DEP_3) | instskip(NEXT) | instid1(VALU_DEP_2)
	v_fma_f64 v[8:9], -v[20:21], v[14:15], v[24:25]
	v_add_f64 v[4:5], v[4:5], v[6:7]
	s_delay_alu instid0(VALU_DEP_2) | instskip(NEXT) | instid1(VALU_DEP_2)
	v_div_fmas_f64 v[6:7], v[8:9], v[10:11], v[14:15]
	v_add_f64 v[4:5], v[22:23], v[4:5]
	s_delay_alu instid0(VALU_DEP_2) | instskip(NEXT) | instid1(VALU_DEP_1)
	v_div_fixup_f64 v[6:7], v[6:7], v[56:57], -1.0
	v_fma_f64 v[1:2], v[4:5], v[2:3], v[6:7]
	s_delay_alu instid0(VALU_DEP_1) | instskip(NEXT) | instid1(VALU_DEP_1)
	v_mul_f64 v[1:2], v[1:2], s[0:1]
	v_fma_f64 v[60:61], v[56:57], v[60:61], v[1:2]
.LBB6_5:
	s_or_b32 exec_lo, exec_lo, s44
.LBB6_6:
	s_delay_alu instid0(SALU_CYCLE_1)
	s_or_b32 exec_lo, exec_lo, s43
.LBB6_7:
	s_and_not1_saveexec_b32 s3, s42
	s_cbranch_execz .LBB6_19
; %bb.8:
	s_mov_b32 s0, 0x7f3321d2
	s_mov_b32 s1, 0xc002d97c
                                        ; implicit-def: $vgpr19
                                        ; implicit-def: $vgpr3_vgpr4
                                        ; implicit-def: $vgpr5_vgpr6
	s_delay_alu instid0(SALU_CYCLE_1) | instskip(NEXT) | instid1(VALU_DEP_1)
	v_add_f64 v[1:2], v[56:57], s[0:1]
	v_cmp_ngt_f64_e64 s1, 0x41d00000, |v[1:2]|
	v_trig_preop_f64 v[15:16], |v[1:2]|, 0
	v_trig_preop_f64 v[13:14], |v[1:2]|, 1
	v_ldexp_f64 v[17:18], |v[1:2]|, 0xffffff80
	v_trig_preop_f64 v[11:12], |v[1:2]|, 2
	v_and_b32_e32 v21, 0x7fffffff, v2
	s_and_saveexec_b32 s0, s1
	s_delay_alu instid0(SALU_CYCLE_1)
	s_xor_b32 s2, exec_lo, s0
	s_cbranch_execz .LBB6_12
; %bb.9:
	v_cmp_le_f64_e64 vcc_lo, 0x7b000000, |v[1:2]|
	v_mov_b32_e32 v32, 0
	s_mov_b32 s4, 0x54442d18
	s_mov_b32 s5, 0x3ff921fb
	;; [unrolled: 1-line block ×4, first 2 shown]
	v_cndmask_b32_e32 v4, v21, v18, vcc_lo
	v_cndmask_b32_e32 v3, v1, v17, vcc_lo
	s_delay_alu instid0(VALU_DEP_1) | instskip(SKIP_1) | instid1(VALU_DEP_2)
	v_mul_f64 v[5:6], v[15:16], v[3:4]
	v_mul_f64 v[7:8], v[13:14], v[3:4]
	v_fma_f64 v[9:10], v[15:16], v[3:4], -v[5:6]
	s_delay_alu instid0(VALU_DEP_2) | instskip(NEXT) | instid1(VALU_DEP_2)
	v_fma_f64 v[30:31], v[13:14], v[3:4], -v[7:8]
	v_add_f64 v[19:20], v[7:8], v[9:10]
	s_delay_alu instid0(VALU_DEP_1) | instskip(SKIP_1) | instid1(VALU_DEP_2)
	v_add_f64 v[22:23], v[19:20], -v[7:8]
	v_add_f64 v[26:27], v[5:6], v[19:20]
	v_add_f64 v[24:25], v[19:20], -v[22:23]
	v_add_f64 v[9:10], v[9:10], -v[22:23]
	s_delay_alu instid0(VALU_DEP_3) | instskip(SKIP_1) | instid1(VALU_DEP_4)
	v_ldexp_f64 v[22:23], v[26:27], -2
	v_add_f64 v[5:6], v[26:27], -v[5:6]
	v_add_f64 v[7:8], v[7:8], -v[24:25]
	s_delay_alu instid0(VALU_DEP_3) | instskip(NEXT) | instid1(VALU_DEP_3)
	v_cmp_neq_f64_e64 vcc_lo, 0x7ff00000, |v[22:23]|
	v_add_f64 v[5:6], v[19:20], -v[5:6]
	s_delay_alu instid0(VALU_DEP_3) | instskip(SKIP_1) | instid1(VALU_DEP_1)
	v_add_f64 v[7:8], v[9:10], v[7:8]
	v_fract_f64_e32 v[9:10], v[22:23]
	v_dual_cndmask_b32 v10, 0, v10 :: v_dual_cndmask_b32 v9, 0, v9
	v_mul_f64 v[28:29], v[11:12], v[3:4]
	s_delay_alu instid0(VALU_DEP_2) | instskip(NEXT) | instid1(VALU_DEP_2)
	v_ldexp_f64 v[9:10], v[9:10], 2
	v_add_f64 v[24:25], v[28:29], v[30:31]
	v_fma_f64 v[3:4], v[11:12], v[3:4], -v[28:29]
	s_delay_alu instid0(VALU_DEP_2) | instskip(NEXT) | instid1(VALU_DEP_1)
	v_add_f64 v[19:20], v[24:25], v[7:8]
	v_add_f64 v[22:23], v[5:6], v[19:20]
	s_delay_alu instid0(VALU_DEP_1) | instskip(SKIP_1) | instid1(VALU_DEP_2)
	v_add_f64 v[26:27], v[22:23], v[9:10]
	v_add_f64 v[5:6], v[22:23], -v[5:6]
	v_cmp_gt_f64_e32 vcc_lo, 0, v[26:27]
	v_add_f64 v[26:27], v[24:25], -v[28:29]
	s_delay_alu instid0(VALU_DEP_3) | instskip(SKIP_1) | instid1(VALU_DEP_3)
	v_add_f64 v[5:6], v[19:20], -v[5:6]
	v_cndmask_b32_e64 v33, 0, 0x40100000, vcc_lo
	v_add_f64 v[37:38], v[24:25], -v[26:27]
	v_add_f64 v[26:27], v[30:31], -v[26:27]
	s_delay_alu instid0(VALU_DEP_3) | instskip(SKIP_1) | instid1(VALU_DEP_4)
	v_add_f64 v[9:10], v[9:10], v[32:33]
	v_add_f64 v[33:34], v[19:20], -v[24:25]
	v_add_f64 v[30:31], v[28:29], -v[37:38]
	s_delay_alu instid0(VALU_DEP_3) | instskip(NEXT) | instid1(VALU_DEP_3)
	v_add_f64 v[35:36], v[22:23], v[9:10]
	v_add_f64 v[39:40], v[19:20], -v[33:34]
	v_add_f64 v[7:8], v[7:8], -v[33:34]
	s_delay_alu instid0(VALU_DEP_4) | instskip(NEXT) | instid1(VALU_DEP_4)
	v_add_f64 v[26:27], v[26:27], v[30:31]
	v_cvt_i32_f64_e32 v35, v[35:36]
	s_delay_alu instid0(VALU_DEP_4) | instskip(NEXT) | instid1(VALU_DEP_2)
	v_add_f64 v[24:25], v[24:25], -v[39:40]
	v_cvt_f64_i32_e32 v[33:34], v35
	s_delay_alu instid0(VALU_DEP_2) | instskip(NEXT) | instid1(VALU_DEP_2)
	v_add_f64 v[7:8], v[7:8], v[24:25]
	v_add_f64 v[9:10], v[9:10], -v[33:34]
	s_delay_alu instid0(VALU_DEP_2) | instskip(NEXT) | instid1(VALU_DEP_2)
	v_add_f64 v[7:8], v[26:27], v[7:8]
	v_add_f64 v[24:25], v[22:23], v[9:10]
	s_delay_alu instid0(VALU_DEP_2) | instskip(NEXT) | instid1(VALU_DEP_2)
	v_add_f64 v[3:4], v[3:4], v[7:8]
	v_add_f64 v[7:8], v[24:25], -v[9:10]
	v_cmp_le_f64_e32 vcc_lo, 0.5, v[24:25]
	s_delay_alu instid0(VALU_DEP_3) | instskip(NEXT) | instid1(VALU_DEP_3)
	v_add_f64 v[3:4], v[5:6], v[3:4]
	v_add_f64 v[5:6], v[22:23], -v[7:8]
	v_cndmask_b32_e64 v33, 0, 0x3ff00000, vcc_lo
	v_add_co_ci_u32_e64 v19, s0, 0, v35, vcc_lo
	s_delay_alu instid0(VALU_DEP_3) | instskip(NEXT) | instid1(VALU_DEP_3)
	v_add_f64 v[3:4], v[3:4], v[5:6]
	v_add_f64 v[5:6], v[24:25], -v[32:33]
	s_delay_alu instid0(VALU_DEP_1) | instskip(NEXT) | instid1(VALU_DEP_1)
	v_add_f64 v[7:8], v[5:6], v[3:4]
	v_mul_f64 v[9:10], v[7:8], s[4:5]
	v_add_f64 v[5:6], v[7:8], -v[5:6]
	s_delay_alu instid0(VALU_DEP_2) | instskip(NEXT) | instid1(VALU_DEP_2)
	v_fma_f64 v[22:23], v[7:8], s[4:5], -v[9:10]
	v_add_f64 v[3:4], v[3:4], -v[5:6]
	s_delay_alu instid0(VALU_DEP_2) | instskip(NEXT) | instid1(VALU_DEP_1)
	v_fma_f64 v[5:6], v[7:8], s[6:7], v[22:23]
	v_fma_f64 v[5:6], v[3:4], s[4:5], v[5:6]
	s_delay_alu instid0(VALU_DEP_1) | instskip(NEXT) | instid1(VALU_DEP_1)
	v_add_f64 v[3:4], v[9:10], v[5:6]
	v_add_f64 v[7:8], v[3:4], -v[9:10]
	s_delay_alu instid0(VALU_DEP_1)
	v_add_f64 v[5:6], v[5:6], -v[7:8]
	s_and_not1_saveexec_b32 s0, s2
	s_cbranch_execz .LBB6_14
	s_branch .LBB6_13
.LBB6_10:
	s_and_b32 vcc_lo, exec_lo, s1
	s_cbranch_vccz .LBB6_68
; %bb.11:
	v_dual_mov_b32 v31, v0 :: v_dual_mov_b32 v0, s36
	v_dual_mov_b32 v1, s37 :: v_dual_mov_b32 v2, s38
	;; [unrolled: 1-line block ×3, first 2 shown]
	s_mov_b32 s12, s15
	s_getpc_b64 s[0:1]
	s_add_u32 s0, s0, _ZN2at6native25elementwise_kernel_helperILb0EZZZNS0_12_GLOBAL__N_121bessel_y1_kernel_cudaERNS_18TensorIteratorBaseEENKUlvE_clEvENKUlvE_clEvEUldE_NS0_6memory8policies11unroll_baseILi256ESt5arrayIPcLm2EE23TrivialOffsetCalculatorILi1EjESF_NS8_15LoadWithoutCastENS8_16StoreWithoutCastELi4ELi1EEEEEvT0_T1_@rel32@lo+4
	s_addc_u32 s1, s1, _ZN2at6native25elementwise_kernel_helperILb0EZZZNS0_12_GLOBAL__N_121bessel_y1_kernel_cudaERNS_18TensorIteratorBaseEENKUlvE_clEvENKUlvE_clEvEUldE_NS0_6memory8policies11unroll_baseILi256ESt5arrayIPcLm2EE23TrivialOffsetCalculatorILi1EjESF_NS8_15LoadWithoutCastENS8_16StoreWithoutCastELi4ELi1EEEEEvT0_T1_@rel32@hi+12
	s_delay_alu instid0(SALU_CYCLE_1)
	s_swappc_b64 s[30:31], s[0:1]
	s_endpgm
.LBB6_12:
	s_and_not1_saveexec_b32 s0, s2
	s_cbranch_execz .LBB6_14
.LBB6_13:
	s_mov_b32 s4, 0x6dc9c883
	s_mov_b32 s5, 0x3fe45f30
	;; [unrolled: 1-line block ×3, first 2 shown]
	v_mul_f64 v[3:4], |v[1:2]|, s[4:5]
	s_mov_b32 s4, 0x54442d18
	s_mov_b32 s5, 0xbff921fb
	;; [unrolled: 1-line block ×3, first 2 shown]
	s_delay_alu instid0(VALU_DEP_1) | instskip(NEXT) | instid1(VALU_DEP_1)
	v_rndne_f64_e32 v[7:8], v[3:4]
	v_fma_f64 v[3:4], v[7:8], s[4:5], |v[1:2]|
	v_mul_f64 v[5:6], v[7:8], s[6:7]
	s_mov_b32 s4, 0x252049c0
	s_mov_b32 s5, 0xb97b839a
	s_delay_alu instid0(VALU_DEP_2) | instskip(NEXT) | instid1(VALU_DEP_2)
	v_fma_f64 v[19:20], v[7:8], s[6:7], v[3:4]
	v_add_f64 v[9:10], v[3:4], v[5:6]
	s_mov_b32 s7, 0x3c91a626
	s_delay_alu instid0(VALU_DEP_1) | instskip(NEXT) | instid1(VALU_DEP_3)
	v_add_f64 v[3:4], v[3:4], -v[9:10]
	v_add_f64 v[9:10], v[9:10], -v[19:20]
	s_delay_alu instid0(VALU_DEP_2) | instskip(SKIP_1) | instid1(VALU_DEP_2)
	v_add_f64 v[3:4], v[3:4], v[5:6]
	v_fma_f64 v[5:6], v[7:8], s[6:7], v[5:6]
	v_add_f64 v[3:4], v[9:10], v[3:4]
	s_delay_alu instid0(VALU_DEP_1) | instskip(NEXT) | instid1(VALU_DEP_1)
	v_add_f64 v[3:4], v[3:4], -v[5:6]
	v_fma_f64 v[5:6], v[7:8], s[4:5], v[3:4]
	s_delay_alu instid0(VALU_DEP_1) | instskip(NEXT) | instid1(VALU_DEP_1)
	v_add_f64 v[3:4], v[19:20], v[5:6]
	v_add_f64 v[9:10], v[3:4], -v[19:20]
	v_cvt_i32_f64_e32 v19, v[7:8]
	s_delay_alu instid0(VALU_DEP_2)
	v_add_f64 v[5:6], v[5:6], -v[9:10]
.LBB6_14:
	s_or_b32 exec_lo, exec_lo, s0
                                        ; implicit-def: $vgpr20
                                        ; implicit-def: $vgpr7_vgpr8
                                        ; implicit-def: $vgpr9_vgpr10
	s_and_saveexec_b32 s0, s1
	s_delay_alu instid0(SALU_CYCLE_1)
	s_xor_b32 s1, exec_lo, s0
	s_cbranch_execz .LBB6_16
; %bb.15:
	v_cmp_le_f64_e64 vcc_lo, 0x7b000000, |v[1:2]|
	v_mov_b32_e32 v30, 0
	s_mov_b32 s4, 0x54442d18
	s_mov_b32 s5, 0x3ff921fb
	;; [unrolled: 1-line block ×4, first 2 shown]
	v_cndmask_b32_e32 v8, v21, v18, vcc_lo
	v_cndmask_b32_e32 v7, v1, v17, vcc_lo
	s_delay_alu instid0(VALU_DEP_1) | instskip(SKIP_1) | instid1(VALU_DEP_2)
	v_mul_f64 v[9:10], v[15:16], v[7:8]
	v_mul_f64 v[17:18], v[13:14], v[7:8]
	v_fma_f64 v[15:16], v[15:16], v[7:8], -v[9:10]
	s_delay_alu instid0(VALU_DEP_2) | instskip(NEXT) | instid1(VALU_DEP_2)
	v_fma_f64 v[13:14], v[13:14], v[7:8], -v[17:18]
	v_add_f64 v[20:21], v[17:18], v[15:16]
	s_delay_alu instid0(VALU_DEP_1) | instskip(SKIP_1) | instid1(VALU_DEP_2)
	v_add_f64 v[22:23], v[20:21], -v[17:18]
	v_add_f64 v[26:27], v[9:10], v[20:21]
	v_add_f64 v[24:25], v[20:21], -v[22:23]
	v_add_f64 v[15:16], v[15:16], -v[22:23]
	s_delay_alu instid0(VALU_DEP_3) | instskip(SKIP_1) | instid1(VALU_DEP_4)
	v_ldexp_f64 v[22:23], v[26:27], -2
	v_add_f64 v[9:10], v[26:27], -v[9:10]
	v_add_f64 v[17:18], v[17:18], -v[24:25]
	s_delay_alu instid0(VALU_DEP_3) | instskip(NEXT) | instid1(VALU_DEP_3)
	v_cmp_neq_f64_e64 vcc_lo, 0x7ff00000, |v[22:23]|
	v_add_f64 v[9:10], v[20:21], -v[9:10]
	s_delay_alu instid0(VALU_DEP_3) | instskip(SKIP_1) | instid1(VALU_DEP_1)
	v_add_f64 v[15:16], v[15:16], v[17:18]
	v_fract_f64_e32 v[17:18], v[22:23]
	v_dual_cndmask_b32 v18, 0, v18 :: v_dual_cndmask_b32 v17, 0, v17
	v_mul_f64 v[28:29], v[11:12], v[7:8]
	s_delay_alu instid0(VALU_DEP_2) | instskip(NEXT) | instid1(VALU_DEP_2)
	v_ldexp_f64 v[17:18], v[17:18], 2
	v_add_f64 v[24:25], v[28:29], v[13:14]
	v_fma_f64 v[7:8], v[11:12], v[7:8], -v[28:29]
	s_delay_alu instid0(VALU_DEP_2) | instskip(NEXT) | instid1(VALU_DEP_1)
	v_add_f64 v[20:21], v[24:25], v[15:16]
	v_add_f64 v[22:23], v[9:10], v[20:21]
	s_delay_alu instid0(VALU_DEP_1) | instskip(SKIP_1) | instid1(VALU_DEP_2)
	v_add_f64 v[26:27], v[22:23], v[17:18]
	v_add_f64 v[9:10], v[22:23], -v[9:10]
	v_cmp_gt_f64_e32 vcc_lo, 0, v[26:27]
	v_add_f64 v[26:27], v[24:25], -v[28:29]
	s_delay_alu instid0(VALU_DEP_3) | instskip(SKIP_1) | instid1(VALU_DEP_3)
	v_add_f64 v[9:10], v[20:21], -v[9:10]
	v_cndmask_b32_e64 v31, 0, 0x40100000, vcc_lo
	v_add_f64 v[35:36], v[24:25], -v[26:27]
	v_add_f64 v[13:14], v[13:14], -v[26:27]
	s_delay_alu instid0(VALU_DEP_3) | instskip(SKIP_1) | instid1(VALU_DEP_4)
	v_add_f64 v[17:18], v[17:18], v[30:31]
	v_add_f64 v[31:32], v[20:21], -v[24:25]
	v_add_f64 v[26:27], v[28:29], -v[35:36]
	s_delay_alu instid0(VALU_DEP_3) | instskip(NEXT) | instid1(VALU_DEP_3)
	v_add_f64 v[33:34], v[22:23], v[17:18]
	v_add_f64 v[37:38], v[20:21], -v[31:32]
	v_add_f64 v[15:16], v[15:16], -v[31:32]
	s_delay_alu instid0(VALU_DEP_4) | instskip(NEXT) | instid1(VALU_DEP_4)
	v_add_f64 v[13:14], v[13:14], v[26:27]
	v_cvt_i32_f64_e32 v33, v[33:34]
	s_delay_alu instid0(VALU_DEP_4) | instskip(NEXT) | instid1(VALU_DEP_2)
	v_add_f64 v[24:25], v[24:25], -v[37:38]
	v_cvt_f64_i32_e32 v[31:32], v33
	s_delay_alu instid0(VALU_DEP_2) | instskip(NEXT) | instid1(VALU_DEP_2)
	v_add_f64 v[15:16], v[15:16], v[24:25]
	v_add_f64 v[17:18], v[17:18], -v[31:32]
	s_delay_alu instid0(VALU_DEP_2) | instskip(NEXT) | instid1(VALU_DEP_2)
	v_add_f64 v[11:12], v[13:14], v[15:16]
	v_add_f64 v[13:14], v[22:23], v[17:18]
	s_delay_alu instid0(VALU_DEP_2) | instskip(NEXT) | instid1(VALU_DEP_2)
	v_add_f64 v[7:8], v[7:8], v[11:12]
	v_add_f64 v[11:12], v[13:14], -v[17:18]
	v_cmp_le_f64_e32 vcc_lo, 0.5, v[13:14]
	s_delay_alu instid0(VALU_DEP_3) | instskip(NEXT) | instid1(VALU_DEP_3)
	v_add_f64 v[7:8], v[9:10], v[7:8]
	v_add_f64 v[9:10], v[22:23], -v[11:12]
	v_cndmask_b32_e64 v31, 0, 0x3ff00000, vcc_lo
	v_add_co_ci_u32_e64 v20, s0, 0, v33, vcc_lo
	s_delay_alu instid0(VALU_DEP_3) | instskip(NEXT) | instid1(VALU_DEP_3)
	v_add_f64 v[7:8], v[7:8], v[9:10]
	v_add_f64 v[9:10], v[13:14], -v[30:31]
	s_delay_alu instid0(VALU_DEP_1) | instskip(NEXT) | instid1(VALU_DEP_1)
	v_add_f64 v[11:12], v[9:10], v[7:8]
	v_mul_f64 v[13:14], v[11:12], s[4:5]
	v_add_f64 v[9:10], v[11:12], -v[9:10]
	s_delay_alu instid0(VALU_DEP_2) | instskip(NEXT) | instid1(VALU_DEP_2)
	v_fma_f64 v[15:16], v[11:12], s[4:5], -v[13:14]
	v_add_f64 v[7:8], v[7:8], -v[9:10]
	s_delay_alu instid0(VALU_DEP_2) | instskip(NEXT) | instid1(VALU_DEP_1)
	v_fma_f64 v[9:10], v[11:12], s[6:7], v[15:16]
	v_fma_f64 v[9:10], v[7:8], s[4:5], v[9:10]
	s_delay_alu instid0(VALU_DEP_1) | instskip(NEXT) | instid1(VALU_DEP_1)
	v_add_f64 v[7:8], v[13:14], v[9:10]
	v_add_f64 v[11:12], v[7:8], -v[13:14]
	s_delay_alu instid0(VALU_DEP_1)
	v_add_f64 v[9:10], v[9:10], -v[11:12]
	s_and_not1_saveexec_b32 s0, s1
	s_cbranch_execnz .LBB6_17
	s_branch .LBB6_18
.LBB6_16:
	s_and_not1_saveexec_b32 s0, s1
	s_cbranch_execz .LBB6_18
.LBB6_17:
	s_mov_b32 s4, 0x6dc9c883
	s_mov_b32 s5, 0x3fe45f30
	;; [unrolled: 1-line block ×3, first 2 shown]
	v_mul_f64 v[7:8], |v[1:2]|, s[4:5]
	s_mov_b32 s4, 0x54442d18
	s_mov_b32 s5, 0xbff921fb
	;; [unrolled: 1-line block ×3, first 2 shown]
	s_delay_alu instid0(VALU_DEP_1) | instskip(NEXT) | instid1(VALU_DEP_1)
	v_rndne_f64_e32 v[11:12], v[7:8]
	v_fma_f64 v[7:8], v[11:12], s[4:5], |v[1:2]|
	v_mul_f64 v[9:10], v[11:12], s[6:7]
	s_mov_b32 s4, 0x252049c0
	s_mov_b32 s5, 0xb97b839a
	v_cvt_i32_f64_e32 v20, v[11:12]
	s_delay_alu instid0(VALU_DEP_3) | instskip(NEXT) | instid1(VALU_DEP_3)
	v_fma_f64 v[15:16], v[11:12], s[6:7], v[7:8]
	v_add_f64 v[13:14], v[7:8], v[9:10]
	s_mov_b32 s7, 0x3c91a626
	s_delay_alu instid0(VALU_DEP_1) | instskip(NEXT) | instid1(VALU_DEP_3)
	v_add_f64 v[7:8], v[7:8], -v[13:14]
	v_add_f64 v[13:14], v[13:14], -v[15:16]
	s_delay_alu instid0(VALU_DEP_2) | instskip(SKIP_1) | instid1(VALU_DEP_2)
	v_add_f64 v[7:8], v[7:8], v[9:10]
	v_fma_f64 v[9:10], v[11:12], s[6:7], v[9:10]
	v_add_f64 v[7:8], v[13:14], v[7:8]
	s_delay_alu instid0(VALU_DEP_1) | instskip(NEXT) | instid1(VALU_DEP_1)
	v_add_f64 v[7:8], v[7:8], -v[9:10]
	v_fma_f64 v[9:10], v[11:12], s[4:5], v[7:8]
	s_delay_alu instid0(VALU_DEP_1) | instskip(NEXT) | instid1(VALU_DEP_1)
	v_add_f64 v[7:8], v[15:16], v[9:10]
	v_add_f64 v[13:14], v[7:8], -v[15:16]
	s_delay_alu instid0(VALU_DEP_1)
	v_add_f64 v[9:10], v[9:10], -v[13:14]
.LBB6_18:
	s_or_b32 exec_lo, exec_lo, s0
	v_div_scale_f64 v[11:12], null, v[56:57], v[56:57], 0x40140000
	v_div_scale_f64 v[17:18], vcc_lo, 0x40140000, v[56:57], 0x40140000
	s_mov_b32 s0, 0x6b70ba40
	s_mov_b32 s1, 0x3faa27fa
	;; [unrolled: 1-line block ×6, first 2 shown]
	v_mul_f64 v[27:28], v[3:4], v[3:4]
	v_mul_f64 v[33:34], v[7:8], v[7:8]
	s_mov_b32 s8, 0x796cde01
	s_mov_b32 s9, 0x3ec71de3
	v_mul_f64 v[66:67], v[5:6], 0.5
	v_rcp_f64_e32 v[13:14], v[11:12]
	s_delay_alu instid0(VALU_DEP_3) | instskip(SKIP_1) | instid1(VALU_DEP_4)
	v_mul_f64 v[50:51], v[27:28], 0.5
	v_mul_f64 v[68:69], v[3:4], -v[27:28]
	v_mul_f64 v[74:75], v[7:8], -v[33:34]
	s_waitcnt_depctr 0xfff
	v_fma_f64 v[15:16], -v[11:12], v[13:14], 1.0
	v_add_f64 v[54:55], -v[50:51], 1.0
	s_delay_alu instid0(VALU_DEP_2) | instskip(NEXT) | instid1(VALU_DEP_2)
	v_fma_f64 v[13:14], v[13:14], v[15:16], v[13:14]
	v_add_f64 v[70:71], -v[54:55], 1.0
	s_delay_alu instid0(VALU_DEP_2) | instskip(NEXT) | instid1(VALU_DEP_2)
	v_fma_f64 v[15:16], -v[11:12], v[13:14], 1.0
	v_add_f64 v[50:51], v[70:71], -v[50:51]
	s_delay_alu instid0(VALU_DEP_2) | instskip(NEXT) | instid1(VALU_DEP_2)
	v_fma_f64 v[13:14], v[13:14], v[15:16], v[13:14]
	v_fma_f64 v[50:51], v[3:4], -v[5:6], v[50:51]
	s_delay_alu instid0(VALU_DEP_2) | instskip(NEXT) | instid1(VALU_DEP_1)
	v_mul_f64 v[15:16], v[17:18], v[13:14]
	v_fma_f64 v[11:12], -v[11:12], v[15:16], v[17:18]
	s_delay_alu instid0(VALU_DEP_1) | instskip(NEXT) | instid1(VALU_DEP_1)
	v_div_fmas_f64 v[11:12], v[11:12], v[13:14], v[15:16]
	v_div_fixup_f64 v[11:12], v[11:12], v[56:57], 0x40140000
	s_delay_alu instid0(VALU_DEP_1) | instskip(NEXT) | instid1(VALU_DEP_1)
	v_mul_f64 v[13:14], v[11:12], v[11:12]
	v_fma_f64 v[15:16], v[13:14], 0, s[0:1]
	s_mov_b32 s0, 0x4c6c651b
	s_mov_b32 s1, 0x3f48f92c
	v_fma_f64 v[17:18], v[13:14], 0, s[4:5]
	v_fma_f64 v[21:22], v[13:14], 0, s[0:1]
	s_mov_b32 s0, 0xc66d8fd6
	s_mov_b32 s1, 0x4013edb5
	v_fma_f64 v[23:24], v[13:14], 0, s[6:7]
	s_mov_b32 s4, 0x5948aa83
	s_mov_b32 s5, 0x3fb19fdd
	s_mov_b32 s6, 0xa20e5f6f
	s_mov_b32 s7, 0x409081cb
	s_delay_alu instid0(VALU_DEP_4) | instskip(SKIP_2) | instid1(VALU_DEP_4)
	v_fma_f64 v[15:16], v[13:14], v[15:16], s[0:1]
	s_mov_b32 s0, 0xa3fec4b6
	s_mov_b32 s1, 0x3fb2b948
	v_fma_f64 v[17:18], v[13:14], v[17:18], s[4:5]
	s_delay_alu instid0(VALU_DEP_4) | instskip(SKIP_2) | instid1(VALU_DEP_4)
	v_fma_f64 v[21:22], v[13:14], v[21:22], s[0:1]
	s_mov_b32 s0, 0x9acf1c67
	s_mov_b32 s1, 0x4052f4b9
	v_fma_f64 v[23:24], v[13:14], v[23:24], s[6:7]
	s_mov_b32 s4, 0xb850eed6
	s_mov_b32 s5, 0x3ff1aea9
	s_mov_b32 s6, 0x1bfdfe81
	s_mov_b32 s7, 0x40b37a69
	s_delay_alu instid0(VALU_DEP_4) | instskip(SKIP_2) | instid1(VALU_DEP_4)
	v_fma_f64 v[15:16], v[13:14], v[15:16], s[0:1]
	s_mov_b32 s0, 0xc21596d6
	s_mov_b32 s1, 0x3ff208fe
	v_fma_f64 v[17:18], v[13:14], v[17:18], s[4:5]
	s_delay_alu instid0(VALU_DEP_4) | instskip(SKIP_2) | instid1(VALU_DEP_4)
	v_fma_f64 v[21:22], v[13:14], v[21:22], s[0:1]
	s_mov_b32 s0, 0x47aa180d
	s_mov_b32 s1, 0x4076ec79
	v_fma_f64 v[23:24], v[13:14], v[23:24], s[6:7]
	s_mov_b32 s4, 0xf7d251a1
	s_mov_b32 s5, 0x40144ba2
	s_mov_b32 s6, 0xd280d118
	s_mov_b32 s7, 0x40c2ad28
	s_delay_alu instid0(VALU_DEP_4) | instskip(SKIP_2) | instid1(VALU_DEP_4)
	v_fma_f64 v[15:16], v[13:14], v[15:16], s[0:1]
	s_mov_b32 s0, 0xf8b13a6a
	s_mov_b32 s1, 0x401472c4
	v_fma_f64 v[17:18], v[13:14], v[17:18], s[4:5]
	s_delay_alu instid0(VALU_DEP_4) | instskip(SKIP_2) | instid1(VALU_DEP_4)
	v_fma_f64 v[21:22], v[13:14], v[21:22], s[0:1]
	s_mov_b32 s0, 0xb66f6e50
	s_mov_b32 s1, 0x408636d9
	v_fma_f64 v[23:24], v[13:14], v[23:24], s[6:7]
	s_mov_b32 s4, 0xdda2fd65
	s_mov_b32 s5, 0x4020ccb9
	s_mov_b32 s6, 0xa6973d14
	s_mov_b32 s7, 0x40bf3d0a
	s_delay_alu instid0(VALU_DEP_4) | instskip(SKIP_2) | instid1(VALU_DEP_4)
	v_fma_f64 v[15:16], v[13:14], v[15:16], s[0:1]
	s_mov_b32 s0, 0x8b5d2f16
	s_mov_b32 s1, 0x4020d91c
	v_fma_f64 v[17:18], v[13:14], v[17:18], s[4:5]
	s_delay_alu instid0(VALU_DEP_4) | instskip(SKIP_2) | instid1(VALU_DEP_4)
	v_fma_f64 v[21:22], v[13:14], v[21:22], s[0:1]
	s_mov_b32 s0, 0xb9e802d0
	s_mov_b32 s1, 0x4082abea
	v_fma_f64 v[23:24], v[13:14], v[23:24], s[6:7]
	s_mov_b32 s4, 0x4762b4d9
	s_mov_b32 s5, 0x4014d6dd
	s_mov_b32 s6, 0xb4bd1781
	s_mov_b32 s7, 0x40a61462
	s_delay_alu instid0(VALU_DEP_4) | instskip(SKIP_2) | instid1(VALU_DEP_4)
	v_fma_f64 v[15:16], v[13:14], v[15:16], s[0:1]
	s_mov_b32 s0, 0x142f81a2
	s_mov_b32 s1, 0x4014dbaa
	v_fma_f64 v[17:18], v[13:14], v[17:18], s[4:5]
	s_delay_alu instid0(VALU_DEP_4) | instskip(SKIP_2) | instid1(VALU_DEP_4)
	v_fma_f64 v[21:22], v[13:14], v[21:22], s[0:1]
	s_mov_b32 s0, 0x4c54bb0b
	s_mov_b32 s1, 0x406a760a
	v_fma_f64 v[23:24], v[13:14], v[23:24], s[6:7]
	s_mov_b32 s4, 0x4d159eb5
	s_mov_b32 s5, 0x403934ff
	;; [unrolled: 1-line block ×4, first 2 shown]
	s_delay_alu instid0(VALU_DEP_4) | instskip(SKIP_2) | instid1(VALU_DEP_4)
	v_fma_f64 v[15:16], v[13:14], v[15:16], s[0:1]
	s_mov_b32 s0, 0x6ae75997
	s_mov_b32 s1, 0x4075017f
	v_fma_f64 v[17:18], v[13:14], v[17:18], 1.0
	s_delay_alu instid0(VALU_DEP_4) | instskip(NEXT) | instid1(VALU_DEP_4)
	v_fma_f64 v[21:22], v[13:14], v[21:22], 1.0
	v_fma_f64 v[23:24], v[13:14], v[23:24], s[0:1]
	s_mov_b32 s0, 0xb42fdfa7
	s_mov_b32 s1, 0xbe5ae600
	s_delay_alu instid0(VALU_DEP_4) | instskip(SKIP_2) | instid1(VALU_DEP_3)
	v_fma_f64 v[13:14], v[13:14], v[15:16], s[4:5]
	s_mov_b32 s4, 0xf9a43bb8
	s_mov_b32 s5, 0x3de5e0b2
	v_div_scale_f64 v[15:16], null, v[17:18], v[17:18], v[21:22]
	v_fma_f64 v[35:36], v[27:28], s[4:5], s[0:1]
	v_fma_f64 v[46:47], v[33:34], s[4:5], s[0:1]
	v_cmp_gt_f64_e64 s0, 0x10000000, v[56:57]
	s_mov_b32 s4, 0x9037ab78
	s_mov_b32 s5, 0x3e21eeb6
	v_div_scale_f64 v[72:73], vcc_lo, v[21:22], v[17:18], v[21:22]
	v_fma_f64 v[48:49], v[27:28], s[6:7], s[4:5]
	v_div_scale_f64 v[25:26], null, v[23:24], v[23:24], v[13:14]
	v_rcp_f64_e32 v[29:30], v[15:16]
	v_fma_f64 v[35:36], v[27:28], v[35:36], s[8:9]
	s_delay_alu instid0(VALU_DEP_2) | instskip(SKIP_3) | instid1(VALU_DEP_2)
	v_rcp_f64_e32 v[31:32], v[25:26]
	s_waitcnt_depctr 0xfff
	v_fma_f64 v[37:38], -v[15:16], v[29:30], 1.0
	v_fma_f64 v[39:40], -v[25:26], v[31:32], 1.0
	v_fma_f64 v[29:30], v[29:30], v[37:38], v[29:30]
	v_fma_f64 v[37:38], v[33:34], v[46:47], s[8:9]
	;; [unrolled: 1-line block ×3, first 2 shown]
	s_mov_b32 s6, 0x19e83e5c
	s_mov_b32 s7, 0xbf2a01a0
	;; [unrolled: 1-line block ×3, first 2 shown]
	v_fma_f64 v[35:36], v[27:28], v[35:36], s[6:7]
	s_mov_b32 s5, 0xbe927e4f
	s_delay_alu instid0(SALU_CYCLE_1) | instskip(SKIP_3) | instid1(VALU_DEP_2)
	v_fma_f64 v[48:49], v[27:28], v[48:49], s[4:5]
	v_fma_f64 v[31:32], v[31:32], v[39:40], v[31:32]
	v_cndmask_b32_e64 v39, 0, 1, s0
	v_fma_f64 v[37:38], v[33:34], v[37:38], s[6:7]
	v_lshlrev_b32_e32 v52, 8, v39
	v_mul_f64 v[39:40], v[33:34], 0.5
	v_fma_f64 v[46:47], v[33:34], v[46:47], s[4:5]
	s_mov_b32 s6, 0x11110bb3
	s_mov_b32 s7, 0x3f811111
	v_ldexp_f64 v[52:53], v[56:57], v52
	v_fma_f64 v[56:57], -v[15:16], v[29:30], 1.0
	v_fma_f64 v[35:36], v[27:28], v[35:36], s[6:7]
	s_mov_b32 s4, 0x19f4ec90
	s_mov_b32 s5, 0x3efa01a0
	s_delay_alu instid0(SALU_CYCLE_1)
	v_fma_f64 v[48:49], v[27:28], v[48:49], s[4:5]
	v_fma_f64 v[60:61], -v[25:26], v[31:32], 1.0
	v_fma_f64 v[37:38], v[33:34], v[37:38], s[6:7]
	v_add_f64 v[62:63], -v[39:40], 1.0
	v_fma_f64 v[46:47], v[33:34], v[46:47], s[4:5]
	s_mov_b32 s4, 0x16c16967
	s_mov_b32 s5, 0xbf56c16c
	v_rsq_f64_e32 v[64:65], v[52:53]
	v_fma_f64 v[29:30], v[29:30], v[56:57], v[29:30]
	v_div_scale_f64 v[56:57], s1, v[13:14], v[23:24], v[13:14]
	v_fma_f64 v[35:36], v[68:69], v[35:36], v[66:67]
	v_fma_f64 v[48:49], v[27:28], v[48:49], s[4:5]
	;; [unrolled: 1-line block ×3, first 2 shown]
	v_mul_f64 v[60:61], v[9:10], 0.5
	v_add_f64 v[76:77], -v[62:63], 1.0
	v_fma_f64 v[46:47], v[33:34], v[46:47], s[4:5]
	s_mov_b32 s4, 0x55555555
	s_mov_b32 s5, 0x3fa55555
	v_mul_f64 v[66:67], v[72:73], v[29:30]
	s_delay_alu instid0(TRANS32_DEP_1)
	v_mul_f64 v[78:79], v[52:53], v[64:65]
	v_mul_f64 v[64:65], v[64:65], 0.5
	v_fma_f64 v[5:6], v[27:28], v[35:36], -v[5:6]
	v_mul_f64 v[35:36], v[33:34], v[33:34]
	v_fma_f64 v[48:49], v[27:28], v[48:49], s[4:5]
	v_mul_f64 v[70:71], v[56:57], v[31:32]
	v_fma_f64 v[37:38], v[74:75], v[37:38], v[60:61]
	v_mul_f64 v[60:61], v[27:28], v[27:28]
	v_add_f64 v[39:40], v[76:77], -v[39:40]
	v_fma_f64 v[15:16], -v[15:16], v[66:67], v[72:73]
	v_fma_f64 v[76:77], -v[64:65], v[78:79], 0.5
	v_fma_f64 v[25:26], -v[25:26], v[70:71], v[56:57]
	v_fma_f64 v[27:28], v[33:34], v[37:38], -v[9:10]
	v_fma_f64 v[33:34], v[33:34], v[46:47], s[4:5]
	s_mov_b32 s5, 0xbfc55555
	s_delay_alu instid0(SALU_CYCLE_1)
	v_fma_f64 v[5:6], v[68:69], s[4:5], v[5:6]
	v_fma_f64 v[9:10], v[7:8], -v[9:10], v[39:40]
	v_fma_f64 v[39:40], v[60:61], v[48:49], v[50:51]
	v_div_fmas_f64 v[15:16], v[15:16], v[29:30], v[66:67]
	s_mov_b32 vcc_lo, s1
	v_fma_f64 v[37:38], v[78:79], v[76:77], v[78:79]
	v_fma_f64 v[29:30], v[64:65], v[76:77], v[64:65]
	v_cmp_class_f64_e64 s1, v[1:2], 0x1f8
	v_and_b32_e32 v1, 1, v20
	s_delay_alu instid0(VALU_DEP_1)
	v_cmp_eq_u32_e64 s2, 0, v1
	v_div_fmas_f64 v[25:26], v[25:26], v[31:32], v[70:71]
	v_fma_f64 v[27:28], v[74:75], s[4:5], v[27:28]
	v_add_f64 v[3:4], v[3:4], -v[5:6]
	v_fma_f64 v[9:10], v[35:36], v[33:34], v[9:10]
	v_add_f64 v[33:34], v[54:55], v[39:40]
	v_fma_f64 v[31:32], -v[37:38], v[37:38], v[52:53]
	v_div_fixup_f64 v[5:6], v[25:26], v[23:24], v[13:14]
	v_add_f64 v[7:8], v[7:8], -v[27:28]
	v_and_b32_e32 v23, 1, v19
	v_add_f64 v[9:10], v[62:63], v[9:10]
	s_delay_alu instid0(VALU_DEP_2)
	v_cmp_eq_u32_e32 vcc_lo, 0, v23
	v_cndmask_b32_e32 v3, v33, v3, vcc_lo
	v_fma_f64 v[13:14], v[31:32], v[29:30], v[37:38]
	v_mul_f64 v[5:6], v[11:12], v[5:6]
	v_lshlrev_b32_e32 v11, 30, v20
	v_xor_b32_e32 v8, 0x80000000, v8
	s_delay_alu instid0(VALU_DEP_2) | instskip(SKIP_1) | instid1(VALU_DEP_3)
	v_and_b32_e32 v1, 0x80000000, v11
	v_cndmask_b32_e64 v9, v7, v9, s2
	v_cndmask_b32_e64 v7, v8, v10, s2
	v_div_fixup_f64 v[11:12], v[15:16], v[17:18], v[21:22]
	s_delay_alu instid0(VALU_DEP_3) | instskip(NEXT) | instid1(VALU_DEP_3)
	v_cndmask_b32_e64 v9, 0, v9, s1
	v_xor_b32_e32 v10, v7, v1
	v_fma_f64 v[7:8], -v[13:14], v[13:14], v[52:53]
	v_cndmask_b32_e64 v1, 0, v3, s1
	v_lshlrev_b32_e32 v3, 30, v19
	s_delay_alu instid0(VALU_DEP_4) | instskip(NEXT) | instid1(VALU_DEP_2)
	v_cndmask_b32_e64 v10, 0x7ff80000, v10, s1
	v_xor_b32_e32 v2, v3, v2
	v_cndmask_b32_e32 v3, v34, v4, vcc_lo
	v_cmp_class_f64_e64 vcc_lo, v[52:53], 0x260
	s_delay_alu instid0(VALU_DEP_3) | instskip(NEXT) | instid1(VALU_DEP_1)
	v_and_b32_e32 v2, 0x80000000, v2
	v_xor_b32_e32 v2, v3, v2
	s_delay_alu instid0(VALU_DEP_1) | instskip(SKIP_2) | instid1(VALU_DEP_2)
	v_cndmask_b32_e64 v2, 0x7ff80000, v2, s1
	v_mul_f64 v[5:6], v[5:6], v[9:10]
	v_fma_f64 v[3:4], v[7:8], v[29:30], v[13:14]
	v_fma_f64 v[1:2], v[11:12], v[1:2], v[5:6]
	v_cndmask_b32_e64 v5, 0, 0xffffff80, s0
	s_mov_b32 s0, 0x33d43651
	s_mov_b32 s1, 0x3fe98845
	s_delay_alu instid0(VALU_DEP_1) | instskip(NEXT) | instid1(VALU_DEP_3)
	v_ldexp_f64 v[3:4], v[3:4], v5
	v_mul_f64 v[1:2], v[1:2], s[0:1]
	s_delay_alu instid0(VALU_DEP_2) | instskip(NEXT) | instid1(VALU_DEP_1)
	v_dual_cndmask_b32 v4, v4, v53 :: v_dual_cndmask_b32 v3, v3, v52
	v_div_scale_f64 v[5:6], null, v[3:4], v[3:4], v[1:2]
	s_delay_alu instid0(VALU_DEP_1) | instskip(SKIP_2) | instid1(VALU_DEP_1)
	v_rcp_f64_e32 v[7:8], v[5:6]
	s_waitcnt_depctr 0xfff
	v_fma_f64 v[9:10], -v[5:6], v[7:8], 1.0
	v_fma_f64 v[7:8], v[7:8], v[9:10], v[7:8]
	s_delay_alu instid0(VALU_DEP_1) | instskip(NEXT) | instid1(VALU_DEP_1)
	v_fma_f64 v[9:10], -v[5:6], v[7:8], 1.0
	v_fma_f64 v[7:8], v[7:8], v[9:10], v[7:8]
	v_div_scale_f64 v[9:10], vcc_lo, v[1:2], v[3:4], v[1:2]
	s_delay_alu instid0(VALU_DEP_1) | instskip(NEXT) | instid1(VALU_DEP_1)
	v_mul_f64 v[11:12], v[9:10], v[7:8]
	v_fma_f64 v[5:6], -v[5:6], v[11:12], v[9:10]
	s_delay_alu instid0(VALU_DEP_1) | instskip(NEXT) | instid1(VALU_DEP_1)
	v_div_fmas_f64 v[5:6], v[5:6], v[7:8], v[11:12]
	v_div_fixup_f64 v[60:61], v[5:6], v[3:4], v[1:2]
.LBB6_19:
	s_or_b32 exec_lo, exec_lo, s3
	s_delay_alu instid0(SALU_CYCLE_1)
	s_mov_b32 s0, exec_lo
	v_cmpx_ge_f64_e32 0x40140000, v[58:59]
	s_xor_b32 s42, exec_lo, s0
	s_cbranch_execz .LBB6_25
; %bb.20:
	v_mov_b32_e32 v62, 0
	v_mov_b32_e32 v63, 0xfff00000
	s_mov_b32 s43, exec_lo
	v_cmpx_neq_f64_e32 0, v[58:59]
	s_cbranch_execz .LBB6_24
; %bb.21:
	v_mov_b32_e32 v62, 0
	v_mov_b32_e32 v63, 0x7ff80000
	s_mov_b32 s44, exec_lo
	v_cmpx_nge_f64_e32 0, v[58:59]
	s_cbranch_execz .LBB6_23
; %bb.22:
	v_mul_f64 v[1:2], v[58:59], v[58:59]
	s_mov_b32 s0, 0xa93f7ac2
	s_mov_b32 s1, 0x40829269
	;; [unrolled: 1-line block ×4, first 2 shown]
	v_mov_b32_e32 v46, v0
	v_mov_b32_e32 v0, v58
	s_mov_b32 s45, s15
	s_delay_alu instid0(VALU_DEP_3)
	v_fma_f64 v[3:4], v[1:2], 0, s[0:1]
	s_mov_b32 s0, 0xbe58ef7f
	s_mov_b32 s1, 0x410cc160
	s_delay_alu instid0(VALU_DEP_1) | instid1(SALU_CYCLE_1)
	v_fma_f64 v[3:4], v[1:2], v[3:4], s[0:1]
	s_mov_b32 s0, 0x62f9b6c5
	s_mov_b32 s1, 0x41d2d2be
	s_delay_alu instid0(SALU_CYCLE_1) | instskip(SKIP_2) | instid1(VALU_DEP_2)
	v_fma_f64 v[5:6], v[1:2], 0, s[0:1]
	s_mov_b32 s0, 0x58836521
	s_mov_b32 s1, 0xc262d72d
	v_fma_f64 v[3:4], v[1:2], v[3:4], s[2:3]
	s_mov_b32 s2, 0x906b7b83
	s_mov_b32 s3, 0x421178c3
	s_delay_alu instid0(VALU_DEP_2) | instskip(SKIP_2) | instid1(VALU_DEP_2)
	v_fma_f64 v[5:6], v[1:2], v[5:6], s[0:1]
	s_mov_b32 s0, 0xb0910fef
	s_mov_b32 s1, 0x42da0954
	v_fma_f64 v[3:4], v[1:2], v[3:4], s[2:3]
	s_mov_b32 s2, 0xfda99316
	s_mov_b32 s3, 0x428c3f5e
	s_delay_alu instid0(VALU_DEP_2) | instskip(SKIP_2) | instid1(VALU_DEP_2)
	;; [unrolled: 7-line block ×4, first 2 shown]
	v_fma_f64 v[5:6], v[1:2], v[5:6], s[0:1]
	s_mov_b32 s0, 0x5dde2b17
	s_mov_b32 s1, 0xc3a59e41
	v_fma_f64 v[3:4], v[1:2], v[3:4], s[2:3]
	s_mov_b32 s2, 0x90f6747f
	s_mov_b32 s3, 0x43cb90f1
	s_delay_alu instid0(VALU_DEP_2) | instskip(SKIP_3) | instid1(VALU_DEP_2)
	v_fma_f64 v[5:6], v[1:2], v[5:6], s[0:1]
	s_getpc_b64 s[0:1]
	s_add_u32 s0, s0, _Z17bessel_j1_forwardIdET_S0_@rel32@lo+4
	s_addc_u32 s1, s1, _Z17bessel_j1_forwardIdET_S0_@rel32@hi+12
	v_fma_f64 v[1:2], v[1:2], v[3:4], s[2:3]
	s_delay_alu instid0(VALU_DEP_1) | instskip(NEXT) | instid1(VALU_DEP_1)
	v_div_scale_f64 v[3:4], null, v[1:2], v[1:2], v[5:6]
	v_rcp_f64_e32 v[7:8], v[3:4]
	s_waitcnt_depctr 0xfff
	v_fma_f64 v[9:10], -v[3:4], v[7:8], 1.0
	s_delay_alu instid0(VALU_DEP_1) | instskip(NEXT) | instid1(VALU_DEP_1)
	v_fma_f64 v[7:8], v[7:8], v[9:10], v[7:8]
	v_fma_f64 v[9:10], -v[3:4], v[7:8], 1.0
	s_delay_alu instid0(VALU_DEP_1) | instskip(SKIP_1) | instid1(VALU_DEP_1)
	v_fma_f64 v[7:8], v[7:8], v[9:10], v[7:8]
	v_div_scale_f64 v[9:10], vcc_lo, v[5:6], v[1:2], v[5:6]
	v_mul_f64 v[11:12], v[9:10], v[7:8]
	s_delay_alu instid0(VALU_DEP_1) | instskip(NEXT) | instid1(VALU_DEP_1)
	v_fma_f64 v[3:4], -v[3:4], v[11:12], v[9:10]
	v_div_fmas_f64 v[3:4], v[3:4], v[7:8], v[11:12]
	s_delay_alu instid0(VALU_DEP_1)
	v_div_fixup_f64 v[56:57], v[3:4], v[1:2], v[5:6]
	v_mov_b32_e32 v1, v59
	s_swappc_b64 s[30:31], s[0:1]
	v_frexp_mant_f64_e32 v[4:5], v[58:59]
	s_mov_b32 s1, 0x3fe55555
	s_mov_b32 s0, 0x55555555
	v_mov_b32_e32 v6, 0
	s_mov_b32 s2, 0x6b47b09a
	s_mov_b32 s4, 0xbf559e2b
	;; [unrolled: 1-line block ×4, first 2 shown]
	v_dual_mov_b32 v2, v0 :: v_dual_mov_b32 v3, v1
	v_frexp_exp_i32_f64_e32 v1, v[58:59]
	v_div_scale_f64 v[20:21], null, v[58:59], v[58:59], -1.0
	v_mov_b32_e32 v0, v46
	s_mov_b32 s15, s45
	v_cmp_gt_f64_e32 vcc_lo, s[0:1], v[4:5]
	s_mov_b32 s0, 0x55555780
	s_delay_alu instid0(VALU_DEP_3) | instskip(SKIP_2) | instid1(VALU_DEP_2)
	v_rcp_f64_e32 v[24:25], v[20:21]
	v_cndmask_b32_e64 v7, 0x3ff00000, 2.0, vcc_lo
	v_subrev_co_ci_u32_e32 v1, vcc_lo, 0, v1, vcc_lo
	v_mul_f64 v[4:5], v[4:5], v[6:7]
	s_delay_alu instid0(VALU_DEP_1) | instskip(SKIP_1) | instid1(VALU_DEP_2)
	v_add_f64 v[6:7], v[4:5], 1.0
	v_add_f64 v[12:13], v[4:5], -1.0
	v_rcp_f64_e32 v[8:9], v[6:7]
	v_add_f64 v[14:15], v[6:7], -1.0
	s_delay_alu instid0(VALU_DEP_1) | instskip(SKIP_2) | instid1(VALU_DEP_1)
	v_add_f64 v[4:5], v[4:5], -v[14:15]
	s_waitcnt_depctr 0xfff
	v_fma_f64 v[10:11], -v[6:7], v[8:9], 1.0
	v_fma_f64 v[8:9], v[10:11], v[8:9], v[8:9]
	s_delay_alu instid0(VALU_DEP_1) | instskip(NEXT) | instid1(VALU_DEP_1)
	v_fma_f64 v[10:11], -v[6:7], v[8:9], 1.0
	v_fma_f64 v[8:9], v[10:11], v[8:9], v[8:9]
	s_delay_alu instid0(VALU_DEP_1) | instskip(NEXT) | instid1(VALU_DEP_1)
	v_mul_f64 v[10:11], v[12:13], v[8:9]
	v_mul_f64 v[16:17], v[6:7], v[10:11]
	s_delay_alu instid0(VALU_DEP_1) | instskip(NEXT) | instid1(VALU_DEP_1)
	v_fma_f64 v[6:7], v[10:11], v[6:7], -v[16:17]
	v_fma_f64 v[4:5], v[10:11], v[4:5], v[6:7]
	s_delay_alu instid0(VALU_DEP_1) | instskip(NEXT) | instid1(VALU_DEP_1)
	v_add_f64 v[6:7], v[16:17], v[4:5]
	v_add_f64 v[14:15], v[12:13], -v[6:7]
	v_add_f64 v[16:17], v[6:7], -v[16:17]
	s_delay_alu instid0(VALU_DEP_2) | instskip(NEXT) | instid1(VALU_DEP_2)
	v_add_f64 v[12:13], v[12:13], -v[14:15]
	v_add_f64 v[4:5], v[16:17], -v[4:5]
	s_delay_alu instid0(VALU_DEP_2) | instskip(NEXT) | instid1(VALU_DEP_1)
	v_add_f64 v[6:7], v[12:13], -v[6:7]
	v_add_f64 v[4:5], v[4:5], v[6:7]
	s_delay_alu instid0(VALU_DEP_1) | instskip(NEXT) | instid1(VALU_DEP_1)
	v_add_f64 v[4:5], v[14:15], v[4:5]
	v_mul_f64 v[4:5], v[8:9], v[4:5]
	s_delay_alu instid0(VALU_DEP_1) | instskip(NEXT) | instid1(VALU_DEP_1)
	v_add_f64 v[6:7], v[10:11], v[4:5]
	v_mul_f64 v[8:9], v[6:7], v[6:7]
	s_delay_alu instid0(VALU_DEP_1) | instskip(SKIP_3) | instid1(VALU_DEP_2)
	v_fma_f64 v[12:13], v[8:9], s[4:5], s[2:3]
	s_mov_b32 s2, 0xd7f4df2e
	s_mov_b32 s3, 0x3fc7474d
	v_mul_f64 v[14:15], v[6:7], v[8:9]
	v_fma_f64 v[12:13], v[8:9], v[12:13], s[2:3]
	s_mov_b32 s2, 0x16291751
	s_mov_b32 s3, 0x3fcc71c0
	s_delay_alu instid0(VALU_DEP_1) | instid1(SALU_CYCLE_1)
	v_fma_f64 v[12:13], v[8:9], v[12:13], s[2:3]
	s_mov_b32 s2, 0x9b27acf1
	s_mov_b32 s3, 0x3fd24924
	s_delay_alu instid0(VALU_DEP_1) | instid1(SALU_CYCLE_1)
	;; [unrolled: 4-line block ×3, first 2 shown]
	v_fma_f64 v[12:13], v[8:9], v[12:13], s[2:3]
	s_delay_alu instid0(VALU_DEP_1) | instskip(SKIP_4) | instid1(VALU_DEP_3)
	v_fma_f64 v[8:9], v[8:9], v[12:13], s[0:1]
	v_ldexp_f64 v[12:13], v[6:7], 1
	v_add_f64 v[6:7], v[6:7], -v[10:11]
	s_mov_b32 s0, 0xfefa39ef
	s_mov_b32 s1, 0x3fe62e42
	v_mul_f64 v[8:9], v[14:15], v[8:9]
	v_cvt_f64_i32_e32 v[14:15], v1
	s_delay_alu instid0(VALU_DEP_3) | instskip(NEXT) | instid1(VALU_DEP_3)
	v_add_f64 v[4:5], v[4:5], -v[6:7]
	v_add_f64 v[10:11], v[12:13], v[8:9]
	s_delay_alu instid0(VALU_DEP_3) | instskip(NEXT) | instid1(VALU_DEP_3)
	v_mul_f64 v[16:17], v[14:15], s[0:1]
	v_ldexp_f64 v[4:5], v[4:5], 1
	s_delay_alu instid0(VALU_DEP_3) | instskip(NEXT) | instid1(VALU_DEP_3)
	v_add_f64 v[6:7], v[10:11], -v[12:13]
	v_fma_f64 v[12:13], v[14:15], s[0:1], -v[16:17]
	s_mov_b32 s0, 0x3b39803f
	s_mov_b32 s1, 0x3c7abc9e
	s_delay_alu instid0(VALU_DEP_2) | instskip(NEXT) | instid1(VALU_DEP_2)
	v_add_f64 v[6:7], v[8:9], -v[6:7]
	v_fma_f64 v[8:9], v[14:15], s[0:1], v[12:13]
	s_mov_b32 s0, 0x6dc9c883
	s_mov_b32 s1, 0x3fe45f30
	s_delay_alu instid0(VALU_DEP_2) | instskip(NEXT) | instid1(VALU_DEP_2)
	v_add_f64 v[4:5], v[4:5], v[6:7]
	v_add_f64 v[6:7], v[16:17], v[8:9]
	s_delay_alu instid0(VALU_DEP_2) | instskip(NEXT) | instid1(VALU_DEP_2)
	v_add_f64 v[12:13], v[10:11], v[4:5]
	v_add_f64 v[16:17], v[6:7], -v[16:17]
	s_delay_alu instid0(VALU_DEP_2) | instskip(SKIP_1) | instid1(VALU_DEP_3)
	v_add_f64 v[14:15], v[6:7], v[12:13]
	v_add_f64 v[10:11], v[12:13], -v[10:11]
	v_add_f64 v[8:9], v[8:9], -v[16:17]
	s_delay_alu instid0(VALU_DEP_3) | instskip(NEXT) | instid1(VALU_DEP_3)
	v_add_f64 v[18:19], v[14:15], -v[6:7]
	v_add_f64 v[4:5], v[4:5], -v[10:11]
	s_delay_alu instid0(VALU_DEP_2) | instskip(SKIP_2) | instid1(VALU_DEP_4)
	v_add_f64 v[22:23], v[14:15], -v[18:19]
	v_add_f64 v[10:11], v[12:13], -v[18:19]
	v_fma_f64 v[12:13], -v[20:21], v[24:25], 1.0
	v_add_f64 v[16:17], v[8:9], v[4:5]
	s_delay_alu instid0(VALU_DEP_4) | instskip(NEXT) | instid1(VALU_DEP_1)
	v_add_f64 v[6:7], v[6:7], -v[22:23]
	v_add_f64 v[6:7], v[10:11], v[6:7]
	s_delay_alu instid0(VALU_DEP_4) | instskip(NEXT) | instid1(VALU_DEP_4)
	v_fma_f64 v[10:11], v[24:25], v[12:13], v[24:25]
	v_add_f64 v[12:13], v[16:17], -v[8:9]
	v_div_scale_f64 v[24:25], vcc_lo, -1.0, v[58:59], -1.0
	s_delay_alu instid0(VALU_DEP_4) | instskip(NEXT) | instid1(VALU_DEP_4)
	v_add_f64 v[6:7], v[16:17], v[6:7]
	v_fma_f64 v[18:19], -v[20:21], v[10:11], 1.0
	s_delay_alu instid0(VALU_DEP_4) | instskip(SKIP_1) | instid1(VALU_DEP_4)
	v_add_f64 v[16:17], v[16:17], -v[12:13]
	v_add_f64 v[4:5], v[4:5], -v[12:13]
	v_add_f64 v[22:23], v[14:15], v[6:7]
	s_delay_alu instid0(VALU_DEP_4) | instskip(NEXT) | instid1(VALU_DEP_4)
	v_fma_f64 v[10:11], v[10:11], v[18:19], v[10:11]
	v_add_f64 v[8:9], v[8:9], -v[16:17]
	s_delay_alu instid0(VALU_DEP_3) | instskip(NEXT) | instid1(VALU_DEP_3)
	v_add_f64 v[12:13], v[22:23], -v[14:15]
	v_mul_f64 v[14:15], v[24:25], v[10:11]
	s_delay_alu instid0(VALU_DEP_3) | instskip(NEXT) | instid1(VALU_DEP_3)
	v_add_f64 v[4:5], v[4:5], v[8:9]
	v_add_f64 v[6:7], v[6:7], -v[12:13]
	s_delay_alu instid0(VALU_DEP_3) | instskip(NEXT) | instid1(VALU_DEP_2)
	v_fma_f64 v[8:9], -v[20:21], v[14:15], v[24:25]
	v_add_f64 v[4:5], v[4:5], v[6:7]
	s_delay_alu instid0(VALU_DEP_2) | instskip(NEXT) | instid1(VALU_DEP_2)
	v_div_fmas_f64 v[6:7], v[8:9], v[10:11], v[14:15]
	v_add_f64 v[4:5], v[22:23], v[4:5]
	s_delay_alu instid0(VALU_DEP_2) | instskip(NEXT) | instid1(VALU_DEP_1)
	v_div_fixup_f64 v[6:7], v[6:7], v[58:59], -1.0
	v_fma_f64 v[1:2], v[4:5], v[2:3], v[6:7]
	s_delay_alu instid0(VALU_DEP_1) | instskip(NEXT) | instid1(VALU_DEP_1)
	v_mul_f64 v[1:2], v[1:2], s[0:1]
	v_fma_f64 v[62:63], v[58:59], v[56:57], v[1:2]
.LBB6_23:
	s_or_b32 exec_lo, exec_lo, s44
.LBB6_24:
	s_delay_alu instid0(SALU_CYCLE_1)
	s_or_b32 exec_lo, exec_lo, s43
                                        ; implicit-def: $vgpr58_vgpr59
.LBB6_25:
	s_and_not1_saveexec_b32 s3, s42
	s_cbranch_execz .LBB6_35
; %bb.26:
	s_mov_b32 s0, 0x7f3321d2
	s_mov_b32 s1, 0xc002d97c
                                        ; implicit-def: $vgpr19
                                        ; implicit-def: $vgpr3_vgpr4
                                        ; implicit-def: $vgpr5_vgpr6
	s_delay_alu instid0(SALU_CYCLE_1) | instskip(NEXT) | instid1(VALU_DEP_1)
	v_add_f64 v[1:2], v[58:59], s[0:1]
	v_cmp_ngt_f64_e64 s1, 0x41d00000, |v[1:2]|
	v_trig_preop_f64 v[15:16], |v[1:2]|, 0
	v_trig_preop_f64 v[13:14], |v[1:2]|, 1
	v_ldexp_f64 v[17:18], |v[1:2]|, 0xffffff80
	v_trig_preop_f64 v[11:12], |v[1:2]|, 2
	v_and_b32_e32 v21, 0x7fffffff, v2
	s_and_saveexec_b32 s0, s1
	s_delay_alu instid0(SALU_CYCLE_1)
	s_xor_b32 s2, exec_lo, s0
	s_cbranch_execz .LBB6_28
; %bb.27:
	v_cmp_le_f64_e64 vcc_lo, 0x7b000000, |v[1:2]|
	v_mov_b32_e32 v32, 0
	s_mov_b32 s4, 0x54442d18
	s_mov_b32 s5, 0x3ff921fb
	;; [unrolled: 1-line block ×4, first 2 shown]
	v_cndmask_b32_e32 v4, v21, v18, vcc_lo
	v_cndmask_b32_e32 v3, v1, v17, vcc_lo
	s_delay_alu instid0(VALU_DEP_1) | instskip(SKIP_1) | instid1(VALU_DEP_2)
	v_mul_f64 v[5:6], v[15:16], v[3:4]
	v_mul_f64 v[7:8], v[13:14], v[3:4]
	v_fma_f64 v[9:10], v[15:16], v[3:4], -v[5:6]
	s_delay_alu instid0(VALU_DEP_2) | instskip(NEXT) | instid1(VALU_DEP_2)
	v_fma_f64 v[30:31], v[13:14], v[3:4], -v[7:8]
	v_add_f64 v[19:20], v[7:8], v[9:10]
	s_delay_alu instid0(VALU_DEP_1) | instskip(SKIP_1) | instid1(VALU_DEP_2)
	v_add_f64 v[22:23], v[19:20], -v[7:8]
	v_add_f64 v[26:27], v[5:6], v[19:20]
	v_add_f64 v[24:25], v[19:20], -v[22:23]
	v_add_f64 v[9:10], v[9:10], -v[22:23]
	s_delay_alu instid0(VALU_DEP_3) | instskip(SKIP_1) | instid1(VALU_DEP_4)
	v_ldexp_f64 v[22:23], v[26:27], -2
	v_add_f64 v[5:6], v[26:27], -v[5:6]
	v_add_f64 v[7:8], v[7:8], -v[24:25]
	s_delay_alu instid0(VALU_DEP_3) | instskip(NEXT) | instid1(VALU_DEP_3)
	v_cmp_neq_f64_e64 vcc_lo, 0x7ff00000, |v[22:23]|
	v_add_f64 v[5:6], v[19:20], -v[5:6]
	s_delay_alu instid0(VALU_DEP_3) | instskip(SKIP_1) | instid1(VALU_DEP_1)
	v_add_f64 v[7:8], v[9:10], v[7:8]
	v_fract_f64_e32 v[9:10], v[22:23]
	v_dual_cndmask_b32 v10, 0, v10 :: v_dual_cndmask_b32 v9, 0, v9
	v_mul_f64 v[28:29], v[11:12], v[3:4]
	s_delay_alu instid0(VALU_DEP_2) | instskip(NEXT) | instid1(VALU_DEP_2)
	v_ldexp_f64 v[9:10], v[9:10], 2
	v_add_f64 v[24:25], v[28:29], v[30:31]
	v_fma_f64 v[3:4], v[11:12], v[3:4], -v[28:29]
	s_delay_alu instid0(VALU_DEP_2) | instskip(NEXT) | instid1(VALU_DEP_1)
	v_add_f64 v[19:20], v[24:25], v[7:8]
	v_add_f64 v[22:23], v[5:6], v[19:20]
	s_delay_alu instid0(VALU_DEP_1) | instskip(SKIP_1) | instid1(VALU_DEP_2)
	v_add_f64 v[26:27], v[22:23], v[9:10]
	v_add_f64 v[5:6], v[22:23], -v[5:6]
	v_cmp_gt_f64_e32 vcc_lo, 0, v[26:27]
	v_add_f64 v[26:27], v[24:25], -v[28:29]
	s_delay_alu instid0(VALU_DEP_3) | instskip(SKIP_1) | instid1(VALU_DEP_3)
	v_add_f64 v[5:6], v[19:20], -v[5:6]
	v_cndmask_b32_e64 v33, 0, 0x40100000, vcc_lo
	v_add_f64 v[37:38], v[24:25], -v[26:27]
	v_add_f64 v[26:27], v[30:31], -v[26:27]
	s_delay_alu instid0(VALU_DEP_3) | instskip(SKIP_1) | instid1(VALU_DEP_4)
	v_add_f64 v[9:10], v[9:10], v[32:33]
	v_add_f64 v[33:34], v[19:20], -v[24:25]
	v_add_f64 v[30:31], v[28:29], -v[37:38]
	s_delay_alu instid0(VALU_DEP_3) | instskip(NEXT) | instid1(VALU_DEP_3)
	v_add_f64 v[35:36], v[22:23], v[9:10]
	v_add_f64 v[39:40], v[19:20], -v[33:34]
	v_add_f64 v[7:8], v[7:8], -v[33:34]
	s_delay_alu instid0(VALU_DEP_4) | instskip(NEXT) | instid1(VALU_DEP_4)
	v_add_f64 v[26:27], v[26:27], v[30:31]
	v_cvt_i32_f64_e32 v35, v[35:36]
	s_delay_alu instid0(VALU_DEP_4) | instskip(NEXT) | instid1(VALU_DEP_2)
	v_add_f64 v[24:25], v[24:25], -v[39:40]
	v_cvt_f64_i32_e32 v[33:34], v35
	s_delay_alu instid0(VALU_DEP_2) | instskip(NEXT) | instid1(VALU_DEP_2)
	v_add_f64 v[7:8], v[7:8], v[24:25]
	v_add_f64 v[9:10], v[9:10], -v[33:34]
	s_delay_alu instid0(VALU_DEP_2) | instskip(NEXT) | instid1(VALU_DEP_2)
	v_add_f64 v[7:8], v[26:27], v[7:8]
	v_add_f64 v[24:25], v[22:23], v[9:10]
	s_delay_alu instid0(VALU_DEP_2) | instskip(NEXT) | instid1(VALU_DEP_2)
	v_add_f64 v[3:4], v[3:4], v[7:8]
	v_add_f64 v[7:8], v[24:25], -v[9:10]
	v_cmp_le_f64_e32 vcc_lo, 0.5, v[24:25]
	s_delay_alu instid0(VALU_DEP_3) | instskip(NEXT) | instid1(VALU_DEP_3)
	v_add_f64 v[3:4], v[5:6], v[3:4]
	v_add_f64 v[5:6], v[22:23], -v[7:8]
	v_cndmask_b32_e64 v33, 0, 0x3ff00000, vcc_lo
	v_add_co_ci_u32_e64 v19, s0, 0, v35, vcc_lo
	s_delay_alu instid0(VALU_DEP_3) | instskip(NEXT) | instid1(VALU_DEP_3)
	v_add_f64 v[3:4], v[3:4], v[5:6]
	v_add_f64 v[5:6], v[24:25], -v[32:33]
	s_delay_alu instid0(VALU_DEP_1) | instskip(NEXT) | instid1(VALU_DEP_1)
	v_add_f64 v[7:8], v[5:6], v[3:4]
	v_mul_f64 v[9:10], v[7:8], s[4:5]
	v_add_f64 v[5:6], v[7:8], -v[5:6]
	s_delay_alu instid0(VALU_DEP_2) | instskip(NEXT) | instid1(VALU_DEP_2)
	v_fma_f64 v[22:23], v[7:8], s[4:5], -v[9:10]
	v_add_f64 v[3:4], v[3:4], -v[5:6]
	s_delay_alu instid0(VALU_DEP_2) | instskip(NEXT) | instid1(VALU_DEP_1)
	v_fma_f64 v[5:6], v[7:8], s[6:7], v[22:23]
	v_fma_f64 v[5:6], v[3:4], s[4:5], v[5:6]
	s_delay_alu instid0(VALU_DEP_1) | instskip(NEXT) | instid1(VALU_DEP_1)
	v_add_f64 v[3:4], v[9:10], v[5:6]
	v_add_f64 v[7:8], v[3:4], -v[9:10]
	s_delay_alu instid0(VALU_DEP_1)
	v_add_f64 v[5:6], v[5:6], -v[7:8]
	s_and_not1_saveexec_b32 s0, s2
	s_cbranch_execz .LBB6_30
	s_branch .LBB6_29
.LBB6_28:
	s_and_not1_saveexec_b32 s0, s2
	s_cbranch_execz .LBB6_30
.LBB6_29:
	s_mov_b32 s4, 0x6dc9c883
	s_mov_b32 s5, 0x3fe45f30
	;; [unrolled: 1-line block ×3, first 2 shown]
	v_mul_f64 v[3:4], |v[1:2]|, s[4:5]
	s_mov_b32 s4, 0x54442d18
	s_mov_b32 s5, 0xbff921fb
	;; [unrolled: 1-line block ×3, first 2 shown]
	s_delay_alu instid0(VALU_DEP_1) | instskip(NEXT) | instid1(VALU_DEP_1)
	v_rndne_f64_e32 v[7:8], v[3:4]
	v_fma_f64 v[3:4], v[7:8], s[4:5], |v[1:2]|
	v_mul_f64 v[5:6], v[7:8], s[6:7]
	s_mov_b32 s4, 0x252049c0
	s_mov_b32 s5, 0xb97b839a
	s_delay_alu instid0(VALU_DEP_2) | instskip(NEXT) | instid1(VALU_DEP_2)
	v_fma_f64 v[19:20], v[7:8], s[6:7], v[3:4]
	v_add_f64 v[9:10], v[3:4], v[5:6]
	s_mov_b32 s7, 0x3c91a626
	s_delay_alu instid0(VALU_DEP_1) | instskip(NEXT) | instid1(VALU_DEP_3)
	v_add_f64 v[3:4], v[3:4], -v[9:10]
	v_add_f64 v[9:10], v[9:10], -v[19:20]
	s_delay_alu instid0(VALU_DEP_2) | instskip(SKIP_1) | instid1(VALU_DEP_2)
	v_add_f64 v[3:4], v[3:4], v[5:6]
	v_fma_f64 v[5:6], v[7:8], s[6:7], v[5:6]
	v_add_f64 v[3:4], v[9:10], v[3:4]
	s_delay_alu instid0(VALU_DEP_1) | instskip(NEXT) | instid1(VALU_DEP_1)
	v_add_f64 v[3:4], v[3:4], -v[5:6]
	v_fma_f64 v[5:6], v[7:8], s[4:5], v[3:4]
	s_delay_alu instid0(VALU_DEP_1) | instskip(NEXT) | instid1(VALU_DEP_1)
	v_add_f64 v[3:4], v[19:20], v[5:6]
	v_add_f64 v[9:10], v[3:4], -v[19:20]
	v_cvt_i32_f64_e32 v19, v[7:8]
	s_delay_alu instid0(VALU_DEP_2)
	v_add_f64 v[5:6], v[5:6], -v[9:10]
.LBB6_30:
	s_or_b32 exec_lo, exec_lo, s0
                                        ; implicit-def: $vgpr20
                                        ; implicit-def: $vgpr7_vgpr8
                                        ; implicit-def: $vgpr9_vgpr10
	s_and_saveexec_b32 s0, s1
	s_delay_alu instid0(SALU_CYCLE_1)
	s_xor_b32 s1, exec_lo, s0
	s_cbranch_execz .LBB6_32
; %bb.31:
	v_cmp_le_f64_e64 vcc_lo, 0x7b000000, |v[1:2]|
	v_mov_b32_e32 v30, 0
	s_mov_b32 s4, 0x54442d18
	s_mov_b32 s5, 0x3ff921fb
	;; [unrolled: 1-line block ×4, first 2 shown]
	v_cndmask_b32_e32 v8, v21, v18, vcc_lo
	v_cndmask_b32_e32 v7, v1, v17, vcc_lo
	s_delay_alu instid0(VALU_DEP_1) | instskip(SKIP_1) | instid1(VALU_DEP_2)
	v_mul_f64 v[9:10], v[15:16], v[7:8]
	v_mul_f64 v[17:18], v[13:14], v[7:8]
	v_fma_f64 v[15:16], v[15:16], v[7:8], -v[9:10]
	s_delay_alu instid0(VALU_DEP_2) | instskip(NEXT) | instid1(VALU_DEP_2)
	v_fma_f64 v[13:14], v[13:14], v[7:8], -v[17:18]
	v_add_f64 v[20:21], v[17:18], v[15:16]
	s_delay_alu instid0(VALU_DEP_1) | instskip(SKIP_1) | instid1(VALU_DEP_2)
	v_add_f64 v[22:23], v[20:21], -v[17:18]
	v_add_f64 v[26:27], v[9:10], v[20:21]
	v_add_f64 v[24:25], v[20:21], -v[22:23]
	v_add_f64 v[15:16], v[15:16], -v[22:23]
	s_delay_alu instid0(VALU_DEP_3) | instskip(SKIP_1) | instid1(VALU_DEP_4)
	v_ldexp_f64 v[22:23], v[26:27], -2
	v_add_f64 v[9:10], v[26:27], -v[9:10]
	v_add_f64 v[17:18], v[17:18], -v[24:25]
	s_delay_alu instid0(VALU_DEP_3) | instskip(NEXT) | instid1(VALU_DEP_3)
	v_cmp_neq_f64_e64 vcc_lo, 0x7ff00000, |v[22:23]|
	v_add_f64 v[9:10], v[20:21], -v[9:10]
	s_delay_alu instid0(VALU_DEP_3) | instskip(SKIP_1) | instid1(VALU_DEP_1)
	v_add_f64 v[15:16], v[15:16], v[17:18]
	v_fract_f64_e32 v[17:18], v[22:23]
	v_dual_cndmask_b32 v18, 0, v18 :: v_dual_cndmask_b32 v17, 0, v17
	v_mul_f64 v[28:29], v[11:12], v[7:8]
	s_delay_alu instid0(VALU_DEP_2) | instskip(NEXT) | instid1(VALU_DEP_2)
	v_ldexp_f64 v[17:18], v[17:18], 2
	v_add_f64 v[24:25], v[28:29], v[13:14]
	v_fma_f64 v[7:8], v[11:12], v[7:8], -v[28:29]
	s_delay_alu instid0(VALU_DEP_2) | instskip(NEXT) | instid1(VALU_DEP_1)
	v_add_f64 v[20:21], v[24:25], v[15:16]
	v_add_f64 v[22:23], v[9:10], v[20:21]
	s_delay_alu instid0(VALU_DEP_1) | instskip(SKIP_1) | instid1(VALU_DEP_2)
	v_add_f64 v[26:27], v[22:23], v[17:18]
	v_add_f64 v[9:10], v[22:23], -v[9:10]
	v_cmp_gt_f64_e32 vcc_lo, 0, v[26:27]
	v_add_f64 v[26:27], v[24:25], -v[28:29]
	s_delay_alu instid0(VALU_DEP_3) | instskip(SKIP_1) | instid1(VALU_DEP_3)
	v_add_f64 v[9:10], v[20:21], -v[9:10]
	v_cndmask_b32_e64 v31, 0, 0x40100000, vcc_lo
	v_add_f64 v[35:36], v[24:25], -v[26:27]
	v_add_f64 v[13:14], v[13:14], -v[26:27]
	s_delay_alu instid0(VALU_DEP_3) | instskip(SKIP_1) | instid1(VALU_DEP_4)
	v_add_f64 v[17:18], v[17:18], v[30:31]
	v_add_f64 v[31:32], v[20:21], -v[24:25]
	v_add_f64 v[26:27], v[28:29], -v[35:36]
	s_delay_alu instid0(VALU_DEP_3) | instskip(NEXT) | instid1(VALU_DEP_3)
	v_add_f64 v[33:34], v[22:23], v[17:18]
	v_add_f64 v[37:38], v[20:21], -v[31:32]
	v_add_f64 v[15:16], v[15:16], -v[31:32]
	s_delay_alu instid0(VALU_DEP_4) | instskip(NEXT) | instid1(VALU_DEP_4)
	v_add_f64 v[13:14], v[13:14], v[26:27]
	v_cvt_i32_f64_e32 v33, v[33:34]
	s_delay_alu instid0(VALU_DEP_4) | instskip(NEXT) | instid1(VALU_DEP_2)
	v_add_f64 v[24:25], v[24:25], -v[37:38]
	v_cvt_f64_i32_e32 v[31:32], v33
	s_delay_alu instid0(VALU_DEP_2) | instskip(NEXT) | instid1(VALU_DEP_2)
	v_add_f64 v[15:16], v[15:16], v[24:25]
	v_add_f64 v[17:18], v[17:18], -v[31:32]
	s_delay_alu instid0(VALU_DEP_2) | instskip(NEXT) | instid1(VALU_DEP_2)
	v_add_f64 v[11:12], v[13:14], v[15:16]
	v_add_f64 v[13:14], v[22:23], v[17:18]
	s_delay_alu instid0(VALU_DEP_2) | instskip(NEXT) | instid1(VALU_DEP_2)
	v_add_f64 v[7:8], v[7:8], v[11:12]
	v_add_f64 v[11:12], v[13:14], -v[17:18]
	v_cmp_le_f64_e32 vcc_lo, 0.5, v[13:14]
	s_delay_alu instid0(VALU_DEP_3) | instskip(NEXT) | instid1(VALU_DEP_3)
	v_add_f64 v[7:8], v[9:10], v[7:8]
	v_add_f64 v[9:10], v[22:23], -v[11:12]
	v_cndmask_b32_e64 v31, 0, 0x3ff00000, vcc_lo
	v_add_co_ci_u32_e64 v20, s0, 0, v33, vcc_lo
	s_delay_alu instid0(VALU_DEP_3) | instskip(NEXT) | instid1(VALU_DEP_3)
	v_add_f64 v[7:8], v[7:8], v[9:10]
	v_add_f64 v[9:10], v[13:14], -v[30:31]
	s_delay_alu instid0(VALU_DEP_1) | instskip(NEXT) | instid1(VALU_DEP_1)
	v_add_f64 v[11:12], v[9:10], v[7:8]
	v_mul_f64 v[13:14], v[11:12], s[4:5]
	v_add_f64 v[9:10], v[11:12], -v[9:10]
	s_delay_alu instid0(VALU_DEP_2) | instskip(NEXT) | instid1(VALU_DEP_2)
	v_fma_f64 v[15:16], v[11:12], s[4:5], -v[13:14]
	v_add_f64 v[7:8], v[7:8], -v[9:10]
	s_delay_alu instid0(VALU_DEP_2) | instskip(NEXT) | instid1(VALU_DEP_1)
	v_fma_f64 v[9:10], v[11:12], s[6:7], v[15:16]
	v_fma_f64 v[9:10], v[7:8], s[4:5], v[9:10]
	s_delay_alu instid0(VALU_DEP_1) | instskip(NEXT) | instid1(VALU_DEP_1)
	v_add_f64 v[7:8], v[13:14], v[9:10]
	v_add_f64 v[11:12], v[7:8], -v[13:14]
	s_delay_alu instid0(VALU_DEP_1)
	v_add_f64 v[9:10], v[9:10], -v[11:12]
	s_and_not1_saveexec_b32 s0, s1
	s_cbranch_execnz .LBB6_33
	s_branch .LBB6_34
.LBB6_32:
	s_and_not1_saveexec_b32 s0, s1
	s_cbranch_execz .LBB6_34
.LBB6_33:
	s_mov_b32 s4, 0x6dc9c883
	s_mov_b32 s5, 0x3fe45f30
	;; [unrolled: 1-line block ×3, first 2 shown]
	v_mul_f64 v[7:8], |v[1:2]|, s[4:5]
	s_mov_b32 s4, 0x54442d18
	s_mov_b32 s5, 0xbff921fb
	;; [unrolled: 1-line block ×3, first 2 shown]
	s_delay_alu instid0(VALU_DEP_1) | instskip(NEXT) | instid1(VALU_DEP_1)
	v_rndne_f64_e32 v[11:12], v[7:8]
	v_fma_f64 v[7:8], v[11:12], s[4:5], |v[1:2]|
	v_mul_f64 v[9:10], v[11:12], s[6:7]
	s_mov_b32 s4, 0x252049c0
	s_mov_b32 s5, 0xb97b839a
	v_cvt_i32_f64_e32 v20, v[11:12]
	s_delay_alu instid0(VALU_DEP_3) | instskip(NEXT) | instid1(VALU_DEP_3)
	v_fma_f64 v[15:16], v[11:12], s[6:7], v[7:8]
	v_add_f64 v[13:14], v[7:8], v[9:10]
	s_mov_b32 s7, 0x3c91a626
	s_delay_alu instid0(VALU_DEP_1) | instskip(NEXT) | instid1(VALU_DEP_3)
	v_add_f64 v[7:8], v[7:8], -v[13:14]
	v_add_f64 v[13:14], v[13:14], -v[15:16]
	s_delay_alu instid0(VALU_DEP_2) | instskip(SKIP_1) | instid1(VALU_DEP_2)
	v_add_f64 v[7:8], v[7:8], v[9:10]
	v_fma_f64 v[9:10], v[11:12], s[6:7], v[9:10]
	v_add_f64 v[7:8], v[13:14], v[7:8]
	s_delay_alu instid0(VALU_DEP_1) | instskip(NEXT) | instid1(VALU_DEP_1)
	v_add_f64 v[7:8], v[7:8], -v[9:10]
	v_fma_f64 v[9:10], v[11:12], s[4:5], v[7:8]
	s_delay_alu instid0(VALU_DEP_1) | instskip(NEXT) | instid1(VALU_DEP_1)
	v_add_f64 v[7:8], v[15:16], v[9:10]
	v_add_f64 v[13:14], v[7:8], -v[15:16]
	s_delay_alu instid0(VALU_DEP_1)
	v_add_f64 v[9:10], v[9:10], -v[13:14]
.LBB6_34:
	s_or_b32 exec_lo, exec_lo, s0
	v_div_scale_f64 v[11:12], null, v[58:59], v[58:59], 0x40140000
	v_div_scale_f64 v[17:18], vcc_lo, 0x40140000, v[58:59], 0x40140000
	s_mov_b32 s0, 0x6b70ba40
	s_mov_b32 s1, 0x3faa27fa
	;; [unrolled: 1-line block ×6, first 2 shown]
	v_mul_f64 v[27:28], v[3:4], v[3:4]
	v_mul_f64 v[33:34], v[7:8], v[7:8]
	s_mov_b32 s8, 0x796cde01
	s_mov_b32 s9, 0x3ec71de3
	v_mul_f64 v[66:67], v[5:6], 0.5
	v_rcp_f64_e32 v[13:14], v[11:12]
	s_delay_alu instid0(VALU_DEP_3) | instskip(SKIP_1) | instid1(VALU_DEP_4)
	v_mul_f64 v[50:51], v[27:28], 0.5
	v_mul_f64 v[68:69], v[3:4], -v[27:28]
	v_mul_f64 v[74:75], v[7:8], -v[33:34]
	s_waitcnt_depctr 0xfff
	v_fma_f64 v[15:16], -v[11:12], v[13:14], 1.0
	v_add_f64 v[54:55], -v[50:51], 1.0
	s_delay_alu instid0(VALU_DEP_2) | instskip(NEXT) | instid1(VALU_DEP_2)
	v_fma_f64 v[13:14], v[13:14], v[15:16], v[13:14]
	v_add_f64 v[70:71], -v[54:55], 1.0
	s_delay_alu instid0(VALU_DEP_2) | instskip(NEXT) | instid1(VALU_DEP_2)
	v_fma_f64 v[15:16], -v[11:12], v[13:14], 1.0
	v_add_f64 v[50:51], v[70:71], -v[50:51]
	s_delay_alu instid0(VALU_DEP_2) | instskip(NEXT) | instid1(VALU_DEP_2)
	v_fma_f64 v[13:14], v[13:14], v[15:16], v[13:14]
	v_fma_f64 v[50:51], v[3:4], -v[5:6], v[50:51]
	s_delay_alu instid0(VALU_DEP_2) | instskip(NEXT) | instid1(VALU_DEP_1)
	v_mul_f64 v[15:16], v[17:18], v[13:14]
	v_fma_f64 v[11:12], -v[11:12], v[15:16], v[17:18]
	s_delay_alu instid0(VALU_DEP_1) | instskip(NEXT) | instid1(VALU_DEP_1)
	v_div_fmas_f64 v[11:12], v[11:12], v[13:14], v[15:16]
	v_div_fixup_f64 v[11:12], v[11:12], v[58:59], 0x40140000
	s_delay_alu instid0(VALU_DEP_1) | instskip(NEXT) | instid1(VALU_DEP_1)
	v_mul_f64 v[13:14], v[11:12], v[11:12]
	v_fma_f64 v[15:16], v[13:14], 0, s[0:1]
	s_mov_b32 s0, 0x4c6c651b
	s_mov_b32 s1, 0x3f48f92c
	v_fma_f64 v[17:18], v[13:14], 0, s[4:5]
	v_fma_f64 v[21:22], v[13:14], 0, s[0:1]
	s_mov_b32 s0, 0xc66d8fd6
	s_mov_b32 s1, 0x4013edb5
	v_fma_f64 v[23:24], v[13:14], 0, s[6:7]
	s_mov_b32 s4, 0x5948aa83
	s_mov_b32 s5, 0x3fb19fdd
	s_mov_b32 s6, 0xa20e5f6f
	s_mov_b32 s7, 0x409081cb
	s_delay_alu instid0(VALU_DEP_4) | instskip(SKIP_2) | instid1(VALU_DEP_4)
	v_fma_f64 v[15:16], v[13:14], v[15:16], s[0:1]
	s_mov_b32 s0, 0xa3fec4b6
	s_mov_b32 s1, 0x3fb2b948
	v_fma_f64 v[17:18], v[13:14], v[17:18], s[4:5]
	s_delay_alu instid0(VALU_DEP_4) | instskip(SKIP_2) | instid1(VALU_DEP_4)
	v_fma_f64 v[21:22], v[13:14], v[21:22], s[0:1]
	s_mov_b32 s0, 0x9acf1c67
	s_mov_b32 s1, 0x4052f4b9
	v_fma_f64 v[23:24], v[13:14], v[23:24], s[6:7]
	s_mov_b32 s4, 0xb850eed6
	s_mov_b32 s5, 0x3ff1aea9
	s_mov_b32 s6, 0x1bfdfe81
	s_mov_b32 s7, 0x40b37a69
	s_delay_alu instid0(VALU_DEP_4) | instskip(SKIP_2) | instid1(VALU_DEP_4)
	v_fma_f64 v[15:16], v[13:14], v[15:16], s[0:1]
	s_mov_b32 s0, 0xc21596d6
	s_mov_b32 s1, 0x3ff208fe
	v_fma_f64 v[17:18], v[13:14], v[17:18], s[4:5]
	s_delay_alu instid0(VALU_DEP_4) | instskip(SKIP_2) | instid1(VALU_DEP_4)
	;; [unrolled: 14-line block ×5, first 2 shown]
	v_fma_f64 v[21:22], v[13:14], v[21:22], s[0:1]
	s_mov_b32 s0, 0x4c54bb0b
	s_mov_b32 s1, 0x406a760a
	v_fma_f64 v[23:24], v[13:14], v[23:24], s[6:7]
	s_mov_b32 s4, 0x4d159eb5
	s_mov_b32 s5, 0x403934ff
	;; [unrolled: 1-line block ×4, first 2 shown]
	s_delay_alu instid0(VALU_DEP_4) | instskip(SKIP_2) | instid1(VALU_DEP_4)
	v_fma_f64 v[15:16], v[13:14], v[15:16], s[0:1]
	s_mov_b32 s0, 0x6ae75997
	s_mov_b32 s1, 0x4075017f
	v_fma_f64 v[17:18], v[13:14], v[17:18], 1.0
	s_delay_alu instid0(VALU_DEP_4) | instskip(NEXT) | instid1(VALU_DEP_4)
	v_fma_f64 v[21:22], v[13:14], v[21:22], 1.0
	v_fma_f64 v[23:24], v[13:14], v[23:24], s[0:1]
	s_mov_b32 s0, 0xb42fdfa7
	s_mov_b32 s1, 0xbe5ae600
	s_delay_alu instid0(VALU_DEP_4) | instskip(SKIP_2) | instid1(VALU_DEP_3)
	v_fma_f64 v[13:14], v[13:14], v[15:16], s[4:5]
	s_mov_b32 s4, 0xf9a43bb8
	s_mov_b32 s5, 0x3de5e0b2
	v_div_scale_f64 v[15:16], null, v[17:18], v[17:18], v[21:22]
	v_fma_f64 v[35:36], v[27:28], s[4:5], s[0:1]
	v_fma_f64 v[46:47], v[33:34], s[4:5], s[0:1]
	v_cmp_gt_f64_e64 s0, 0x10000000, v[58:59]
	s_mov_b32 s4, 0x9037ab78
	s_mov_b32 s5, 0x3e21eeb6
	v_div_scale_f64 v[72:73], vcc_lo, v[21:22], v[17:18], v[21:22]
	v_fma_f64 v[48:49], v[27:28], s[6:7], s[4:5]
	v_div_scale_f64 v[25:26], null, v[23:24], v[23:24], v[13:14]
	v_rcp_f64_e32 v[29:30], v[15:16]
	v_fma_f64 v[35:36], v[27:28], v[35:36], s[8:9]
	s_delay_alu instid0(VALU_DEP_2) | instskip(SKIP_3) | instid1(VALU_DEP_2)
	v_rcp_f64_e32 v[31:32], v[25:26]
	s_waitcnt_depctr 0xfff
	v_fma_f64 v[37:38], -v[15:16], v[29:30], 1.0
	v_fma_f64 v[39:40], -v[25:26], v[31:32], 1.0
	v_fma_f64 v[29:30], v[29:30], v[37:38], v[29:30]
	v_fma_f64 v[37:38], v[33:34], v[46:47], s[8:9]
	;; [unrolled: 1-line block ×3, first 2 shown]
	s_mov_b32 s6, 0x19e83e5c
	s_mov_b32 s7, 0xbf2a01a0
	;; [unrolled: 1-line block ×3, first 2 shown]
	v_fma_f64 v[35:36], v[27:28], v[35:36], s[6:7]
	s_mov_b32 s5, 0xbe927e4f
	s_delay_alu instid0(SALU_CYCLE_1) | instskip(SKIP_4) | instid1(VALU_DEP_3)
	v_fma_f64 v[48:49], v[27:28], v[48:49], s[4:5]
	v_fma_f64 v[31:32], v[31:32], v[39:40], v[31:32]
	v_cndmask_b32_e64 v39, 0, 1, s0
	v_fma_f64 v[56:57], -v[15:16], v[29:30], 1.0
	v_fma_f64 v[37:38], v[33:34], v[37:38], s[6:7]
	v_lshlrev_b32_e32 v52, 8, v39
	v_mul_f64 v[39:40], v[33:34], 0.5
	v_fma_f64 v[46:47], v[33:34], v[46:47], s[4:5]
	s_mov_b32 s6, 0x11110bb3
	s_mov_b32 s7, 0x3f811111
	v_ldexp_f64 v[52:53], v[58:59], v52
	v_fma_f64 v[35:36], v[27:28], v[35:36], s[6:7]
	s_mov_b32 s4, 0x19f4ec90
	s_mov_b32 s5, 0x3efa01a0
	s_delay_alu instid0(SALU_CYCLE_1)
	v_fma_f64 v[48:49], v[27:28], v[48:49], s[4:5]
	v_fma_f64 v[58:59], -v[25:26], v[31:32], 1.0
	v_fma_f64 v[29:30], v[29:30], v[56:57], v[29:30]
	v_div_scale_f64 v[56:57], s1, v[13:14], v[23:24], v[13:14]
	v_add_f64 v[62:63], -v[39:40], 1.0
	v_fma_f64 v[37:38], v[33:34], v[37:38], s[6:7]
	v_fma_f64 v[46:47], v[33:34], v[46:47], s[4:5]
	s_mov_b32 s4, 0x16c16967
	v_rsq_f64_e32 v[64:65], v[52:53]
	v_fma_f64 v[35:36], v[68:69], v[35:36], v[66:67]
	s_mov_b32 s5, 0xbf56c16c
	s_delay_alu instid0(SALU_CYCLE_1)
	v_fma_f64 v[48:49], v[27:28], v[48:49], s[4:5]
	v_fma_f64 v[31:32], v[31:32], v[58:59], v[31:32]
	v_mul_f64 v[58:59], v[9:10], 0.5
	v_mul_f64 v[66:67], v[72:73], v[29:30]
	v_add_f64 v[76:77], -v[62:63], 1.0
	v_fma_f64 v[46:47], v[33:34], v[46:47], s[4:5]
	s_mov_b32 s4, 0x55555555
	s_mov_b32 s5, 0x3fa55555
	v_fma_f64 v[5:6], v[27:28], v[35:36], -v[5:6]
	s_delay_alu instid0(TRANS32_DEP_1)
	v_mul_f64 v[78:79], v[52:53], v[64:65]
	v_mul_f64 v[64:65], v[64:65], 0.5
	v_mul_f64 v[35:36], v[33:34], v[33:34]
	v_fma_f64 v[48:49], v[27:28], v[48:49], s[4:5]
	v_mul_f64 v[70:71], v[56:57], v[31:32]
	v_fma_f64 v[37:38], v[74:75], v[37:38], v[58:59]
	v_mul_f64 v[58:59], v[27:28], v[27:28]
	v_fma_f64 v[15:16], -v[15:16], v[66:67], v[72:73]
	v_add_f64 v[39:40], v[76:77], -v[39:40]
	v_fma_f64 v[76:77], -v[64:65], v[78:79], 0.5
	v_fma_f64 v[25:26], -v[25:26], v[70:71], v[56:57]
	v_fma_f64 v[27:28], v[33:34], v[37:38], -v[9:10]
	v_fma_f64 v[33:34], v[33:34], v[46:47], s[4:5]
	s_mov_b32 s5, 0xbfc55555
	v_div_fmas_f64 v[15:16], v[15:16], v[29:30], v[66:67]
	s_mov_b32 vcc_lo, s1
	v_fma_f64 v[5:6], v[68:69], s[4:5], v[5:6]
	v_fma_f64 v[9:10], v[7:8], -v[9:10], v[39:40]
	v_fma_f64 v[39:40], v[58:59], v[48:49], v[50:51]
	v_cmp_class_f64_e64 s1, v[1:2], 0x1f8
	v_and_b32_e32 v1, 1, v20
	v_fma_f64 v[37:38], v[78:79], v[76:77], v[78:79]
	v_fma_f64 v[29:30], v[64:65], v[76:77], v[64:65]
	s_delay_alu instid0(VALU_DEP_3)
	v_cmp_eq_u32_e64 s2, 0, v1
	v_div_fmas_f64 v[25:26], v[25:26], v[31:32], v[70:71]
	v_fma_f64 v[27:28], v[74:75], s[4:5], v[27:28]
	v_add_f64 v[3:4], v[3:4], -v[5:6]
	v_fma_f64 v[9:10], v[35:36], v[33:34], v[9:10]
	v_add_f64 v[33:34], v[54:55], v[39:40]
	v_fma_f64 v[31:32], -v[37:38], v[37:38], v[52:53]
	v_div_fixup_f64 v[5:6], v[25:26], v[23:24], v[13:14]
	v_add_f64 v[7:8], v[7:8], -v[27:28]
	v_and_b32_e32 v23, 1, v19
	v_add_f64 v[9:10], v[62:63], v[9:10]
	s_delay_alu instid0(VALU_DEP_2)
	v_cmp_eq_u32_e32 vcc_lo, 0, v23
	v_cndmask_b32_e32 v3, v33, v3, vcc_lo
	v_fma_f64 v[13:14], v[31:32], v[29:30], v[37:38]
	v_mul_f64 v[5:6], v[11:12], v[5:6]
	v_lshlrev_b32_e32 v11, 30, v20
	v_xor_b32_e32 v8, 0x80000000, v8
	s_delay_alu instid0(VALU_DEP_2) | instskip(SKIP_1) | instid1(VALU_DEP_3)
	v_and_b32_e32 v1, 0x80000000, v11
	v_cndmask_b32_e64 v9, v7, v9, s2
	v_cndmask_b32_e64 v7, v8, v10, s2
	v_div_fixup_f64 v[11:12], v[15:16], v[17:18], v[21:22]
	s_delay_alu instid0(VALU_DEP_3) | instskip(NEXT) | instid1(VALU_DEP_3)
	v_cndmask_b32_e64 v9, 0, v9, s1
	v_xor_b32_e32 v10, v7, v1
	v_fma_f64 v[7:8], -v[13:14], v[13:14], v[52:53]
	v_cndmask_b32_e64 v1, 0, v3, s1
	v_lshlrev_b32_e32 v3, 30, v19
	s_delay_alu instid0(VALU_DEP_4) | instskip(NEXT) | instid1(VALU_DEP_2)
	v_cndmask_b32_e64 v10, 0x7ff80000, v10, s1
	v_xor_b32_e32 v2, v3, v2
	v_cndmask_b32_e32 v3, v34, v4, vcc_lo
	v_cmp_class_f64_e64 vcc_lo, v[52:53], 0x260
	s_delay_alu instid0(VALU_DEP_3) | instskip(NEXT) | instid1(VALU_DEP_1)
	v_and_b32_e32 v2, 0x80000000, v2
	v_xor_b32_e32 v2, v3, v2
	s_delay_alu instid0(VALU_DEP_1) | instskip(SKIP_2) | instid1(VALU_DEP_2)
	v_cndmask_b32_e64 v2, 0x7ff80000, v2, s1
	v_mul_f64 v[5:6], v[5:6], v[9:10]
	v_fma_f64 v[3:4], v[7:8], v[29:30], v[13:14]
	v_fma_f64 v[1:2], v[11:12], v[1:2], v[5:6]
	v_cndmask_b32_e64 v5, 0, 0xffffff80, s0
	s_mov_b32 s0, 0x33d43651
	s_mov_b32 s1, 0x3fe98845
	s_delay_alu instid0(VALU_DEP_1) | instskip(NEXT) | instid1(VALU_DEP_3)
	v_ldexp_f64 v[3:4], v[3:4], v5
	v_mul_f64 v[1:2], v[1:2], s[0:1]
	s_delay_alu instid0(VALU_DEP_2) | instskip(NEXT) | instid1(VALU_DEP_1)
	v_dual_cndmask_b32 v4, v4, v53 :: v_dual_cndmask_b32 v3, v3, v52
	v_div_scale_f64 v[5:6], null, v[3:4], v[3:4], v[1:2]
	s_delay_alu instid0(VALU_DEP_1) | instskip(SKIP_2) | instid1(VALU_DEP_1)
	v_rcp_f64_e32 v[7:8], v[5:6]
	s_waitcnt_depctr 0xfff
	v_fma_f64 v[9:10], -v[5:6], v[7:8], 1.0
	v_fma_f64 v[7:8], v[7:8], v[9:10], v[7:8]
	s_delay_alu instid0(VALU_DEP_1) | instskip(NEXT) | instid1(VALU_DEP_1)
	v_fma_f64 v[9:10], -v[5:6], v[7:8], 1.0
	v_fma_f64 v[7:8], v[7:8], v[9:10], v[7:8]
	v_div_scale_f64 v[9:10], vcc_lo, v[1:2], v[3:4], v[1:2]
	s_delay_alu instid0(VALU_DEP_1) | instskip(NEXT) | instid1(VALU_DEP_1)
	v_mul_f64 v[11:12], v[9:10], v[7:8]
	v_fma_f64 v[5:6], -v[5:6], v[11:12], v[9:10]
	s_delay_alu instid0(VALU_DEP_1) | instskip(NEXT) | instid1(VALU_DEP_1)
	v_div_fmas_f64 v[5:6], v[5:6], v[7:8], v[11:12]
	v_div_fixup_f64 v[62:63], v[5:6], v[3:4], v[1:2]
.LBB6_35:
	s_or_b32 exec_lo, exec_lo, s3
                                        ; implicit-def: $vgpr56_vgpr57
	s_delay_alu instid0(SALU_CYCLE_1)
	s_mov_b32 s0, exec_lo
	s_waitcnt vmcnt(0)
	v_cmpx_ge_f64_e32 0x40140000, v[41:42]
	s_xor_b32 s42, exec_lo, s0
	s_cbranch_execz .LBB6_41
; %bb.36:
	v_mov_b32_e32 v56, 0
	v_mov_b32_e32 v57, 0xfff00000
	s_mov_b32 s43, exec_lo
	v_cmpx_neq_f64_e32 0, v[41:42]
	s_cbranch_execz .LBB6_40
; %bb.37:
	v_mov_b32_e32 v56, 0
	v_mov_b32_e32 v57, 0x7ff80000
	s_mov_b32 s44, exec_lo
	v_cmpx_nge_f64_e32 0, v[41:42]
	s_cbranch_execz .LBB6_39
; %bb.38:
	v_mul_f64 v[1:2], v[41:42], v[41:42]
	s_mov_b32 s0, 0xa93f7ac2
	s_mov_b32 s1, 0x40829269
	;; [unrolled: 1-line block ×4, first 2 shown]
	v_mov_b32_e32 v46, v0
	v_mov_b32_e32 v0, v41
	s_mov_b32 s45, s15
	s_delay_alu instid0(VALU_DEP_3)
	v_fma_f64 v[3:4], v[1:2], 0, s[0:1]
	s_mov_b32 s0, 0xbe58ef7f
	s_mov_b32 s1, 0x410cc160
	s_delay_alu instid0(VALU_DEP_1) | instid1(SALU_CYCLE_1)
	v_fma_f64 v[3:4], v[1:2], v[3:4], s[0:1]
	s_mov_b32 s0, 0x62f9b6c5
	s_mov_b32 s1, 0x41d2d2be
	s_delay_alu instid0(SALU_CYCLE_1) | instskip(SKIP_2) | instid1(VALU_DEP_2)
	v_fma_f64 v[5:6], v[1:2], 0, s[0:1]
	s_mov_b32 s0, 0x58836521
	s_mov_b32 s1, 0xc262d72d
	v_fma_f64 v[3:4], v[1:2], v[3:4], s[2:3]
	s_mov_b32 s2, 0x906b7b83
	s_mov_b32 s3, 0x421178c3
	s_delay_alu instid0(VALU_DEP_2) | instskip(SKIP_2) | instid1(VALU_DEP_2)
	v_fma_f64 v[5:6], v[1:2], v[5:6], s[0:1]
	s_mov_b32 s0, 0xb0910fef
	s_mov_b32 s1, 0x42da0954
	v_fma_f64 v[3:4], v[1:2], v[3:4], s[2:3]
	s_mov_b32 s2, 0xfda99316
	s_mov_b32 s3, 0x428c3f5e
	s_delay_alu instid0(VALU_DEP_2) | instskip(SKIP_2) | instid1(VALU_DEP_2)
	;; [unrolled: 7-line block ×4, first 2 shown]
	v_fma_f64 v[5:6], v[1:2], v[5:6], s[0:1]
	s_mov_b32 s0, 0x5dde2b17
	s_mov_b32 s1, 0xc3a59e41
	v_fma_f64 v[3:4], v[1:2], v[3:4], s[2:3]
	s_mov_b32 s2, 0x90f6747f
	s_mov_b32 s3, 0x43cb90f1
	s_delay_alu instid0(VALU_DEP_2) | instskip(SKIP_3) | instid1(VALU_DEP_2)
	v_fma_f64 v[5:6], v[1:2], v[5:6], s[0:1]
	s_getpc_b64 s[0:1]
	s_add_u32 s0, s0, _Z17bessel_j1_forwardIdET_S0_@rel32@lo+4
	s_addc_u32 s1, s1, _Z17bessel_j1_forwardIdET_S0_@rel32@hi+12
	v_fma_f64 v[1:2], v[1:2], v[3:4], s[2:3]
	s_delay_alu instid0(VALU_DEP_1) | instskip(NEXT) | instid1(VALU_DEP_1)
	v_div_scale_f64 v[3:4], null, v[1:2], v[1:2], v[5:6]
	v_rcp_f64_e32 v[7:8], v[3:4]
	s_waitcnt_depctr 0xfff
	v_fma_f64 v[9:10], -v[3:4], v[7:8], 1.0
	s_delay_alu instid0(VALU_DEP_1) | instskip(NEXT) | instid1(VALU_DEP_1)
	v_fma_f64 v[7:8], v[7:8], v[9:10], v[7:8]
	v_fma_f64 v[9:10], -v[3:4], v[7:8], 1.0
	s_delay_alu instid0(VALU_DEP_1) | instskip(SKIP_1) | instid1(VALU_DEP_1)
	v_fma_f64 v[7:8], v[7:8], v[9:10], v[7:8]
	v_div_scale_f64 v[9:10], vcc_lo, v[5:6], v[1:2], v[5:6]
	v_mul_f64 v[11:12], v[9:10], v[7:8]
	s_delay_alu instid0(VALU_DEP_1) | instskip(NEXT) | instid1(VALU_DEP_1)
	v_fma_f64 v[3:4], -v[3:4], v[11:12], v[9:10]
	v_div_fmas_f64 v[3:4], v[3:4], v[7:8], v[11:12]
	s_delay_alu instid0(VALU_DEP_1)
	v_div_fixup_f64 v[56:57], v[3:4], v[1:2], v[5:6]
	v_mov_b32_e32 v1, v42
	s_swappc_b64 s[30:31], s[0:1]
	v_frexp_mant_f64_e32 v[4:5], v[41:42]
	s_mov_b32 s1, 0x3fe55555
	s_mov_b32 s0, 0x55555555
	v_mov_b32_e32 v6, 0
	s_mov_b32 s2, 0x6b47b09a
	s_mov_b32 s4, 0xbf559e2b
	;; [unrolled: 1-line block ×4, first 2 shown]
	v_dual_mov_b32 v2, v0 :: v_dual_mov_b32 v3, v1
	v_frexp_exp_i32_f64_e32 v1, v[41:42]
	v_div_scale_f64 v[20:21], null, v[41:42], v[41:42], -1.0
	v_mov_b32_e32 v0, v46
	s_mov_b32 s15, s45
	v_cmp_gt_f64_e32 vcc_lo, s[0:1], v[4:5]
	s_mov_b32 s0, 0x55555780
	s_delay_alu instid0(VALU_DEP_3) | instskip(SKIP_2) | instid1(VALU_DEP_2)
	v_rcp_f64_e32 v[24:25], v[20:21]
	v_cndmask_b32_e64 v7, 0x3ff00000, 2.0, vcc_lo
	v_subrev_co_ci_u32_e32 v1, vcc_lo, 0, v1, vcc_lo
	v_mul_f64 v[4:5], v[4:5], v[6:7]
	s_delay_alu instid0(VALU_DEP_1) | instskip(SKIP_1) | instid1(VALU_DEP_2)
	v_add_f64 v[6:7], v[4:5], 1.0
	v_add_f64 v[12:13], v[4:5], -1.0
	v_rcp_f64_e32 v[8:9], v[6:7]
	v_add_f64 v[14:15], v[6:7], -1.0
	s_delay_alu instid0(VALU_DEP_1) | instskip(SKIP_2) | instid1(VALU_DEP_1)
	v_add_f64 v[4:5], v[4:5], -v[14:15]
	s_waitcnt_depctr 0xfff
	v_fma_f64 v[10:11], -v[6:7], v[8:9], 1.0
	v_fma_f64 v[8:9], v[10:11], v[8:9], v[8:9]
	s_delay_alu instid0(VALU_DEP_1) | instskip(NEXT) | instid1(VALU_DEP_1)
	v_fma_f64 v[10:11], -v[6:7], v[8:9], 1.0
	v_fma_f64 v[8:9], v[10:11], v[8:9], v[8:9]
	s_delay_alu instid0(VALU_DEP_1) | instskip(NEXT) | instid1(VALU_DEP_1)
	v_mul_f64 v[10:11], v[12:13], v[8:9]
	v_mul_f64 v[16:17], v[6:7], v[10:11]
	s_delay_alu instid0(VALU_DEP_1) | instskip(NEXT) | instid1(VALU_DEP_1)
	v_fma_f64 v[6:7], v[10:11], v[6:7], -v[16:17]
	v_fma_f64 v[4:5], v[10:11], v[4:5], v[6:7]
	s_delay_alu instid0(VALU_DEP_1) | instskip(NEXT) | instid1(VALU_DEP_1)
	v_add_f64 v[6:7], v[16:17], v[4:5]
	v_add_f64 v[14:15], v[12:13], -v[6:7]
	v_add_f64 v[16:17], v[6:7], -v[16:17]
	s_delay_alu instid0(VALU_DEP_2) | instskip(NEXT) | instid1(VALU_DEP_2)
	v_add_f64 v[12:13], v[12:13], -v[14:15]
	v_add_f64 v[4:5], v[16:17], -v[4:5]
	s_delay_alu instid0(VALU_DEP_2) | instskip(NEXT) | instid1(VALU_DEP_1)
	v_add_f64 v[6:7], v[12:13], -v[6:7]
	v_add_f64 v[4:5], v[4:5], v[6:7]
	s_delay_alu instid0(VALU_DEP_1) | instskip(NEXT) | instid1(VALU_DEP_1)
	v_add_f64 v[4:5], v[14:15], v[4:5]
	v_mul_f64 v[4:5], v[8:9], v[4:5]
	s_delay_alu instid0(VALU_DEP_1) | instskip(NEXT) | instid1(VALU_DEP_1)
	v_add_f64 v[6:7], v[10:11], v[4:5]
	v_mul_f64 v[8:9], v[6:7], v[6:7]
	s_delay_alu instid0(VALU_DEP_1) | instskip(SKIP_3) | instid1(VALU_DEP_2)
	v_fma_f64 v[12:13], v[8:9], s[4:5], s[2:3]
	s_mov_b32 s2, 0xd7f4df2e
	s_mov_b32 s3, 0x3fc7474d
	v_mul_f64 v[14:15], v[6:7], v[8:9]
	v_fma_f64 v[12:13], v[8:9], v[12:13], s[2:3]
	s_mov_b32 s2, 0x16291751
	s_mov_b32 s3, 0x3fcc71c0
	s_delay_alu instid0(VALU_DEP_1) | instid1(SALU_CYCLE_1)
	v_fma_f64 v[12:13], v[8:9], v[12:13], s[2:3]
	s_mov_b32 s2, 0x9b27acf1
	s_mov_b32 s3, 0x3fd24924
	s_delay_alu instid0(VALU_DEP_1) | instid1(SALU_CYCLE_1)
	;; [unrolled: 4-line block ×3, first 2 shown]
	v_fma_f64 v[12:13], v[8:9], v[12:13], s[2:3]
	s_delay_alu instid0(VALU_DEP_1) | instskip(SKIP_4) | instid1(VALU_DEP_3)
	v_fma_f64 v[8:9], v[8:9], v[12:13], s[0:1]
	v_ldexp_f64 v[12:13], v[6:7], 1
	v_add_f64 v[6:7], v[6:7], -v[10:11]
	s_mov_b32 s0, 0xfefa39ef
	s_mov_b32 s1, 0x3fe62e42
	v_mul_f64 v[8:9], v[14:15], v[8:9]
	v_cvt_f64_i32_e32 v[14:15], v1
	s_delay_alu instid0(VALU_DEP_3) | instskip(NEXT) | instid1(VALU_DEP_3)
	v_add_f64 v[4:5], v[4:5], -v[6:7]
	v_add_f64 v[10:11], v[12:13], v[8:9]
	s_delay_alu instid0(VALU_DEP_3) | instskip(NEXT) | instid1(VALU_DEP_3)
	v_mul_f64 v[16:17], v[14:15], s[0:1]
	v_ldexp_f64 v[4:5], v[4:5], 1
	s_delay_alu instid0(VALU_DEP_3) | instskip(NEXT) | instid1(VALU_DEP_3)
	v_add_f64 v[6:7], v[10:11], -v[12:13]
	v_fma_f64 v[12:13], v[14:15], s[0:1], -v[16:17]
	s_mov_b32 s0, 0x3b39803f
	s_mov_b32 s1, 0x3c7abc9e
	s_delay_alu instid0(VALU_DEP_2) | instskip(NEXT) | instid1(VALU_DEP_2)
	v_add_f64 v[6:7], v[8:9], -v[6:7]
	v_fma_f64 v[8:9], v[14:15], s[0:1], v[12:13]
	s_mov_b32 s0, 0x6dc9c883
	s_mov_b32 s1, 0x3fe45f30
	s_delay_alu instid0(VALU_DEP_2) | instskip(NEXT) | instid1(VALU_DEP_2)
	v_add_f64 v[4:5], v[4:5], v[6:7]
	v_add_f64 v[6:7], v[16:17], v[8:9]
	s_delay_alu instid0(VALU_DEP_2) | instskip(NEXT) | instid1(VALU_DEP_2)
	v_add_f64 v[12:13], v[10:11], v[4:5]
	v_add_f64 v[16:17], v[6:7], -v[16:17]
	s_delay_alu instid0(VALU_DEP_2) | instskip(SKIP_1) | instid1(VALU_DEP_3)
	v_add_f64 v[14:15], v[6:7], v[12:13]
	v_add_f64 v[10:11], v[12:13], -v[10:11]
	v_add_f64 v[8:9], v[8:9], -v[16:17]
	s_delay_alu instid0(VALU_DEP_3) | instskip(NEXT) | instid1(VALU_DEP_3)
	v_add_f64 v[18:19], v[14:15], -v[6:7]
	v_add_f64 v[4:5], v[4:5], -v[10:11]
	s_delay_alu instid0(VALU_DEP_2) | instskip(SKIP_2) | instid1(VALU_DEP_4)
	v_add_f64 v[22:23], v[14:15], -v[18:19]
	v_add_f64 v[10:11], v[12:13], -v[18:19]
	v_fma_f64 v[12:13], -v[20:21], v[24:25], 1.0
	v_add_f64 v[16:17], v[8:9], v[4:5]
	s_delay_alu instid0(VALU_DEP_4) | instskip(NEXT) | instid1(VALU_DEP_1)
	v_add_f64 v[6:7], v[6:7], -v[22:23]
	v_add_f64 v[6:7], v[10:11], v[6:7]
	s_delay_alu instid0(VALU_DEP_4) | instskip(NEXT) | instid1(VALU_DEP_4)
	v_fma_f64 v[10:11], v[24:25], v[12:13], v[24:25]
	v_add_f64 v[12:13], v[16:17], -v[8:9]
	v_div_scale_f64 v[24:25], vcc_lo, -1.0, v[41:42], -1.0
	s_delay_alu instid0(VALU_DEP_4) | instskip(NEXT) | instid1(VALU_DEP_4)
	v_add_f64 v[6:7], v[16:17], v[6:7]
	v_fma_f64 v[18:19], -v[20:21], v[10:11], 1.0
	s_delay_alu instid0(VALU_DEP_4) | instskip(SKIP_1) | instid1(VALU_DEP_4)
	v_add_f64 v[16:17], v[16:17], -v[12:13]
	v_add_f64 v[4:5], v[4:5], -v[12:13]
	v_add_f64 v[22:23], v[14:15], v[6:7]
	s_delay_alu instid0(VALU_DEP_4) | instskip(NEXT) | instid1(VALU_DEP_4)
	v_fma_f64 v[10:11], v[10:11], v[18:19], v[10:11]
	v_add_f64 v[8:9], v[8:9], -v[16:17]
	s_delay_alu instid0(VALU_DEP_3) | instskip(NEXT) | instid1(VALU_DEP_3)
	v_add_f64 v[12:13], v[22:23], -v[14:15]
	v_mul_f64 v[14:15], v[24:25], v[10:11]
	s_delay_alu instid0(VALU_DEP_3) | instskip(NEXT) | instid1(VALU_DEP_3)
	v_add_f64 v[4:5], v[4:5], v[8:9]
	v_add_f64 v[6:7], v[6:7], -v[12:13]
	s_delay_alu instid0(VALU_DEP_3) | instskip(NEXT) | instid1(VALU_DEP_2)
	v_fma_f64 v[8:9], -v[20:21], v[14:15], v[24:25]
	v_add_f64 v[4:5], v[4:5], v[6:7]
	s_delay_alu instid0(VALU_DEP_2) | instskip(NEXT) | instid1(VALU_DEP_2)
	v_div_fmas_f64 v[6:7], v[8:9], v[10:11], v[14:15]
	v_add_f64 v[4:5], v[22:23], v[4:5]
	s_delay_alu instid0(VALU_DEP_2) | instskip(NEXT) | instid1(VALU_DEP_1)
	v_div_fixup_f64 v[6:7], v[6:7], v[41:42], -1.0
	v_fma_f64 v[1:2], v[4:5], v[2:3], v[6:7]
	s_delay_alu instid0(VALU_DEP_1) | instskip(NEXT) | instid1(VALU_DEP_1)
	v_mul_f64 v[1:2], v[1:2], s[0:1]
	v_fma_f64 v[56:57], v[41:42], v[56:57], v[1:2]
.LBB6_39:
	s_or_b32 exec_lo, exec_lo, s44
.LBB6_40:
	s_delay_alu instid0(SALU_CYCLE_1)
	s_or_b32 exec_lo, exec_lo, s43
.LBB6_41:
	s_and_not1_saveexec_b32 s3, s42
	s_cbranch_execz .LBB6_51
; %bb.42:
	s_mov_b32 s0, 0x7f3321d2
	s_mov_b32 s1, 0xc002d97c
                                        ; implicit-def: $vgpr19
                                        ; implicit-def: $vgpr3_vgpr4
                                        ; implicit-def: $vgpr5_vgpr6
	s_delay_alu instid0(SALU_CYCLE_1) | instskip(NEXT) | instid1(VALU_DEP_1)
	v_add_f64 v[1:2], v[41:42], s[0:1]
	v_cmp_ngt_f64_e64 s1, 0x41d00000, |v[1:2]|
	v_trig_preop_f64 v[15:16], |v[1:2]|, 0
	v_trig_preop_f64 v[13:14], |v[1:2]|, 1
	v_ldexp_f64 v[17:18], |v[1:2]|, 0xffffff80
	v_trig_preop_f64 v[11:12], |v[1:2]|, 2
	v_and_b32_e32 v21, 0x7fffffff, v2
	s_and_saveexec_b32 s0, s1
	s_delay_alu instid0(SALU_CYCLE_1)
	s_xor_b32 s2, exec_lo, s0
	s_cbranch_execz .LBB6_44
; %bb.43:
	v_cmp_le_f64_e64 vcc_lo, 0x7b000000, |v[1:2]|
	v_mov_b32_e32 v32, 0
	s_mov_b32 s4, 0x54442d18
	s_mov_b32 s5, 0x3ff921fb
	;; [unrolled: 1-line block ×4, first 2 shown]
	v_cndmask_b32_e32 v4, v21, v18, vcc_lo
	v_cndmask_b32_e32 v3, v1, v17, vcc_lo
	s_delay_alu instid0(VALU_DEP_1) | instskip(SKIP_1) | instid1(VALU_DEP_2)
	v_mul_f64 v[5:6], v[15:16], v[3:4]
	v_mul_f64 v[7:8], v[13:14], v[3:4]
	v_fma_f64 v[9:10], v[15:16], v[3:4], -v[5:6]
	s_delay_alu instid0(VALU_DEP_2) | instskip(NEXT) | instid1(VALU_DEP_2)
	v_fma_f64 v[30:31], v[13:14], v[3:4], -v[7:8]
	v_add_f64 v[19:20], v[7:8], v[9:10]
	s_delay_alu instid0(VALU_DEP_1) | instskip(SKIP_1) | instid1(VALU_DEP_2)
	v_add_f64 v[22:23], v[19:20], -v[7:8]
	v_add_f64 v[26:27], v[5:6], v[19:20]
	v_add_f64 v[24:25], v[19:20], -v[22:23]
	v_add_f64 v[9:10], v[9:10], -v[22:23]
	s_delay_alu instid0(VALU_DEP_3) | instskip(SKIP_1) | instid1(VALU_DEP_4)
	v_ldexp_f64 v[22:23], v[26:27], -2
	v_add_f64 v[5:6], v[26:27], -v[5:6]
	v_add_f64 v[7:8], v[7:8], -v[24:25]
	s_delay_alu instid0(VALU_DEP_3) | instskip(NEXT) | instid1(VALU_DEP_3)
	v_cmp_neq_f64_e64 vcc_lo, 0x7ff00000, |v[22:23]|
	v_add_f64 v[5:6], v[19:20], -v[5:6]
	s_delay_alu instid0(VALU_DEP_3) | instskip(SKIP_1) | instid1(VALU_DEP_1)
	v_add_f64 v[7:8], v[9:10], v[7:8]
	v_fract_f64_e32 v[9:10], v[22:23]
	v_dual_cndmask_b32 v10, 0, v10 :: v_dual_cndmask_b32 v9, 0, v9
	v_mul_f64 v[28:29], v[11:12], v[3:4]
	s_delay_alu instid0(VALU_DEP_2) | instskip(NEXT) | instid1(VALU_DEP_2)
	v_ldexp_f64 v[9:10], v[9:10], 2
	v_add_f64 v[24:25], v[28:29], v[30:31]
	v_fma_f64 v[3:4], v[11:12], v[3:4], -v[28:29]
	s_delay_alu instid0(VALU_DEP_2) | instskip(NEXT) | instid1(VALU_DEP_1)
	v_add_f64 v[19:20], v[24:25], v[7:8]
	v_add_f64 v[22:23], v[5:6], v[19:20]
	s_delay_alu instid0(VALU_DEP_1) | instskip(SKIP_1) | instid1(VALU_DEP_2)
	v_add_f64 v[26:27], v[22:23], v[9:10]
	v_add_f64 v[5:6], v[22:23], -v[5:6]
	v_cmp_gt_f64_e32 vcc_lo, 0, v[26:27]
	v_add_f64 v[26:27], v[24:25], -v[28:29]
	s_delay_alu instid0(VALU_DEP_3) | instskip(SKIP_1) | instid1(VALU_DEP_3)
	v_add_f64 v[5:6], v[19:20], -v[5:6]
	v_cndmask_b32_e64 v33, 0, 0x40100000, vcc_lo
	v_add_f64 v[37:38], v[24:25], -v[26:27]
	v_add_f64 v[26:27], v[30:31], -v[26:27]
	s_delay_alu instid0(VALU_DEP_3) | instskip(SKIP_1) | instid1(VALU_DEP_4)
	v_add_f64 v[9:10], v[9:10], v[32:33]
	v_add_f64 v[33:34], v[19:20], -v[24:25]
	v_add_f64 v[30:31], v[28:29], -v[37:38]
	s_delay_alu instid0(VALU_DEP_3) | instskip(NEXT) | instid1(VALU_DEP_3)
	v_add_f64 v[35:36], v[22:23], v[9:10]
	v_add_f64 v[39:40], v[19:20], -v[33:34]
	v_add_f64 v[7:8], v[7:8], -v[33:34]
	s_delay_alu instid0(VALU_DEP_4) | instskip(NEXT) | instid1(VALU_DEP_4)
	v_add_f64 v[26:27], v[26:27], v[30:31]
	v_cvt_i32_f64_e32 v35, v[35:36]
	s_delay_alu instid0(VALU_DEP_4) | instskip(NEXT) | instid1(VALU_DEP_2)
	v_add_f64 v[24:25], v[24:25], -v[39:40]
	v_cvt_f64_i32_e32 v[33:34], v35
	s_delay_alu instid0(VALU_DEP_2) | instskip(NEXT) | instid1(VALU_DEP_2)
	v_add_f64 v[7:8], v[7:8], v[24:25]
	v_add_f64 v[9:10], v[9:10], -v[33:34]
	s_delay_alu instid0(VALU_DEP_2) | instskip(NEXT) | instid1(VALU_DEP_2)
	v_add_f64 v[7:8], v[26:27], v[7:8]
	v_add_f64 v[24:25], v[22:23], v[9:10]
	s_delay_alu instid0(VALU_DEP_2) | instskip(NEXT) | instid1(VALU_DEP_2)
	v_add_f64 v[3:4], v[3:4], v[7:8]
	v_add_f64 v[7:8], v[24:25], -v[9:10]
	v_cmp_le_f64_e32 vcc_lo, 0.5, v[24:25]
	s_delay_alu instid0(VALU_DEP_3) | instskip(NEXT) | instid1(VALU_DEP_3)
	v_add_f64 v[3:4], v[5:6], v[3:4]
	v_add_f64 v[5:6], v[22:23], -v[7:8]
	v_cndmask_b32_e64 v33, 0, 0x3ff00000, vcc_lo
	v_add_co_ci_u32_e64 v19, s0, 0, v35, vcc_lo
	s_delay_alu instid0(VALU_DEP_3) | instskip(NEXT) | instid1(VALU_DEP_3)
	v_add_f64 v[3:4], v[3:4], v[5:6]
	v_add_f64 v[5:6], v[24:25], -v[32:33]
	s_delay_alu instid0(VALU_DEP_1) | instskip(NEXT) | instid1(VALU_DEP_1)
	v_add_f64 v[7:8], v[5:6], v[3:4]
	v_mul_f64 v[9:10], v[7:8], s[4:5]
	v_add_f64 v[5:6], v[7:8], -v[5:6]
	s_delay_alu instid0(VALU_DEP_2) | instskip(NEXT) | instid1(VALU_DEP_2)
	v_fma_f64 v[22:23], v[7:8], s[4:5], -v[9:10]
	v_add_f64 v[3:4], v[3:4], -v[5:6]
	s_delay_alu instid0(VALU_DEP_2) | instskip(NEXT) | instid1(VALU_DEP_1)
	v_fma_f64 v[5:6], v[7:8], s[6:7], v[22:23]
	v_fma_f64 v[5:6], v[3:4], s[4:5], v[5:6]
	s_delay_alu instid0(VALU_DEP_1) | instskip(NEXT) | instid1(VALU_DEP_1)
	v_add_f64 v[3:4], v[9:10], v[5:6]
	v_add_f64 v[7:8], v[3:4], -v[9:10]
	s_delay_alu instid0(VALU_DEP_1)
	v_add_f64 v[5:6], v[5:6], -v[7:8]
	s_and_not1_saveexec_b32 s0, s2
	s_cbranch_execz .LBB6_46
	s_branch .LBB6_45
.LBB6_44:
	s_and_not1_saveexec_b32 s0, s2
	s_cbranch_execz .LBB6_46
.LBB6_45:
	s_mov_b32 s4, 0x6dc9c883
	s_mov_b32 s5, 0x3fe45f30
	;; [unrolled: 1-line block ×3, first 2 shown]
	v_mul_f64 v[3:4], |v[1:2]|, s[4:5]
	s_mov_b32 s4, 0x54442d18
	s_mov_b32 s5, 0xbff921fb
	;; [unrolled: 1-line block ×3, first 2 shown]
	s_delay_alu instid0(VALU_DEP_1) | instskip(NEXT) | instid1(VALU_DEP_1)
	v_rndne_f64_e32 v[7:8], v[3:4]
	v_fma_f64 v[3:4], v[7:8], s[4:5], |v[1:2]|
	v_mul_f64 v[5:6], v[7:8], s[6:7]
	s_mov_b32 s4, 0x252049c0
	s_mov_b32 s5, 0xb97b839a
	s_delay_alu instid0(VALU_DEP_2) | instskip(NEXT) | instid1(VALU_DEP_2)
	v_fma_f64 v[19:20], v[7:8], s[6:7], v[3:4]
	v_add_f64 v[9:10], v[3:4], v[5:6]
	s_mov_b32 s7, 0x3c91a626
	s_delay_alu instid0(VALU_DEP_1) | instskip(NEXT) | instid1(VALU_DEP_3)
	v_add_f64 v[3:4], v[3:4], -v[9:10]
	v_add_f64 v[9:10], v[9:10], -v[19:20]
	s_delay_alu instid0(VALU_DEP_2) | instskip(SKIP_1) | instid1(VALU_DEP_2)
	v_add_f64 v[3:4], v[3:4], v[5:6]
	v_fma_f64 v[5:6], v[7:8], s[6:7], v[5:6]
	v_add_f64 v[3:4], v[9:10], v[3:4]
	s_delay_alu instid0(VALU_DEP_1) | instskip(NEXT) | instid1(VALU_DEP_1)
	v_add_f64 v[3:4], v[3:4], -v[5:6]
	v_fma_f64 v[5:6], v[7:8], s[4:5], v[3:4]
	s_delay_alu instid0(VALU_DEP_1) | instskip(NEXT) | instid1(VALU_DEP_1)
	v_add_f64 v[3:4], v[19:20], v[5:6]
	v_add_f64 v[9:10], v[3:4], -v[19:20]
	v_cvt_i32_f64_e32 v19, v[7:8]
	s_delay_alu instid0(VALU_DEP_2)
	v_add_f64 v[5:6], v[5:6], -v[9:10]
.LBB6_46:
	s_or_b32 exec_lo, exec_lo, s0
                                        ; implicit-def: $vgpr20
                                        ; implicit-def: $vgpr7_vgpr8
                                        ; implicit-def: $vgpr9_vgpr10
	s_and_saveexec_b32 s0, s1
	s_delay_alu instid0(SALU_CYCLE_1)
	s_xor_b32 s1, exec_lo, s0
	s_cbranch_execz .LBB6_48
; %bb.47:
	v_cmp_le_f64_e64 vcc_lo, 0x7b000000, |v[1:2]|
	v_mov_b32_e32 v30, 0
	s_mov_b32 s4, 0x54442d18
	s_mov_b32 s5, 0x3ff921fb
	;; [unrolled: 1-line block ×4, first 2 shown]
	v_cndmask_b32_e32 v8, v21, v18, vcc_lo
	v_cndmask_b32_e32 v7, v1, v17, vcc_lo
	s_delay_alu instid0(VALU_DEP_1) | instskip(SKIP_1) | instid1(VALU_DEP_2)
	v_mul_f64 v[9:10], v[15:16], v[7:8]
	v_mul_f64 v[17:18], v[13:14], v[7:8]
	v_fma_f64 v[15:16], v[15:16], v[7:8], -v[9:10]
	s_delay_alu instid0(VALU_DEP_2) | instskip(NEXT) | instid1(VALU_DEP_2)
	v_fma_f64 v[13:14], v[13:14], v[7:8], -v[17:18]
	v_add_f64 v[20:21], v[17:18], v[15:16]
	s_delay_alu instid0(VALU_DEP_1) | instskip(SKIP_1) | instid1(VALU_DEP_2)
	v_add_f64 v[22:23], v[20:21], -v[17:18]
	v_add_f64 v[26:27], v[9:10], v[20:21]
	v_add_f64 v[24:25], v[20:21], -v[22:23]
	v_add_f64 v[15:16], v[15:16], -v[22:23]
	s_delay_alu instid0(VALU_DEP_3) | instskip(SKIP_1) | instid1(VALU_DEP_4)
	v_ldexp_f64 v[22:23], v[26:27], -2
	v_add_f64 v[9:10], v[26:27], -v[9:10]
	v_add_f64 v[17:18], v[17:18], -v[24:25]
	s_delay_alu instid0(VALU_DEP_3) | instskip(NEXT) | instid1(VALU_DEP_3)
	v_cmp_neq_f64_e64 vcc_lo, 0x7ff00000, |v[22:23]|
	v_add_f64 v[9:10], v[20:21], -v[9:10]
	s_delay_alu instid0(VALU_DEP_3) | instskip(SKIP_1) | instid1(VALU_DEP_1)
	v_add_f64 v[15:16], v[15:16], v[17:18]
	v_fract_f64_e32 v[17:18], v[22:23]
	v_dual_cndmask_b32 v18, 0, v18 :: v_dual_cndmask_b32 v17, 0, v17
	v_mul_f64 v[28:29], v[11:12], v[7:8]
	s_delay_alu instid0(VALU_DEP_2) | instskip(NEXT) | instid1(VALU_DEP_2)
	v_ldexp_f64 v[17:18], v[17:18], 2
	v_add_f64 v[24:25], v[28:29], v[13:14]
	v_fma_f64 v[7:8], v[11:12], v[7:8], -v[28:29]
	s_delay_alu instid0(VALU_DEP_2) | instskip(NEXT) | instid1(VALU_DEP_1)
	v_add_f64 v[20:21], v[24:25], v[15:16]
	v_add_f64 v[22:23], v[9:10], v[20:21]
	s_delay_alu instid0(VALU_DEP_1) | instskip(SKIP_1) | instid1(VALU_DEP_2)
	v_add_f64 v[26:27], v[22:23], v[17:18]
	v_add_f64 v[9:10], v[22:23], -v[9:10]
	v_cmp_gt_f64_e32 vcc_lo, 0, v[26:27]
	v_add_f64 v[26:27], v[24:25], -v[28:29]
	s_delay_alu instid0(VALU_DEP_3) | instskip(SKIP_1) | instid1(VALU_DEP_3)
	v_add_f64 v[9:10], v[20:21], -v[9:10]
	v_cndmask_b32_e64 v31, 0, 0x40100000, vcc_lo
	v_add_f64 v[35:36], v[24:25], -v[26:27]
	v_add_f64 v[13:14], v[13:14], -v[26:27]
	s_delay_alu instid0(VALU_DEP_3) | instskip(SKIP_1) | instid1(VALU_DEP_4)
	v_add_f64 v[17:18], v[17:18], v[30:31]
	v_add_f64 v[31:32], v[20:21], -v[24:25]
	v_add_f64 v[26:27], v[28:29], -v[35:36]
	s_delay_alu instid0(VALU_DEP_3) | instskip(NEXT) | instid1(VALU_DEP_3)
	v_add_f64 v[33:34], v[22:23], v[17:18]
	v_add_f64 v[37:38], v[20:21], -v[31:32]
	v_add_f64 v[15:16], v[15:16], -v[31:32]
	s_delay_alu instid0(VALU_DEP_4) | instskip(NEXT) | instid1(VALU_DEP_4)
	v_add_f64 v[13:14], v[13:14], v[26:27]
	v_cvt_i32_f64_e32 v33, v[33:34]
	s_delay_alu instid0(VALU_DEP_4) | instskip(NEXT) | instid1(VALU_DEP_2)
	v_add_f64 v[24:25], v[24:25], -v[37:38]
	v_cvt_f64_i32_e32 v[31:32], v33
	s_delay_alu instid0(VALU_DEP_2) | instskip(NEXT) | instid1(VALU_DEP_2)
	v_add_f64 v[15:16], v[15:16], v[24:25]
	v_add_f64 v[17:18], v[17:18], -v[31:32]
	s_delay_alu instid0(VALU_DEP_2) | instskip(NEXT) | instid1(VALU_DEP_2)
	v_add_f64 v[11:12], v[13:14], v[15:16]
	v_add_f64 v[13:14], v[22:23], v[17:18]
	s_delay_alu instid0(VALU_DEP_2) | instskip(NEXT) | instid1(VALU_DEP_2)
	v_add_f64 v[7:8], v[7:8], v[11:12]
	v_add_f64 v[11:12], v[13:14], -v[17:18]
	v_cmp_le_f64_e32 vcc_lo, 0.5, v[13:14]
	s_delay_alu instid0(VALU_DEP_3) | instskip(NEXT) | instid1(VALU_DEP_3)
	v_add_f64 v[7:8], v[9:10], v[7:8]
	v_add_f64 v[9:10], v[22:23], -v[11:12]
	v_cndmask_b32_e64 v31, 0, 0x3ff00000, vcc_lo
	v_add_co_ci_u32_e64 v20, s0, 0, v33, vcc_lo
	s_delay_alu instid0(VALU_DEP_3) | instskip(NEXT) | instid1(VALU_DEP_3)
	v_add_f64 v[7:8], v[7:8], v[9:10]
	v_add_f64 v[9:10], v[13:14], -v[30:31]
	s_delay_alu instid0(VALU_DEP_1) | instskip(NEXT) | instid1(VALU_DEP_1)
	v_add_f64 v[11:12], v[9:10], v[7:8]
	v_mul_f64 v[13:14], v[11:12], s[4:5]
	v_add_f64 v[9:10], v[11:12], -v[9:10]
	s_delay_alu instid0(VALU_DEP_2) | instskip(NEXT) | instid1(VALU_DEP_2)
	v_fma_f64 v[15:16], v[11:12], s[4:5], -v[13:14]
	v_add_f64 v[7:8], v[7:8], -v[9:10]
	s_delay_alu instid0(VALU_DEP_2) | instskip(NEXT) | instid1(VALU_DEP_1)
	v_fma_f64 v[9:10], v[11:12], s[6:7], v[15:16]
	v_fma_f64 v[9:10], v[7:8], s[4:5], v[9:10]
	s_delay_alu instid0(VALU_DEP_1) | instskip(NEXT) | instid1(VALU_DEP_1)
	v_add_f64 v[7:8], v[13:14], v[9:10]
	v_add_f64 v[11:12], v[7:8], -v[13:14]
	s_delay_alu instid0(VALU_DEP_1)
	v_add_f64 v[9:10], v[9:10], -v[11:12]
	s_and_not1_saveexec_b32 s0, s1
	s_cbranch_execnz .LBB6_49
	s_branch .LBB6_50
.LBB6_48:
	s_and_not1_saveexec_b32 s0, s1
	s_cbranch_execz .LBB6_50
.LBB6_49:
	s_mov_b32 s4, 0x6dc9c883
	s_mov_b32 s5, 0x3fe45f30
	;; [unrolled: 1-line block ×3, first 2 shown]
	v_mul_f64 v[7:8], |v[1:2]|, s[4:5]
	s_mov_b32 s4, 0x54442d18
	s_mov_b32 s5, 0xbff921fb
	;; [unrolled: 1-line block ×3, first 2 shown]
	s_delay_alu instid0(VALU_DEP_1) | instskip(NEXT) | instid1(VALU_DEP_1)
	v_rndne_f64_e32 v[11:12], v[7:8]
	v_fma_f64 v[7:8], v[11:12], s[4:5], |v[1:2]|
	v_mul_f64 v[9:10], v[11:12], s[6:7]
	s_mov_b32 s4, 0x252049c0
	s_mov_b32 s5, 0xb97b839a
	v_cvt_i32_f64_e32 v20, v[11:12]
	s_delay_alu instid0(VALU_DEP_3) | instskip(NEXT) | instid1(VALU_DEP_3)
	v_fma_f64 v[15:16], v[11:12], s[6:7], v[7:8]
	v_add_f64 v[13:14], v[7:8], v[9:10]
	s_mov_b32 s7, 0x3c91a626
	s_delay_alu instid0(VALU_DEP_1) | instskip(NEXT) | instid1(VALU_DEP_3)
	v_add_f64 v[7:8], v[7:8], -v[13:14]
	v_add_f64 v[13:14], v[13:14], -v[15:16]
	s_delay_alu instid0(VALU_DEP_2) | instskip(SKIP_1) | instid1(VALU_DEP_2)
	v_add_f64 v[7:8], v[7:8], v[9:10]
	v_fma_f64 v[9:10], v[11:12], s[6:7], v[9:10]
	v_add_f64 v[7:8], v[13:14], v[7:8]
	s_delay_alu instid0(VALU_DEP_1) | instskip(NEXT) | instid1(VALU_DEP_1)
	v_add_f64 v[7:8], v[7:8], -v[9:10]
	v_fma_f64 v[9:10], v[11:12], s[4:5], v[7:8]
	s_delay_alu instid0(VALU_DEP_1) | instskip(NEXT) | instid1(VALU_DEP_1)
	v_add_f64 v[7:8], v[15:16], v[9:10]
	v_add_f64 v[13:14], v[7:8], -v[15:16]
	s_delay_alu instid0(VALU_DEP_1)
	v_add_f64 v[9:10], v[9:10], -v[13:14]
.LBB6_50:
	s_or_b32 exec_lo, exec_lo, s0
	v_div_scale_f64 v[11:12], null, v[41:42], v[41:42], 0x40140000
	v_div_scale_f64 v[17:18], vcc_lo, 0x40140000, v[41:42], 0x40140000
	s_mov_b32 s0, 0x6b70ba40
	s_mov_b32 s1, 0x3faa27fa
	;; [unrolled: 1-line block ×6, first 2 shown]
	v_mul_f64 v[27:28], v[3:4], v[3:4]
	v_mul_f64 v[33:34], v[7:8], v[7:8]
	s_mov_b32 s8, 0x796cde01
	s_mov_b32 s9, 0x3ec71de3
	v_mul_f64 v[66:67], v[5:6], 0.5
	v_rcp_f64_e32 v[13:14], v[11:12]
	s_delay_alu instid0(VALU_DEP_3) | instskip(SKIP_1) | instid1(VALU_DEP_4)
	v_mul_f64 v[50:51], v[27:28], 0.5
	v_mul_f64 v[68:69], v[3:4], -v[27:28]
	v_mul_f64 v[74:75], v[7:8], -v[33:34]
	s_waitcnt_depctr 0xfff
	v_fma_f64 v[15:16], -v[11:12], v[13:14], 1.0
	s_delay_alu instid0(VALU_DEP_1) | instskip(NEXT) | instid1(VALU_DEP_1)
	v_fma_f64 v[13:14], v[13:14], v[15:16], v[13:14]
	v_fma_f64 v[15:16], -v[11:12], v[13:14], 1.0
	s_delay_alu instid0(VALU_DEP_1) | instskip(NEXT) | instid1(VALU_DEP_1)
	v_fma_f64 v[13:14], v[13:14], v[15:16], v[13:14]
	v_mul_f64 v[15:16], v[17:18], v[13:14]
	s_delay_alu instid0(VALU_DEP_1) | instskip(NEXT) | instid1(VALU_DEP_1)
	v_fma_f64 v[11:12], -v[11:12], v[15:16], v[17:18]
	v_div_fmas_f64 v[11:12], v[11:12], v[13:14], v[15:16]
	s_delay_alu instid0(VALU_DEP_1) | instskip(NEXT) | instid1(VALU_DEP_1)
	v_div_fixup_f64 v[11:12], v[11:12], v[41:42], 0x40140000
	v_mul_f64 v[13:14], v[11:12], v[11:12]
	s_delay_alu instid0(VALU_DEP_1)
	v_fma_f64 v[15:16], v[13:14], 0, s[0:1]
	s_mov_b32 s0, 0x4c6c651b
	s_mov_b32 s1, 0x3f48f92c
	v_fma_f64 v[17:18], v[13:14], 0, s[4:5]
	v_fma_f64 v[21:22], v[13:14], 0, s[0:1]
	s_mov_b32 s0, 0xc66d8fd6
	s_mov_b32 s1, 0x4013edb5
	v_fma_f64 v[23:24], v[13:14], 0, s[6:7]
	s_mov_b32 s4, 0x5948aa83
	s_mov_b32 s5, 0x3fb19fdd
	s_mov_b32 s6, 0xa20e5f6f
	s_mov_b32 s7, 0x409081cb
	s_delay_alu instid0(VALU_DEP_4) | instskip(SKIP_2) | instid1(VALU_DEP_4)
	v_fma_f64 v[15:16], v[13:14], v[15:16], s[0:1]
	s_mov_b32 s0, 0xa3fec4b6
	s_mov_b32 s1, 0x3fb2b948
	v_fma_f64 v[17:18], v[13:14], v[17:18], s[4:5]
	s_delay_alu instid0(VALU_DEP_4) | instskip(SKIP_2) | instid1(VALU_DEP_4)
	v_fma_f64 v[21:22], v[13:14], v[21:22], s[0:1]
	s_mov_b32 s0, 0x9acf1c67
	s_mov_b32 s1, 0x4052f4b9
	v_fma_f64 v[23:24], v[13:14], v[23:24], s[6:7]
	s_mov_b32 s4, 0xb850eed6
	s_mov_b32 s5, 0x3ff1aea9
	s_mov_b32 s6, 0x1bfdfe81
	s_mov_b32 s7, 0x40b37a69
	s_delay_alu instid0(VALU_DEP_4) | instskip(SKIP_2) | instid1(VALU_DEP_4)
	v_fma_f64 v[15:16], v[13:14], v[15:16], s[0:1]
	s_mov_b32 s0, 0xc21596d6
	s_mov_b32 s1, 0x3ff208fe
	v_fma_f64 v[17:18], v[13:14], v[17:18], s[4:5]
	s_delay_alu instid0(VALU_DEP_4) | instskip(SKIP_2) | instid1(VALU_DEP_4)
	;; [unrolled: 14-line block ×5, first 2 shown]
	v_fma_f64 v[21:22], v[13:14], v[21:22], s[0:1]
	s_mov_b32 s0, 0x4c54bb0b
	s_mov_b32 s1, 0x406a760a
	v_fma_f64 v[23:24], v[13:14], v[23:24], s[6:7]
	s_mov_b32 s4, 0x4d159eb5
	s_mov_b32 s5, 0x403934ff
	;; [unrolled: 1-line block ×4, first 2 shown]
	s_delay_alu instid0(VALU_DEP_4) | instskip(SKIP_2) | instid1(VALU_DEP_4)
	v_fma_f64 v[15:16], v[13:14], v[15:16], s[0:1]
	s_mov_b32 s0, 0x6ae75997
	s_mov_b32 s1, 0x4075017f
	v_fma_f64 v[17:18], v[13:14], v[17:18], 1.0
	s_delay_alu instid0(VALU_DEP_4) | instskip(NEXT) | instid1(VALU_DEP_4)
	v_fma_f64 v[21:22], v[13:14], v[21:22], 1.0
	v_fma_f64 v[23:24], v[13:14], v[23:24], s[0:1]
	s_mov_b32 s0, 0xb42fdfa7
	s_mov_b32 s1, 0xbe5ae600
	s_delay_alu instid0(VALU_DEP_4) | instskip(SKIP_2) | instid1(VALU_DEP_3)
	v_fma_f64 v[13:14], v[13:14], v[15:16], s[4:5]
	s_mov_b32 s4, 0xf9a43bb8
	s_mov_b32 s5, 0x3de5e0b2
	v_div_scale_f64 v[15:16], null, v[17:18], v[17:18], v[21:22]
	v_fma_f64 v[35:36], v[27:28], s[4:5], s[0:1]
	v_fma_f64 v[46:47], v[33:34], s[4:5], s[0:1]
	v_cmp_gt_f64_e64 s0, 0x10000000, v[41:42]
	s_mov_b32 s4, 0x9037ab78
	s_mov_b32 s5, 0x3e21eeb6
	v_div_scale_f64 v[72:73], vcc_lo, v[21:22], v[17:18], v[21:22]
	v_fma_f64 v[48:49], v[27:28], s[6:7], s[4:5]
	v_div_scale_f64 v[25:26], null, v[23:24], v[23:24], v[13:14]
	v_rcp_f64_e32 v[29:30], v[15:16]
	v_fma_f64 v[35:36], v[27:28], v[35:36], s[8:9]
	s_delay_alu instid0(VALU_DEP_2) | instskip(SKIP_3) | instid1(VALU_DEP_2)
	v_rcp_f64_e32 v[31:32], v[25:26]
	s_waitcnt_depctr 0xfff
	v_fma_f64 v[37:38], -v[15:16], v[29:30], 1.0
	v_fma_f64 v[39:40], -v[25:26], v[31:32], 1.0
	v_fma_f64 v[29:30], v[29:30], v[37:38], v[29:30]
	v_fma_f64 v[37:38], v[33:34], v[46:47], s[8:9]
	;; [unrolled: 1-line block ×3, first 2 shown]
	s_mov_b32 s6, 0x19e83e5c
	s_mov_b32 s7, 0xbf2a01a0
	s_mov_b32 s4, 0xa17f65f6
	v_fma_f64 v[35:36], v[27:28], v[35:36], s[6:7]
	s_mov_b32 s5, 0xbe927e4f
	s_delay_alu instid0(SALU_CYCLE_1) | instskip(SKIP_4) | instid1(VALU_DEP_3)
	v_fma_f64 v[48:49], v[27:28], v[48:49], s[4:5]
	v_fma_f64 v[31:32], v[31:32], v[39:40], v[31:32]
	v_cndmask_b32_e64 v39, 0, 1, s0
	v_fma_f64 v[54:55], -v[15:16], v[29:30], 1.0
	v_fma_f64 v[37:38], v[33:34], v[37:38], s[6:7]
	v_lshlrev_b32_e32 v52, 8, v39
	v_mul_f64 v[39:40], v[33:34], 0.5
	v_fma_f64 v[46:47], v[33:34], v[46:47], s[4:5]
	s_mov_b32 s6, 0x11110bb3
	s_mov_b32 s7, 0x3f811111
	v_ldexp_f64 v[41:42], v[41:42], v52
	v_add_f64 v[52:53], -v[50:51], 1.0
	v_fma_f64 v[35:36], v[27:28], v[35:36], s[6:7]
	s_mov_b32 s4, 0x19f4ec90
	s_mov_b32 s5, 0x3efa01a0
	s_delay_alu instid0(SALU_CYCLE_1)
	v_fma_f64 v[48:49], v[27:28], v[48:49], s[4:5]
	v_fma_f64 v[56:57], -v[25:26], v[31:32], 1.0
	v_fma_f64 v[29:30], v[29:30], v[54:55], v[29:30]
	v_div_scale_f64 v[54:55], s1, v[13:14], v[23:24], v[13:14]
	v_add_f64 v[58:59], -v[39:40], 1.0
	v_fma_f64 v[37:38], v[33:34], v[37:38], s[6:7]
	v_fma_f64 v[46:47], v[33:34], v[46:47], s[4:5]
	s_mov_b32 s4, 0x16c16967
	v_rsq_f64_e32 v[64:65], v[41:42]
	v_add_f64 v[70:71], -v[52:53], 1.0
	v_fma_f64 v[35:36], v[68:69], v[35:36], v[66:67]
	s_mov_b32 s5, 0xbf56c16c
	s_delay_alu instid0(SALU_CYCLE_1)
	v_fma_f64 v[48:49], v[27:28], v[48:49], s[4:5]
	v_fma_f64 v[31:32], v[31:32], v[56:57], v[31:32]
	v_mul_f64 v[56:57], v[9:10], 0.5
	v_mul_f64 v[66:67], v[72:73], v[29:30]
	v_add_f64 v[76:77], -v[58:59], 1.0
	v_fma_f64 v[46:47], v[33:34], v[46:47], s[4:5]
	s_mov_b32 s4, 0x55555555
	s_mov_b32 s5, 0x3fa55555
	v_add_f64 v[50:51], v[70:71], -v[50:51]
	s_delay_alu instid0(TRANS32_DEP_1)
	v_mul_f64 v[78:79], v[41:42], v[64:65]
	v_mul_f64 v[64:65], v[64:65], 0.5
	v_fma_f64 v[48:49], v[27:28], v[48:49], s[4:5]
	v_mul_f64 v[70:71], v[54:55], v[31:32]
	v_fma_f64 v[37:38], v[74:75], v[37:38], v[56:57]
	v_mul_f64 v[56:57], v[27:28], v[27:28]
	v_fma_f64 v[15:16], -v[15:16], v[66:67], v[72:73]
	v_add_f64 v[39:40], v[76:77], -v[39:40]
	v_fma_f64 v[50:51], v[3:4], -v[5:6], v[50:51]
	v_fma_f64 v[5:6], v[27:28], v[35:36], -v[5:6]
	v_fma_f64 v[76:77], -v[64:65], v[78:79], 0.5
	v_mul_f64 v[35:36], v[33:34], v[33:34]
	v_fma_f64 v[25:26], -v[25:26], v[70:71], v[54:55]
	v_fma_f64 v[27:28], v[33:34], v[37:38], -v[9:10]
	v_fma_f64 v[33:34], v[33:34], v[46:47], s[4:5]
	s_mov_b32 s5, 0xbfc55555
	v_div_fmas_f64 v[15:16], v[15:16], v[29:30], v[66:67]
	s_mov_b32 vcc_lo, s1
	v_cmp_class_f64_e64 s1, v[1:2], 0x1f8
	v_fma_f64 v[9:10], v[7:8], -v[9:10], v[39:40]
	v_and_b32_e32 v1, 1, v20
	v_fma_f64 v[39:40], v[56:57], v[48:49], v[50:51]
	v_fma_f64 v[5:6], v[68:69], s[4:5], v[5:6]
	v_fma_f64 v[37:38], v[78:79], v[76:77], v[78:79]
	v_fma_f64 v[29:30], v[64:65], v[76:77], v[64:65]
	v_cmp_eq_u32_e64 s2, 0, v1
	v_div_fmas_f64 v[25:26], v[25:26], v[31:32], v[70:71]
	v_fma_f64 v[27:28], v[74:75], s[4:5], v[27:28]
	v_fma_f64 v[9:10], v[35:36], v[33:34], v[9:10]
	v_add_f64 v[33:34], v[52:53], v[39:40]
	v_add_f64 v[3:4], v[3:4], -v[5:6]
	v_fma_f64 v[31:32], -v[37:38], v[37:38], v[41:42]
	v_div_fixup_f64 v[5:6], v[25:26], v[23:24], v[13:14]
	v_add_f64 v[7:8], v[7:8], -v[27:28]
	v_and_b32_e32 v23, 1, v19
	v_add_f64 v[9:10], v[58:59], v[9:10]
	s_delay_alu instid0(VALU_DEP_2)
	v_cmp_eq_u32_e32 vcc_lo, 0, v23
	v_cndmask_b32_e32 v3, v33, v3, vcc_lo
	v_fma_f64 v[13:14], v[31:32], v[29:30], v[37:38]
	v_mul_f64 v[5:6], v[11:12], v[5:6]
	v_lshlrev_b32_e32 v11, 30, v20
	v_xor_b32_e32 v8, 0x80000000, v8
	s_delay_alu instid0(VALU_DEP_2) | instskip(SKIP_1) | instid1(VALU_DEP_3)
	v_and_b32_e32 v1, 0x80000000, v11
	v_cndmask_b32_e64 v9, v7, v9, s2
	v_cndmask_b32_e64 v7, v8, v10, s2
	v_div_fixup_f64 v[11:12], v[15:16], v[17:18], v[21:22]
	s_delay_alu instid0(VALU_DEP_3) | instskip(NEXT) | instid1(VALU_DEP_3)
	v_cndmask_b32_e64 v9, 0, v9, s1
	v_xor_b32_e32 v10, v7, v1
	v_fma_f64 v[7:8], -v[13:14], v[13:14], v[41:42]
	v_cndmask_b32_e64 v1, 0, v3, s1
	v_lshlrev_b32_e32 v3, 30, v19
	s_delay_alu instid0(VALU_DEP_4) | instskip(NEXT) | instid1(VALU_DEP_2)
	v_cndmask_b32_e64 v10, 0x7ff80000, v10, s1
	v_xor_b32_e32 v2, v3, v2
	v_cndmask_b32_e32 v3, v34, v4, vcc_lo
	v_cmp_class_f64_e64 vcc_lo, v[41:42], 0x260
	s_delay_alu instid0(VALU_DEP_3) | instskip(NEXT) | instid1(VALU_DEP_1)
	v_and_b32_e32 v2, 0x80000000, v2
	v_xor_b32_e32 v2, v3, v2
	s_delay_alu instid0(VALU_DEP_1) | instskip(SKIP_2) | instid1(VALU_DEP_2)
	v_cndmask_b32_e64 v2, 0x7ff80000, v2, s1
	v_mul_f64 v[5:6], v[5:6], v[9:10]
	v_fma_f64 v[3:4], v[7:8], v[29:30], v[13:14]
	v_fma_f64 v[1:2], v[11:12], v[1:2], v[5:6]
	v_cndmask_b32_e64 v5, 0, 0xffffff80, s0
	s_mov_b32 s0, 0x33d43651
	s_mov_b32 s1, 0x3fe98845
	s_delay_alu instid0(VALU_DEP_1) | instskip(NEXT) | instid1(VALU_DEP_3)
	v_ldexp_f64 v[3:4], v[3:4], v5
	v_mul_f64 v[1:2], v[1:2], s[0:1]
	s_delay_alu instid0(VALU_DEP_2) | instskip(NEXT) | instid1(VALU_DEP_1)
	v_dual_cndmask_b32 v4, v4, v42 :: v_dual_cndmask_b32 v3, v3, v41
	v_div_scale_f64 v[5:6], null, v[3:4], v[3:4], v[1:2]
	s_delay_alu instid0(VALU_DEP_1) | instskip(SKIP_2) | instid1(VALU_DEP_1)
	v_rcp_f64_e32 v[7:8], v[5:6]
	s_waitcnt_depctr 0xfff
	v_fma_f64 v[9:10], -v[5:6], v[7:8], 1.0
	v_fma_f64 v[7:8], v[7:8], v[9:10], v[7:8]
	s_delay_alu instid0(VALU_DEP_1) | instskip(NEXT) | instid1(VALU_DEP_1)
	v_fma_f64 v[9:10], -v[5:6], v[7:8], 1.0
	v_fma_f64 v[7:8], v[7:8], v[9:10], v[7:8]
	v_div_scale_f64 v[9:10], vcc_lo, v[1:2], v[3:4], v[1:2]
	s_delay_alu instid0(VALU_DEP_1) | instskip(NEXT) | instid1(VALU_DEP_1)
	v_mul_f64 v[11:12], v[9:10], v[7:8]
	v_fma_f64 v[5:6], -v[5:6], v[11:12], v[9:10]
	s_delay_alu instid0(VALU_DEP_1) | instskip(NEXT) | instid1(VALU_DEP_1)
	v_div_fmas_f64 v[5:6], v[5:6], v[7:8], v[11:12]
	v_div_fixup_f64 v[56:57], v[5:6], v[3:4], v[1:2]
.LBB6_51:
	s_or_b32 exec_lo, exec_lo, s3
	s_delay_alu instid0(SALU_CYCLE_1)
	s_mov_b32 s0, exec_lo
	v_cmpx_ge_f64_e32 0x40140000, v[43:44]
	s_xor_b32 s42, exec_lo, s0
	s_cbranch_execz .LBB6_57
; %bb.52:
	v_mov_b32_e32 v58, 0
	v_mov_b32_e32 v59, 0xfff00000
	s_mov_b32 s43, exec_lo
	v_cmpx_neq_f64_e32 0, v[43:44]
	s_cbranch_execz .LBB6_56
; %bb.53:
	v_mov_b32_e32 v58, 0
	v_mov_b32_e32 v59, 0x7ff80000
	s_mov_b32 s44, exec_lo
	v_cmpx_nge_f64_e32 0, v[43:44]
	s_cbranch_execz .LBB6_55
; %bb.54:
	v_mul_f64 v[1:2], v[43:44], v[43:44]
	s_mov_b32 s0, 0xa93f7ac2
	s_mov_b32 s1, 0x40829269
	s_mov_b32 s2, 0xa9c8acee
	s_mov_b32 s3, 0x419184ef
	v_dual_mov_b32 v41, v0 :: v_dual_mov_b32 v0, v43
	s_mov_b32 s45, s15
	s_delay_alu instid0(VALU_DEP_2)
	v_fma_f64 v[3:4], v[1:2], 0, s[0:1]
	s_mov_b32 s0, 0xbe58ef7f
	s_mov_b32 s1, 0x410cc160
	s_delay_alu instid0(VALU_DEP_1) | instid1(SALU_CYCLE_1)
	v_fma_f64 v[3:4], v[1:2], v[3:4], s[0:1]
	s_mov_b32 s0, 0x62f9b6c5
	s_mov_b32 s1, 0x41d2d2be
	s_delay_alu instid0(SALU_CYCLE_1) | instskip(SKIP_2) | instid1(VALU_DEP_2)
	v_fma_f64 v[5:6], v[1:2], 0, s[0:1]
	s_mov_b32 s0, 0x58836521
	s_mov_b32 s1, 0xc262d72d
	v_fma_f64 v[3:4], v[1:2], v[3:4], s[2:3]
	s_mov_b32 s2, 0x906b7b83
	s_mov_b32 s3, 0x421178c3
	s_delay_alu instid0(VALU_DEP_2) | instskip(SKIP_2) | instid1(VALU_DEP_2)
	v_fma_f64 v[5:6], v[1:2], v[5:6], s[0:1]
	s_mov_b32 s0, 0xb0910fef
	s_mov_b32 s1, 0x42da0954
	v_fma_f64 v[3:4], v[1:2], v[3:4], s[2:3]
	s_mov_b32 s2, 0xfda99316
	s_mov_b32 s3, 0x428c3f5e
	s_delay_alu instid0(VALU_DEP_2) | instskip(SKIP_2) | instid1(VALU_DEP_2)
	v_fma_f64 v[5:6], v[1:2], v[5:6], s[0:1]
	s_mov_b32 s0, 0x37a1b083
	s_mov_b32 s1, 0xc33ce01a
	v_fma_f64 v[3:4], v[1:2], v[3:4], s[2:3]
	s_mov_b32 s2, 0xd71d1e4e
	s_mov_b32 s3, 0x4301a326
	s_delay_alu instid0(VALU_DEP_2) | instskip(SKIP_2) | instid1(VALU_DEP_2)
	v_fma_f64 v[5:6], v[1:2], v[5:6], s[0:1]
	s_mov_b32 s0, 0xb7366b1
	s_mov_b32 s1, 0x438679ad
	v_fma_f64 v[3:4], v[1:2], v[3:4], s[2:3]
	s_mov_b32 s2, 0xc547a488
	s_mov_b32 s3, 0x436e83e3
	s_delay_alu instid0(VALU_DEP_2) | instskip(SKIP_2) | instid1(VALU_DEP_2)
	v_fma_f64 v[5:6], v[1:2], v[5:6], s[0:1]
	s_mov_b32 s0, 0x5dde2b17
	s_mov_b32 s1, 0xc3a59e41
	v_fma_f64 v[3:4], v[1:2], v[3:4], s[2:3]
	s_mov_b32 s2, 0x90f6747f
	s_mov_b32 s3, 0x43cb90f1
	s_delay_alu instid0(VALU_DEP_2) | instskip(SKIP_3) | instid1(VALU_DEP_2)
	v_fma_f64 v[5:6], v[1:2], v[5:6], s[0:1]
	s_getpc_b64 s[0:1]
	s_add_u32 s0, s0, _Z17bessel_j1_forwardIdET_S0_@rel32@lo+4
	s_addc_u32 s1, s1, _Z17bessel_j1_forwardIdET_S0_@rel32@hi+12
	v_fma_f64 v[1:2], v[1:2], v[3:4], s[2:3]
	s_delay_alu instid0(VALU_DEP_1) | instskip(NEXT) | instid1(VALU_DEP_1)
	v_div_scale_f64 v[3:4], null, v[1:2], v[1:2], v[5:6]
	v_rcp_f64_e32 v[7:8], v[3:4]
	s_waitcnt_depctr 0xfff
	v_fma_f64 v[9:10], -v[3:4], v[7:8], 1.0
	s_delay_alu instid0(VALU_DEP_1) | instskip(NEXT) | instid1(VALU_DEP_1)
	v_fma_f64 v[7:8], v[7:8], v[9:10], v[7:8]
	v_fma_f64 v[9:10], -v[3:4], v[7:8], 1.0
	s_delay_alu instid0(VALU_DEP_1) | instskip(SKIP_1) | instid1(VALU_DEP_1)
	v_fma_f64 v[7:8], v[7:8], v[9:10], v[7:8]
	v_div_scale_f64 v[9:10], vcc_lo, v[5:6], v[1:2], v[5:6]
	v_mul_f64 v[11:12], v[9:10], v[7:8]
	s_delay_alu instid0(VALU_DEP_1) | instskip(NEXT) | instid1(VALU_DEP_1)
	v_fma_f64 v[3:4], -v[3:4], v[11:12], v[9:10]
	v_div_fmas_f64 v[3:4], v[3:4], v[7:8], v[11:12]
	s_delay_alu instid0(VALU_DEP_1)
	v_div_fixup_f64 v[46:47], v[3:4], v[1:2], v[5:6]
	v_mov_b32_e32 v1, v44
	s_swappc_b64 s[30:31], s[0:1]
	v_frexp_mant_f64_e32 v[4:5], v[43:44]
	s_mov_b32 s1, 0x3fe55555
	s_mov_b32 s0, 0x55555555
	v_mov_b32_e32 v6, 0
	s_mov_b32 s2, 0x6b47b09a
	s_mov_b32 s4, 0xbf559e2b
	;; [unrolled: 1-line block ×4, first 2 shown]
	v_dual_mov_b32 v2, v0 :: v_dual_mov_b32 v3, v1
	v_frexp_exp_i32_f64_e32 v1, v[43:44]
	v_div_scale_f64 v[20:21], null, v[43:44], v[43:44], -1.0
	v_mov_b32_e32 v0, v41
	s_mov_b32 s15, s45
	v_cmp_gt_f64_e32 vcc_lo, s[0:1], v[4:5]
	s_mov_b32 s0, 0x55555780
	s_delay_alu instid0(VALU_DEP_3) | instskip(SKIP_2) | instid1(VALU_DEP_2)
	v_rcp_f64_e32 v[24:25], v[20:21]
	v_cndmask_b32_e64 v7, 0x3ff00000, 2.0, vcc_lo
	v_subrev_co_ci_u32_e32 v1, vcc_lo, 0, v1, vcc_lo
	v_mul_f64 v[4:5], v[4:5], v[6:7]
	s_delay_alu instid0(VALU_DEP_1) | instskip(SKIP_1) | instid1(VALU_DEP_2)
	v_add_f64 v[6:7], v[4:5], 1.0
	v_add_f64 v[12:13], v[4:5], -1.0
	v_rcp_f64_e32 v[8:9], v[6:7]
	v_add_f64 v[14:15], v[6:7], -1.0
	s_delay_alu instid0(VALU_DEP_1) | instskip(SKIP_2) | instid1(VALU_DEP_1)
	v_add_f64 v[4:5], v[4:5], -v[14:15]
	s_waitcnt_depctr 0xfff
	v_fma_f64 v[10:11], -v[6:7], v[8:9], 1.0
	v_fma_f64 v[8:9], v[10:11], v[8:9], v[8:9]
	s_delay_alu instid0(VALU_DEP_1) | instskip(NEXT) | instid1(VALU_DEP_1)
	v_fma_f64 v[10:11], -v[6:7], v[8:9], 1.0
	v_fma_f64 v[8:9], v[10:11], v[8:9], v[8:9]
	s_delay_alu instid0(VALU_DEP_1) | instskip(NEXT) | instid1(VALU_DEP_1)
	v_mul_f64 v[10:11], v[12:13], v[8:9]
	v_mul_f64 v[16:17], v[6:7], v[10:11]
	s_delay_alu instid0(VALU_DEP_1) | instskip(NEXT) | instid1(VALU_DEP_1)
	v_fma_f64 v[6:7], v[10:11], v[6:7], -v[16:17]
	v_fma_f64 v[4:5], v[10:11], v[4:5], v[6:7]
	s_delay_alu instid0(VALU_DEP_1) | instskip(NEXT) | instid1(VALU_DEP_1)
	v_add_f64 v[6:7], v[16:17], v[4:5]
	v_add_f64 v[14:15], v[12:13], -v[6:7]
	v_add_f64 v[16:17], v[6:7], -v[16:17]
	s_delay_alu instid0(VALU_DEP_2) | instskip(NEXT) | instid1(VALU_DEP_2)
	v_add_f64 v[12:13], v[12:13], -v[14:15]
	v_add_f64 v[4:5], v[16:17], -v[4:5]
	s_delay_alu instid0(VALU_DEP_2) | instskip(NEXT) | instid1(VALU_DEP_1)
	v_add_f64 v[6:7], v[12:13], -v[6:7]
	v_add_f64 v[4:5], v[4:5], v[6:7]
	s_delay_alu instid0(VALU_DEP_1) | instskip(NEXT) | instid1(VALU_DEP_1)
	v_add_f64 v[4:5], v[14:15], v[4:5]
	v_mul_f64 v[4:5], v[8:9], v[4:5]
	s_delay_alu instid0(VALU_DEP_1) | instskip(NEXT) | instid1(VALU_DEP_1)
	v_add_f64 v[6:7], v[10:11], v[4:5]
	v_mul_f64 v[8:9], v[6:7], v[6:7]
	s_delay_alu instid0(VALU_DEP_1) | instskip(SKIP_3) | instid1(VALU_DEP_2)
	v_fma_f64 v[12:13], v[8:9], s[4:5], s[2:3]
	s_mov_b32 s2, 0xd7f4df2e
	s_mov_b32 s3, 0x3fc7474d
	v_mul_f64 v[14:15], v[6:7], v[8:9]
	v_fma_f64 v[12:13], v[8:9], v[12:13], s[2:3]
	s_mov_b32 s2, 0x16291751
	s_mov_b32 s3, 0x3fcc71c0
	s_delay_alu instid0(VALU_DEP_1) | instid1(SALU_CYCLE_1)
	v_fma_f64 v[12:13], v[8:9], v[12:13], s[2:3]
	s_mov_b32 s2, 0x9b27acf1
	s_mov_b32 s3, 0x3fd24924
	s_delay_alu instid0(VALU_DEP_1) | instid1(SALU_CYCLE_1)
	;; [unrolled: 4-line block ×3, first 2 shown]
	v_fma_f64 v[12:13], v[8:9], v[12:13], s[2:3]
	s_delay_alu instid0(VALU_DEP_1) | instskip(SKIP_4) | instid1(VALU_DEP_3)
	v_fma_f64 v[8:9], v[8:9], v[12:13], s[0:1]
	v_ldexp_f64 v[12:13], v[6:7], 1
	v_add_f64 v[6:7], v[6:7], -v[10:11]
	s_mov_b32 s0, 0xfefa39ef
	s_mov_b32 s1, 0x3fe62e42
	v_mul_f64 v[8:9], v[14:15], v[8:9]
	v_cvt_f64_i32_e32 v[14:15], v1
	s_delay_alu instid0(VALU_DEP_3) | instskip(NEXT) | instid1(VALU_DEP_3)
	v_add_f64 v[4:5], v[4:5], -v[6:7]
	v_add_f64 v[10:11], v[12:13], v[8:9]
	s_delay_alu instid0(VALU_DEP_3) | instskip(NEXT) | instid1(VALU_DEP_3)
	v_mul_f64 v[16:17], v[14:15], s[0:1]
	v_ldexp_f64 v[4:5], v[4:5], 1
	s_delay_alu instid0(VALU_DEP_3) | instskip(NEXT) | instid1(VALU_DEP_3)
	v_add_f64 v[6:7], v[10:11], -v[12:13]
	v_fma_f64 v[12:13], v[14:15], s[0:1], -v[16:17]
	s_mov_b32 s0, 0x3b39803f
	s_mov_b32 s1, 0x3c7abc9e
	s_delay_alu instid0(VALU_DEP_2) | instskip(NEXT) | instid1(VALU_DEP_2)
	v_add_f64 v[6:7], v[8:9], -v[6:7]
	v_fma_f64 v[8:9], v[14:15], s[0:1], v[12:13]
	s_mov_b32 s0, 0x6dc9c883
	s_mov_b32 s1, 0x3fe45f30
	s_delay_alu instid0(VALU_DEP_2) | instskip(NEXT) | instid1(VALU_DEP_2)
	v_add_f64 v[4:5], v[4:5], v[6:7]
	v_add_f64 v[6:7], v[16:17], v[8:9]
	s_delay_alu instid0(VALU_DEP_2) | instskip(NEXT) | instid1(VALU_DEP_2)
	v_add_f64 v[12:13], v[10:11], v[4:5]
	v_add_f64 v[16:17], v[6:7], -v[16:17]
	s_delay_alu instid0(VALU_DEP_2) | instskip(SKIP_1) | instid1(VALU_DEP_3)
	v_add_f64 v[14:15], v[6:7], v[12:13]
	v_add_f64 v[10:11], v[12:13], -v[10:11]
	v_add_f64 v[8:9], v[8:9], -v[16:17]
	s_delay_alu instid0(VALU_DEP_3) | instskip(NEXT) | instid1(VALU_DEP_3)
	v_add_f64 v[18:19], v[14:15], -v[6:7]
	v_add_f64 v[4:5], v[4:5], -v[10:11]
	s_delay_alu instid0(VALU_DEP_2) | instskip(SKIP_2) | instid1(VALU_DEP_4)
	v_add_f64 v[22:23], v[14:15], -v[18:19]
	v_add_f64 v[10:11], v[12:13], -v[18:19]
	v_fma_f64 v[12:13], -v[20:21], v[24:25], 1.0
	v_add_f64 v[16:17], v[8:9], v[4:5]
	s_delay_alu instid0(VALU_DEP_4) | instskip(NEXT) | instid1(VALU_DEP_1)
	v_add_f64 v[6:7], v[6:7], -v[22:23]
	v_add_f64 v[6:7], v[10:11], v[6:7]
	s_delay_alu instid0(VALU_DEP_4) | instskip(NEXT) | instid1(VALU_DEP_4)
	v_fma_f64 v[10:11], v[24:25], v[12:13], v[24:25]
	v_add_f64 v[12:13], v[16:17], -v[8:9]
	v_div_scale_f64 v[24:25], vcc_lo, -1.0, v[43:44], -1.0
	s_delay_alu instid0(VALU_DEP_4) | instskip(NEXT) | instid1(VALU_DEP_4)
	v_add_f64 v[6:7], v[16:17], v[6:7]
	v_fma_f64 v[18:19], -v[20:21], v[10:11], 1.0
	s_delay_alu instid0(VALU_DEP_4) | instskip(SKIP_1) | instid1(VALU_DEP_4)
	v_add_f64 v[16:17], v[16:17], -v[12:13]
	v_add_f64 v[4:5], v[4:5], -v[12:13]
	v_add_f64 v[22:23], v[14:15], v[6:7]
	s_delay_alu instid0(VALU_DEP_4) | instskip(NEXT) | instid1(VALU_DEP_4)
	v_fma_f64 v[10:11], v[10:11], v[18:19], v[10:11]
	v_add_f64 v[8:9], v[8:9], -v[16:17]
	s_delay_alu instid0(VALU_DEP_3) | instskip(NEXT) | instid1(VALU_DEP_3)
	v_add_f64 v[12:13], v[22:23], -v[14:15]
	v_mul_f64 v[14:15], v[24:25], v[10:11]
	s_delay_alu instid0(VALU_DEP_3) | instskip(NEXT) | instid1(VALU_DEP_3)
	v_add_f64 v[4:5], v[4:5], v[8:9]
	v_add_f64 v[6:7], v[6:7], -v[12:13]
	s_delay_alu instid0(VALU_DEP_3) | instskip(NEXT) | instid1(VALU_DEP_2)
	v_fma_f64 v[8:9], -v[20:21], v[14:15], v[24:25]
	v_add_f64 v[4:5], v[4:5], v[6:7]
	s_delay_alu instid0(VALU_DEP_2) | instskip(NEXT) | instid1(VALU_DEP_2)
	v_div_fmas_f64 v[6:7], v[8:9], v[10:11], v[14:15]
	v_add_f64 v[4:5], v[22:23], v[4:5]
	s_delay_alu instid0(VALU_DEP_2) | instskip(NEXT) | instid1(VALU_DEP_1)
	v_div_fixup_f64 v[6:7], v[6:7], v[43:44], -1.0
	v_fma_f64 v[1:2], v[4:5], v[2:3], v[6:7]
	s_delay_alu instid0(VALU_DEP_1) | instskip(NEXT) | instid1(VALU_DEP_1)
	v_mul_f64 v[1:2], v[1:2], s[0:1]
	v_fma_f64 v[58:59], v[43:44], v[46:47], v[1:2]
.LBB6_55:
	s_or_b32 exec_lo, exec_lo, s44
.LBB6_56:
	s_delay_alu instid0(SALU_CYCLE_1)
	s_or_b32 exec_lo, exec_lo, s43
                                        ; implicit-def: $vgpr43_vgpr44
.LBB6_57:
	s_and_not1_saveexec_b32 s3, s42
	s_cbranch_execz .LBB6_67
; %bb.58:
	s_mov_b32 s0, 0x7f3321d2
	s_mov_b32 s1, 0xc002d97c
                                        ; implicit-def: $vgpr19
                                        ; implicit-def: $vgpr3_vgpr4
                                        ; implicit-def: $vgpr5_vgpr6
	s_delay_alu instid0(SALU_CYCLE_1) | instskip(NEXT) | instid1(VALU_DEP_1)
	v_add_f64 v[1:2], v[43:44], s[0:1]
	v_cmp_ngt_f64_e64 s1, 0x41d00000, |v[1:2]|
	v_trig_preop_f64 v[15:16], |v[1:2]|, 0
	v_trig_preop_f64 v[13:14], |v[1:2]|, 1
	v_ldexp_f64 v[17:18], |v[1:2]|, 0xffffff80
	v_trig_preop_f64 v[11:12], |v[1:2]|, 2
	v_and_b32_e32 v21, 0x7fffffff, v2
	s_and_saveexec_b32 s0, s1
	s_delay_alu instid0(SALU_CYCLE_1)
	s_xor_b32 s2, exec_lo, s0
	s_cbranch_execz .LBB6_60
; %bb.59:
	v_cmp_le_f64_e64 vcc_lo, 0x7b000000, |v[1:2]|
	v_mov_b32_e32 v32, 0
	s_mov_b32 s4, 0x54442d18
	s_mov_b32 s5, 0x3ff921fb
	;; [unrolled: 1-line block ×4, first 2 shown]
	v_cndmask_b32_e32 v4, v21, v18, vcc_lo
	v_cndmask_b32_e32 v3, v1, v17, vcc_lo
	s_delay_alu instid0(VALU_DEP_1) | instskip(SKIP_1) | instid1(VALU_DEP_2)
	v_mul_f64 v[5:6], v[15:16], v[3:4]
	v_mul_f64 v[7:8], v[13:14], v[3:4]
	v_fma_f64 v[9:10], v[15:16], v[3:4], -v[5:6]
	s_delay_alu instid0(VALU_DEP_2) | instskip(NEXT) | instid1(VALU_DEP_2)
	v_fma_f64 v[30:31], v[13:14], v[3:4], -v[7:8]
	v_add_f64 v[19:20], v[7:8], v[9:10]
	s_delay_alu instid0(VALU_DEP_1) | instskip(SKIP_1) | instid1(VALU_DEP_2)
	v_add_f64 v[22:23], v[19:20], -v[7:8]
	v_add_f64 v[26:27], v[5:6], v[19:20]
	v_add_f64 v[24:25], v[19:20], -v[22:23]
	v_add_f64 v[9:10], v[9:10], -v[22:23]
	s_delay_alu instid0(VALU_DEP_3) | instskip(SKIP_1) | instid1(VALU_DEP_4)
	v_ldexp_f64 v[22:23], v[26:27], -2
	v_add_f64 v[5:6], v[26:27], -v[5:6]
	v_add_f64 v[7:8], v[7:8], -v[24:25]
	s_delay_alu instid0(VALU_DEP_3) | instskip(NEXT) | instid1(VALU_DEP_3)
	v_cmp_neq_f64_e64 vcc_lo, 0x7ff00000, |v[22:23]|
	v_add_f64 v[5:6], v[19:20], -v[5:6]
	s_delay_alu instid0(VALU_DEP_3) | instskip(SKIP_1) | instid1(VALU_DEP_1)
	v_add_f64 v[7:8], v[9:10], v[7:8]
	v_fract_f64_e32 v[9:10], v[22:23]
	v_dual_cndmask_b32 v10, 0, v10 :: v_dual_cndmask_b32 v9, 0, v9
	v_mul_f64 v[28:29], v[11:12], v[3:4]
	s_delay_alu instid0(VALU_DEP_2) | instskip(NEXT) | instid1(VALU_DEP_2)
	v_ldexp_f64 v[9:10], v[9:10], 2
	v_add_f64 v[24:25], v[28:29], v[30:31]
	v_fma_f64 v[3:4], v[11:12], v[3:4], -v[28:29]
	s_delay_alu instid0(VALU_DEP_2) | instskip(NEXT) | instid1(VALU_DEP_1)
	v_add_f64 v[19:20], v[24:25], v[7:8]
	v_add_f64 v[22:23], v[5:6], v[19:20]
	s_delay_alu instid0(VALU_DEP_1) | instskip(SKIP_1) | instid1(VALU_DEP_2)
	v_add_f64 v[26:27], v[22:23], v[9:10]
	v_add_f64 v[5:6], v[22:23], -v[5:6]
	v_cmp_gt_f64_e32 vcc_lo, 0, v[26:27]
	v_add_f64 v[26:27], v[24:25], -v[28:29]
	s_delay_alu instid0(VALU_DEP_3) | instskip(SKIP_1) | instid1(VALU_DEP_3)
	v_add_f64 v[5:6], v[19:20], -v[5:6]
	v_cndmask_b32_e64 v33, 0, 0x40100000, vcc_lo
	v_add_f64 v[37:38], v[24:25], -v[26:27]
	v_add_f64 v[26:27], v[30:31], -v[26:27]
	s_delay_alu instid0(VALU_DEP_3) | instskip(SKIP_1) | instid1(VALU_DEP_4)
	v_add_f64 v[9:10], v[9:10], v[32:33]
	v_add_f64 v[33:34], v[19:20], -v[24:25]
	v_add_f64 v[30:31], v[28:29], -v[37:38]
	s_delay_alu instid0(VALU_DEP_3) | instskip(NEXT) | instid1(VALU_DEP_3)
	v_add_f64 v[35:36], v[22:23], v[9:10]
	v_add_f64 v[39:40], v[19:20], -v[33:34]
	v_add_f64 v[7:8], v[7:8], -v[33:34]
	s_delay_alu instid0(VALU_DEP_4) | instskip(NEXT) | instid1(VALU_DEP_4)
	v_add_f64 v[26:27], v[26:27], v[30:31]
	v_cvt_i32_f64_e32 v35, v[35:36]
	s_delay_alu instid0(VALU_DEP_4) | instskip(NEXT) | instid1(VALU_DEP_2)
	v_add_f64 v[24:25], v[24:25], -v[39:40]
	v_cvt_f64_i32_e32 v[33:34], v35
	s_delay_alu instid0(VALU_DEP_2) | instskip(NEXT) | instid1(VALU_DEP_2)
	v_add_f64 v[7:8], v[7:8], v[24:25]
	v_add_f64 v[9:10], v[9:10], -v[33:34]
	s_delay_alu instid0(VALU_DEP_2) | instskip(NEXT) | instid1(VALU_DEP_2)
	v_add_f64 v[7:8], v[26:27], v[7:8]
	v_add_f64 v[24:25], v[22:23], v[9:10]
	s_delay_alu instid0(VALU_DEP_2) | instskip(NEXT) | instid1(VALU_DEP_2)
	v_add_f64 v[3:4], v[3:4], v[7:8]
	v_add_f64 v[7:8], v[24:25], -v[9:10]
	v_cmp_le_f64_e32 vcc_lo, 0.5, v[24:25]
	s_delay_alu instid0(VALU_DEP_3) | instskip(NEXT) | instid1(VALU_DEP_3)
	v_add_f64 v[3:4], v[5:6], v[3:4]
	v_add_f64 v[5:6], v[22:23], -v[7:8]
	v_cndmask_b32_e64 v33, 0, 0x3ff00000, vcc_lo
	v_add_co_ci_u32_e64 v19, s0, 0, v35, vcc_lo
	s_delay_alu instid0(VALU_DEP_3) | instskip(NEXT) | instid1(VALU_DEP_3)
	v_add_f64 v[3:4], v[3:4], v[5:6]
	v_add_f64 v[5:6], v[24:25], -v[32:33]
	s_delay_alu instid0(VALU_DEP_1) | instskip(NEXT) | instid1(VALU_DEP_1)
	v_add_f64 v[7:8], v[5:6], v[3:4]
	v_mul_f64 v[9:10], v[7:8], s[4:5]
	v_add_f64 v[5:6], v[7:8], -v[5:6]
	s_delay_alu instid0(VALU_DEP_2) | instskip(NEXT) | instid1(VALU_DEP_2)
	v_fma_f64 v[22:23], v[7:8], s[4:5], -v[9:10]
	v_add_f64 v[3:4], v[3:4], -v[5:6]
	s_delay_alu instid0(VALU_DEP_2) | instskip(NEXT) | instid1(VALU_DEP_1)
	v_fma_f64 v[5:6], v[7:8], s[6:7], v[22:23]
	v_fma_f64 v[5:6], v[3:4], s[4:5], v[5:6]
	s_delay_alu instid0(VALU_DEP_1) | instskip(NEXT) | instid1(VALU_DEP_1)
	v_add_f64 v[3:4], v[9:10], v[5:6]
	v_add_f64 v[7:8], v[3:4], -v[9:10]
	s_delay_alu instid0(VALU_DEP_1)
	v_add_f64 v[5:6], v[5:6], -v[7:8]
	s_and_not1_saveexec_b32 s0, s2
	s_cbranch_execz .LBB6_62
	s_branch .LBB6_61
.LBB6_60:
	s_and_not1_saveexec_b32 s0, s2
	s_cbranch_execz .LBB6_62
.LBB6_61:
	s_mov_b32 s4, 0x6dc9c883
	s_mov_b32 s5, 0x3fe45f30
	;; [unrolled: 1-line block ×3, first 2 shown]
	v_mul_f64 v[3:4], |v[1:2]|, s[4:5]
	s_mov_b32 s4, 0x54442d18
	s_mov_b32 s5, 0xbff921fb
	;; [unrolled: 1-line block ×3, first 2 shown]
	s_delay_alu instid0(VALU_DEP_1) | instskip(NEXT) | instid1(VALU_DEP_1)
	v_rndne_f64_e32 v[7:8], v[3:4]
	v_fma_f64 v[3:4], v[7:8], s[4:5], |v[1:2]|
	v_mul_f64 v[5:6], v[7:8], s[6:7]
	s_mov_b32 s4, 0x252049c0
	s_mov_b32 s5, 0xb97b839a
	s_delay_alu instid0(VALU_DEP_2) | instskip(NEXT) | instid1(VALU_DEP_2)
	v_fma_f64 v[19:20], v[7:8], s[6:7], v[3:4]
	v_add_f64 v[9:10], v[3:4], v[5:6]
	s_mov_b32 s7, 0x3c91a626
	s_delay_alu instid0(VALU_DEP_1) | instskip(NEXT) | instid1(VALU_DEP_3)
	v_add_f64 v[3:4], v[3:4], -v[9:10]
	v_add_f64 v[9:10], v[9:10], -v[19:20]
	s_delay_alu instid0(VALU_DEP_2) | instskip(SKIP_1) | instid1(VALU_DEP_2)
	v_add_f64 v[3:4], v[3:4], v[5:6]
	v_fma_f64 v[5:6], v[7:8], s[6:7], v[5:6]
	v_add_f64 v[3:4], v[9:10], v[3:4]
	s_delay_alu instid0(VALU_DEP_1) | instskip(NEXT) | instid1(VALU_DEP_1)
	v_add_f64 v[3:4], v[3:4], -v[5:6]
	v_fma_f64 v[5:6], v[7:8], s[4:5], v[3:4]
	s_delay_alu instid0(VALU_DEP_1) | instskip(NEXT) | instid1(VALU_DEP_1)
	v_add_f64 v[3:4], v[19:20], v[5:6]
	v_add_f64 v[9:10], v[3:4], -v[19:20]
	v_cvt_i32_f64_e32 v19, v[7:8]
	s_delay_alu instid0(VALU_DEP_2)
	v_add_f64 v[5:6], v[5:6], -v[9:10]
.LBB6_62:
	s_or_b32 exec_lo, exec_lo, s0
                                        ; implicit-def: $vgpr20
                                        ; implicit-def: $vgpr7_vgpr8
                                        ; implicit-def: $vgpr9_vgpr10
	s_and_saveexec_b32 s0, s1
	s_delay_alu instid0(SALU_CYCLE_1)
	s_xor_b32 s1, exec_lo, s0
	s_cbranch_execz .LBB6_64
; %bb.63:
	v_cmp_le_f64_e64 vcc_lo, 0x7b000000, |v[1:2]|
	v_mov_b32_e32 v30, 0
	s_mov_b32 s4, 0x54442d18
	s_mov_b32 s5, 0x3ff921fb
	;; [unrolled: 1-line block ×4, first 2 shown]
	v_cndmask_b32_e32 v8, v21, v18, vcc_lo
	v_cndmask_b32_e32 v7, v1, v17, vcc_lo
	s_delay_alu instid0(VALU_DEP_1) | instskip(SKIP_1) | instid1(VALU_DEP_2)
	v_mul_f64 v[9:10], v[15:16], v[7:8]
	v_mul_f64 v[17:18], v[13:14], v[7:8]
	v_fma_f64 v[15:16], v[15:16], v[7:8], -v[9:10]
	s_delay_alu instid0(VALU_DEP_2) | instskip(NEXT) | instid1(VALU_DEP_2)
	v_fma_f64 v[13:14], v[13:14], v[7:8], -v[17:18]
	v_add_f64 v[20:21], v[17:18], v[15:16]
	s_delay_alu instid0(VALU_DEP_1) | instskip(SKIP_1) | instid1(VALU_DEP_2)
	v_add_f64 v[22:23], v[20:21], -v[17:18]
	v_add_f64 v[26:27], v[9:10], v[20:21]
	v_add_f64 v[24:25], v[20:21], -v[22:23]
	v_add_f64 v[15:16], v[15:16], -v[22:23]
	s_delay_alu instid0(VALU_DEP_3) | instskip(SKIP_1) | instid1(VALU_DEP_4)
	v_ldexp_f64 v[22:23], v[26:27], -2
	v_add_f64 v[9:10], v[26:27], -v[9:10]
	v_add_f64 v[17:18], v[17:18], -v[24:25]
	s_delay_alu instid0(VALU_DEP_3) | instskip(NEXT) | instid1(VALU_DEP_3)
	v_cmp_neq_f64_e64 vcc_lo, 0x7ff00000, |v[22:23]|
	v_add_f64 v[9:10], v[20:21], -v[9:10]
	s_delay_alu instid0(VALU_DEP_3) | instskip(SKIP_1) | instid1(VALU_DEP_1)
	v_add_f64 v[15:16], v[15:16], v[17:18]
	v_fract_f64_e32 v[17:18], v[22:23]
	v_dual_cndmask_b32 v18, 0, v18 :: v_dual_cndmask_b32 v17, 0, v17
	v_mul_f64 v[28:29], v[11:12], v[7:8]
	s_delay_alu instid0(VALU_DEP_2) | instskip(NEXT) | instid1(VALU_DEP_2)
	v_ldexp_f64 v[17:18], v[17:18], 2
	v_add_f64 v[24:25], v[28:29], v[13:14]
	v_fma_f64 v[7:8], v[11:12], v[7:8], -v[28:29]
	s_delay_alu instid0(VALU_DEP_2) | instskip(NEXT) | instid1(VALU_DEP_1)
	v_add_f64 v[20:21], v[24:25], v[15:16]
	v_add_f64 v[22:23], v[9:10], v[20:21]
	s_delay_alu instid0(VALU_DEP_1) | instskip(SKIP_1) | instid1(VALU_DEP_2)
	v_add_f64 v[26:27], v[22:23], v[17:18]
	v_add_f64 v[9:10], v[22:23], -v[9:10]
	v_cmp_gt_f64_e32 vcc_lo, 0, v[26:27]
	v_add_f64 v[26:27], v[24:25], -v[28:29]
	s_delay_alu instid0(VALU_DEP_3) | instskip(SKIP_1) | instid1(VALU_DEP_3)
	v_add_f64 v[9:10], v[20:21], -v[9:10]
	v_cndmask_b32_e64 v31, 0, 0x40100000, vcc_lo
	v_add_f64 v[35:36], v[24:25], -v[26:27]
	v_add_f64 v[13:14], v[13:14], -v[26:27]
	s_delay_alu instid0(VALU_DEP_3) | instskip(SKIP_1) | instid1(VALU_DEP_4)
	v_add_f64 v[17:18], v[17:18], v[30:31]
	v_add_f64 v[31:32], v[20:21], -v[24:25]
	v_add_f64 v[26:27], v[28:29], -v[35:36]
	s_delay_alu instid0(VALU_DEP_3) | instskip(NEXT) | instid1(VALU_DEP_3)
	v_add_f64 v[33:34], v[22:23], v[17:18]
	v_add_f64 v[37:38], v[20:21], -v[31:32]
	v_add_f64 v[15:16], v[15:16], -v[31:32]
	s_delay_alu instid0(VALU_DEP_4) | instskip(NEXT) | instid1(VALU_DEP_4)
	v_add_f64 v[13:14], v[13:14], v[26:27]
	v_cvt_i32_f64_e32 v33, v[33:34]
	s_delay_alu instid0(VALU_DEP_4) | instskip(NEXT) | instid1(VALU_DEP_2)
	v_add_f64 v[24:25], v[24:25], -v[37:38]
	v_cvt_f64_i32_e32 v[31:32], v33
	s_delay_alu instid0(VALU_DEP_2) | instskip(NEXT) | instid1(VALU_DEP_2)
	v_add_f64 v[15:16], v[15:16], v[24:25]
	v_add_f64 v[17:18], v[17:18], -v[31:32]
	s_delay_alu instid0(VALU_DEP_2) | instskip(NEXT) | instid1(VALU_DEP_2)
	v_add_f64 v[11:12], v[13:14], v[15:16]
	v_add_f64 v[13:14], v[22:23], v[17:18]
	s_delay_alu instid0(VALU_DEP_2) | instskip(NEXT) | instid1(VALU_DEP_2)
	v_add_f64 v[7:8], v[7:8], v[11:12]
	v_add_f64 v[11:12], v[13:14], -v[17:18]
	v_cmp_le_f64_e32 vcc_lo, 0.5, v[13:14]
	s_delay_alu instid0(VALU_DEP_3) | instskip(NEXT) | instid1(VALU_DEP_3)
	v_add_f64 v[7:8], v[9:10], v[7:8]
	v_add_f64 v[9:10], v[22:23], -v[11:12]
	v_cndmask_b32_e64 v31, 0, 0x3ff00000, vcc_lo
	v_add_co_ci_u32_e64 v20, s0, 0, v33, vcc_lo
	s_delay_alu instid0(VALU_DEP_3) | instskip(NEXT) | instid1(VALU_DEP_3)
	v_add_f64 v[7:8], v[7:8], v[9:10]
	v_add_f64 v[9:10], v[13:14], -v[30:31]
	s_delay_alu instid0(VALU_DEP_1) | instskip(NEXT) | instid1(VALU_DEP_1)
	v_add_f64 v[11:12], v[9:10], v[7:8]
	v_mul_f64 v[13:14], v[11:12], s[4:5]
	v_add_f64 v[9:10], v[11:12], -v[9:10]
	s_delay_alu instid0(VALU_DEP_2) | instskip(NEXT) | instid1(VALU_DEP_2)
	v_fma_f64 v[15:16], v[11:12], s[4:5], -v[13:14]
	v_add_f64 v[7:8], v[7:8], -v[9:10]
	s_delay_alu instid0(VALU_DEP_2) | instskip(NEXT) | instid1(VALU_DEP_1)
	v_fma_f64 v[9:10], v[11:12], s[6:7], v[15:16]
	v_fma_f64 v[9:10], v[7:8], s[4:5], v[9:10]
	s_delay_alu instid0(VALU_DEP_1) | instskip(NEXT) | instid1(VALU_DEP_1)
	v_add_f64 v[7:8], v[13:14], v[9:10]
	v_add_f64 v[11:12], v[7:8], -v[13:14]
	s_delay_alu instid0(VALU_DEP_1)
	v_add_f64 v[9:10], v[9:10], -v[11:12]
	s_and_not1_saveexec_b32 s0, s1
	s_cbranch_execnz .LBB6_65
	s_branch .LBB6_66
.LBB6_64:
	s_and_not1_saveexec_b32 s0, s1
	s_cbranch_execz .LBB6_66
.LBB6_65:
	s_mov_b32 s4, 0x6dc9c883
	s_mov_b32 s5, 0x3fe45f30
	;; [unrolled: 1-line block ×3, first 2 shown]
	v_mul_f64 v[7:8], |v[1:2]|, s[4:5]
	s_mov_b32 s4, 0x54442d18
	s_mov_b32 s5, 0xbff921fb
	s_mov_b32 s6, 0x33145c00
	s_delay_alu instid0(VALU_DEP_1) | instskip(NEXT) | instid1(VALU_DEP_1)
	v_rndne_f64_e32 v[11:12], v[7:8]
	v_fma_f64 v[7:8], v[11:12], s[4:5], |v[1:2]|
	v_mul_f64 v[9:10], v[11:12], s[6:7]
	s_mov_b32 s4, 0x252049c0
	s_mov_b32 s5, 0xb97b839a
	v_cvt_i32_f64_e32 v20, v[11:12]
	s_delay_alu instid0(VALU_DEP_3) | instskip(NEXT) | instid1(VALU_DEP_3)
	v_fma_f64 v[15:16], v[11:12], s[6:7], v[7:8]
	v_add_f64 v[13:14], v[7:8], v[9:10]
	s_mov_b32 s7, 0x3c91a626
	s_delay_alu instid0(VALU_DEP_1) | instskip(NEXT) | instid1(VALU_DEP_3)
	v_add_f64 v[7:8], v[7:8], -v[13:14]
	v_add_f64 v[13:14], v[13:14], -v[15:16]
	s_delay_alu instid0(VALU_DEP_2) | instskip(SKIP_1) | instid1(VALU_DEP_2)
	v_add_f64 v[7:8], v[7:8], v[9:10]
	v_fma_f64 v[9:10], v[11:12], s[6:7], v[9:10]
	v_add_f64 v[7:8], v[13:14], v[7:8]
	s_delay_alu instid0(VALU_DEP_1) | instskip(NEXT) | instid1(VALU_DEP_1)
	v_add_f64 v[7:8], v[7:8], -v[9:10]
	v_fma_f64 v[9:10], v[11:12], s[4:5], v[7:8]
	s_delay_alu instid0(VALU_DEP_1) | instskip(NEXT) | instid1(VALU_DEP_1)
	v_add_f64 v[7:8], v[15:16], v[9:10]
	v_add_f64 v[13:14], v[7:8], -v[15:16]
	s_delay_alu instid0(VALU_DEP_1)
	v_add_f64 v[9:10], v[9:10], -v[13:14]
.LBB6_66:
	s_or_b32 exec_lo, exec_lo, s0
	v_div_scale_f64 v[11:12], null, v[43:44], v[43:44], 0x40140000
	v_div_scale_f64 v[17:18], vcc_lo, 0x40140000, v[43:44], 0x40140000
	s_mov_b32 s0, 0x6b70ba40
	s_mov_b32 s1, 0x3faa27fa
	;; [unrolled: 1-line block ×6, first 2 shown]
	v_mul_f64 v[27:28], v[3:4], v[3:4]
	v_mul_f64 v[33:34], v[7:8], v[7:8]
	s_mov_b32 s8, 0x796cde01
	s_mov_b32 s9, 0x3ec71de3
	v_mul_f64 v[66:67], v[5:6], 0.5
	v_rcp_f64_e32 v[13:14], v[11:12]
	s_delay_alu instid0(VALU_DEP_3) | instskip(SKIP_1) | instid1(VALU_DEP_4)
	v_mul_f64 v[48:49], v[27:28], 0.5
	v_mul_f64 v[68:69], v[3:4], -v[27:28]
	v_mul_f64 v[74:75], v[7:8], -v[33:34]
	s_waitcnt_depctr 0xfff
	v_fma_f64 v[15:16], -v[11:12], v[13:14], 1.0
	s_delay_alu instid0(VALU_DEP_1) | instskip(NEXT) | instid1(VALU_DEP_1)
	v_fma_f64 v[13:14], v[13:14], v[15:16], v[13:14]
	v_fma_f64 v[15:16], -v[11:12], v[13:14], 1.0
	s_delay_alu instid0(VALU_DEP_1) | instskip(NEXT) | instid1(VALU_DEP_1)
	v_fma_f64 v[13:14], v[13:14], v[15:16], v[13:14]
	v_mul_f64 v[15:16], v[17:18], v[13:14]
	s_delay_alu instid0(VALU_DEP_1) | instskip(NEXT) | instid1(VALU_DEP_1)
	v_fma_f64 v[11:12], -v[11:12], v[15:16], v[17:18]
	v_div_fmas_f64 v[11:12], v[11:12], v[13:14], v[15:16]
	s_delay_alu instid0(VALU_DEP_1) | instskip(NEXT) | instid1(VALU_DEP_1)
	v_div_fixup_f64 v[11:12], v[11:12], v[43:44], 0x40140000
	v_mul_f64 v[13:14], v[11:12], v[11:12]
	s_delay_alu instid0(VALU_DEP_1)
	v_fma_f64 v[15:16], v[13:14], 0, s[0:1]
	s_mov_b32 s0, 0x4c6c651b
	s_mov_b32 s1, 0x3f48f92c
	v_fma_f64 v[17:18], v[13:14], 0, s[4:5]
	v_fma_f64 v[21:22], v[13:14], 0, s[0:1]
	s_mov_b32 s0, 0xc66d8fd6
	s_mov_b32 s1, 0x4013edb5
	v_fma_f64 v[23:24], v[13:14], 0, s[6:7]
	s_mov_b32 s4, 0x5948aa83
	s_mov_b32 s5, 0x3fb19fdd
	s_mov_b32 s6, 0xa20e5f6f
	s_mov_b32 s7, 0x409081cb
	s_delay_alu instid0(VALU_DEP_4) | instskip(SKIP_2) | instid1(VALU_DEP_4)
	v_fma_f64 v[15:16], v[13:14], v[15:16], s[0:1]
	s_mov_b32 s0, 0xa3fec4b6
	s_mov_b32 s1, 0x3fb2b948
	v_fma_f64 v[17:18], v[13:14], v[17:18], s[4:5]
	s_delay_alu instid0(VALU_DEP_4) | instskip(SKIP_2) | instid1(VALU_DEP_4)
	v_fma_f64 v[21:22], v[13:14], v[21:22], s[0:1]
	s_mov_b32 s0, 0x9acf1c67
	s_mov_b32 s1, 0x4052f4b9
	v_fma_f64 v[23:24], v[13:14], v[23:24], s[6:7]
	s_mov_b32 s4, 0xb850eed6
	s_mov_b32 s5, 0x3ff1aea9
	s_mov_b32 s6, 0x1bfdfe81
	s_mov_b32 s7, 0x40b37a69
	s_delay_alu instid0(VALU_DEP_4) | instskip(SKIP_2) | instid1(VALU_DEP_4)
	v_fma_f64 v[15:16], v[13:14], v[15:16], s[0:1]
	s_mov_b32 s0, 0xc21596d6
	s_mov_b32 s1, 0x3ff208fe
	v_fma_f64 v[17:18], v[13:14], v[17:18], s[4:5]
	s_delay_alu instid0(VALU_DEP_4) | instskip(SKIP_2) | instid1(VALU_DEP_4)
	;; [unrolled: 14-line block ×5, first 2 shown]
	v_fma_f64 v[21:22], v[13:14], v[21:22], s[0:1]
	s_mov_b32 s0, 0x4c54bb0b
	s_mov_b32 s1, 0x406a760a
	v_fma_f64 v[23:24], v[13:14], v[23:24], s[6:7]
	s_mov_b32 s4, 0x4d159eb5
	s_mov_b32 s5, 0x403934ff
	;; [unrolled: 1-line block ×4, first 2 shown]
	s_delay_alu instid0(VALU_DEP_4) | instskip(SKIP_2) | instid1(VALU_DEP_4)
	v_fma_f64 v[15:16], v[13:14], v[15:16], s[0:1]
	s_mov_b32 s0, 0x6ae75997
	s_mov_b32 s1, 0x4075017f
	v_fma_f64 v[17:18], v[13:14], v[17:18], 1.0
	s_delay_alu instid0(VALU_DEP_4) | instskip(NEXT) | instid1(VALU_DEP_4)
	v_fma_f64 v[21:22], v[13:14], v[21:22], 1.0
	v_fma_f64 v[23:24], v[13:14], v[23:24], s[0:1]
	s_mov_b32 s0, 0xb42fdfa7
	s_mov_b32 s1, 0xbe5ae600
	s_delay_alu instid0(VALU_DEP_4) | instskip(SKIP_2) | instid1(VALU_DEP_3)
	v_fma_f64 v[13:14], v[13:14], v[15:16], s[4:5]
	s_mov_b32 s4, 0xf9a43bb8
	s_mov_b32 s5, 0x3de5e0b2
	v_div_scale_f64 v[15:16], null, v[17:18], v[17:18], v[21:22]
	v_fma_f64 v[35:36], v[27:28], s[4:5], s[0:1]
	v_fma_f64 v[41:42], v[33:34], s[4:5], s[0:1]
	v_cmp_gt_f64_e64 s0, 0x10000000, v[43:44]
	s_mov_b32 s4, 0x9037ab78
	s_mov_b32 s5, 0x3e21eeb6
	v_div_scale_f64 v[72:73], vcc_lo, v[21:22], v[17:18], v[21:22]
	v_fma_f64 v[46:47], v[27:28], s[6:7], s[4:5]
	v_div_scale_f64 v[25:26], null, v[23:24], v[23:24], v[13:14]
	v_rcp_f64_e32 v[29:30], v[15:16]
	v_fma_f64 v[35:36], v[27:28], v[35:36], s[8:9]
	s_delay_alu instid0(VALU_DEP_2) | instskip(SKIP_3) | instid1(VALU_DEP_2)
	v_rcp_f64_e32 v[31:32], v[25:26]
	s_waitcnt_depctr 0xfff
	v_fma_f64 v[37:38], -v[15:16], v[29:30], 1.0
	v_fma_f64 v[39:40], -v[25:26], v[31:32], 1.0
	v_fma_f64 v[29:30], v[29:30], v[37:38], v[29:30]
	v_fma_f64 v[37:38], v[33:34], v[41:42], s[8:9]
	;; [unrolled: 1-line block ×3, first 2 shown]
	s_mov_b32 s6, 0x19e83e5c
	s_mov_b32 s7, 0xbf2a01a0
	;; [unrolled: 1-line block ×3, first 2 shown]
	v_fma_f64 v[35:36], v[27:28], v[35:36], s[6:7]
	s_mov_b32 s5, 0xbe927e4f
	s_delay_alu instid0(SALU_CYCLE_1) | instskip(SKIP_4) | instid1(VALU_DEP_3)
	v_fma_f64 v[46:47], v[27:28], v[46:47], s[4:5]
	v_fma_f64 v[31:32], v[31:32], v[39:40], v[31:32]
	v_cndmask_b32_e64 v39, 0, 1, s0
	v_fma_f64 v[52:53], -v[15:16], v[29:30], 1.0
	v_fma_f64 v[37:38], v[33:34], v[37:38], s[6:7]
	v_lshlrev_b32_e32 v50, 8, v39
	v_mul_f64 v[39:40], v[33:34], 0.5
	v_fma_f64 v[41:42], v[33:34], v[41:42], s[4:5]
	s_mov_b32 s6, 0x11110bb3
	s_mov_b32 s7, 0x3f811111
	v_ldexp_f64 v[43:44], v[43:44], v50
	v_add_f64 v[50:51], -v[48:49], 1.0
	v_fma_f64 v[35:36], v[27:28], v[35:36], s[6:7]
	s_mov_b32 s4, 0x19f4ec90
	s_mov_b32 s5, 0x3efa01a0
	s_delay_alu instid0(SALU_CYCLE_1)
	v_fma_f64 v[46:47], v[27:28], v[46:47], s[4:5]
	v_fma_f64 v[54:55], -v[25:26], v[31:32], 1.0
	v_fma_f64 v[29:30], v[29:30], v[52:53], v[29:30]
	v_div_scale_f64 v[52:53], s1, v[13:14], v[23:24], v[13:14]
	v_add_f64 v[58:59], -v[39:40], 1.0
	v_fma_f64 v[37:38], v[33:34], v[37:38], s[6:7]
	v_fma_f64 v[41:42], v[33:34], v[41:42], s[4:5]
	s_mov_b32 s4, 0x16c16967
	v_rsq_f64_e32 v[64:65], v[43:44]
	v_add_f64 v[70:71], -v[50:51], 1.0
	v_fma_f64 v[35:36], v[68:69], v[35:36], v[66:67]
	s_mov_b32 s5, 0xbf56c16c
	s_delay_alu instid0(SALU_CYCLE_1)
	v_fma_f64 v[46:47], v[27:28], v[46:47], s[4:5]
	v_fma_f64 v[31:32], v[31:32], v[54:55], v[31:32]
	v_mul_f64 v[54:55], v[9:10], 0.5
	v_mul_f64 v[66:67], v[72:73], v[29:30]
	v_add_f64 v[76:77], -v[58:59], 1.0
	v_fma_f64 v[41:42], v[33:34], v[41:42], s[4:5]
	s_mov_b32 s4, 0x55555555
	s_mov_b32 s5, 0x3fa55555
	v_add_f64 v[48:49], v[70:71], -v[48:49]
	s_delay_alu instid0(TRANS32_DEP_1)
	v_mul_f64 v[78:79], v[43:44], v[64:65]
	v_mul_f64 v[64:65], v[64:65], 0.5
	v_fma_f64 v[46:47], v[27:28], v[46:47], s[4:5]
	v_mul_f64 v[70:71], v[52:53], v[31:32]
	v_fma_f64 v[37:38], v[74:75], v[37:38], v[54:55]
	v_mul_f64 v[54:55], v[27:28], v[27:28]
	v_fma_f64 v[15:16], -v[15:16], v[66:67], v[72:73]
	v_add_f64 v[39:40], v[76:77], -v[39:40]
	v_fma_f64 v[48:49], v[3:4], -v[5:6], v[48:49]
	v_fma_f64 v[5:6], v[27:28], v[35:36], -v[5:6]
	v_fma_f64 v[76:77], -v[64:65], v[78:79], 0.5
	v_mul_f64 v[35:36], v[33:34], v[33:34]
	v_fma_f64 v[25:26], -v[25:26], v[70:71], v[52:53]
	v_fma_f64 v[27:28], v[33:34], v[37:38], -v[9:10]
	v_fma_f64 v[33:34], v[33:34], v[41:42], s[4:5]
	s_mov_b32 s5, 0xbfc55555
	v_div_fmas_f64 v[15:16], v[15:16], v[29:30], v[66:67]
	s_mov_b32 vcc_lo, s1
	v_cmp_class_f64_e64 s1, v[1:2], 0x1f8
	v_fma_f64 v[9:10], v[7:8], -v[9:10], v[39:40]
	v_and_b32_e32 v1, 1, v20
	v_fma_f64 v[39:40], v[54:55], v[46:47], v[48:49]
	v_fma_f64 v[5:6], v[68:69], s[4:5], v[5:6]
	;; [unrolled: 1-line block ×4, first 2 shown]
	v_cmp_eq_u32_e64 s2, 0, v1
	v_div_fmas_f64 v[25:26], v[25:26], v[31:32], v[70:71]
	v_fma_f64 v[27:28], v[74:75], s[4:5], v[27:28]
	v_fma_f64 v[9:10], v[35:36], v[33:34], v[9:10]
	v_add_f64 v[33:34], v[50:51], v[39:40]
	v_add_f64 v[3:4], v[3:4], -v[5:6]
	v_fma_f64 v[31:32], -v[37:38], v[37:38], v[43:44]
	v_div_fixup_f64 v[5:6], v[25:26], v[23:24], v[13:14]
	v_add_f64 v[7:8], v[7:8], -v[27:28]
	v_and_b32_e32 v23, 1, v19
	v_add_f64 v[9:10], v[58:59], v[9:10]
	s_delay_alu instid0(VALU_DEP_2)
	v_cmp_eq_u32_e32 vcc_lo, 0, v23
	v_cndmask_b32_e32 v3, v33, v3, vcc_lo
	v_fma_f64 v[13:14], v[31:32], v[29:30], v[37:38]
	v_mul_f64 v[5:6], v[11:12], v[5:6]
	v_lshlrev_b32_e32 v11, 30, v20
	v_xor_b32_e32 v8, 0x80000000, v8
	s_delay_alu instid0(VALU_DEP_2) | instskip(SKIP_1) | instid1(VALU_DEP_3)
	v_and_b32_e32 v1, 0x80000000, v11
	v_cndmask_b32_e64 v9, v7, v9, s2
	v_cndmask_b32_e64 v7, v8, v10, s2
	v_div_fixup_f64 v[11:12], v[15:16], v[17:18], v[21:22]
	s_delay_alu instid0(VALU_DEP_3) | instskip(NEXT) | instid1(VALU_DEP_3)
	v_cndmask_b32_e64 v9, 0, v9, s1
	v_xor_b32_e32 v10, v7, v1
	v_fma_f64 v[7:8], -v[13:14], v[13:14], v[43:44]
	v_cndmask_b32_e64 v1, 0, v3, s1
	v_lshlrev_b32_e32 v3, 30, v19
	s_delay_alu instid0(VALU_DEP_4) | instskip(NEXT) | instid1(VALU_DEP_2)
	v_cndmask_b32_e64 v10, 0x7ff80000, v10, s1
	v_xor_b32_e32 v2, v3, v2
	v_cndmask_b32_e32 v3, v34, v4, vcc_lo
	v_cmp_class_f64_e64 vcc_lo, v[43:44], 0x260
	s_delay_alu instid0(VALU_DEP_3) | instskip(NEXT) | instid1(VALU_DEP_1)
	v_and_b32_e32 v2, 0x80000000, v2
	v_xor_b32_e32 v2, v3, v2
	s_delay_alu instid0(VALU_DEP_1) | instskip(SKIP_2) | instid1(VALU_DEP_2)
	v_cndmask_b32_e64 v2, 0x7ff80000, v2, s1
	v_mul_f64 v[5:6], v[5:6], v[9:10]
	v_fma_f64 v[3:4], v[7:8], v[29:30], v[13:14]
	v_fma_f64 v[1:2], v[11:12], v[1:2], v[5:6]
	v_cndmask_b32_e64 v5, 0, 0xffffff80, s0
	s_mov_b32 s0, 0x33d43651
	s_mov_b32 s1, 0x3fe98845
	s_delay_alu instid0(VALU_DEP_1) | instskip(NEXT) | instid1(VALU_DEP_3)
	v_ldexp_f64 v[3:4], v[3:4], v5
	v_mul_f64 v[1:2], v[1:2], s[0:1]
	s_delay_alu instid0(VALU_DEP_2) | instskip(NEXT) | instid1(VALU_DEP_1)
	v_dual_cndmask_b32 v4, v4, v44 :: v_dual_cndmask_b32 v3, v3, v43
	v_div_scale_f64 v[5:6], null, v[3:4], v[3:4], v[1:2]
	s_delay_alu instid0(VALU_DEP_1) | instskip(SKIP_2) | instid1(VALU_DEP_1)
	v_rcp_f64_e32 v[7:8], v[5:6]
	s_waitcnt_depctr 0xfff
	v_fma_f64 v[9:10], -v[5:6], v[7:8], 1.0
	v_fma_f64 v[7:8], v[7:8], v[9:10], v[7:8]
	s_delay_alu instid0(VALU_DEP_1) | instskip(NEXT) | instid1(VALU_DEP_1)
	v_fma_f64 v[9:10], -v[5:6], v[7:8], 1.0
	v_fma_f64 v[7:8], v[7:8], v[9:10], v[7:8]
	v_div_scale_f64 v[9:10], vcc_lo, v[1:2], v[3:4], v[1:2]
	s_delay_alu instid0(VALU_DEP_1) | instskip(NEXT) | instid1(VALU_DEP_1)
	v_mul_f64 v[11:12], v[9:10], v[7:8]
	v_fma_f64 v[5:6], -v[5:6], v[11:12], v[9:10]
	s_delay_alu instid0(VALU_DEP_1) | instskip(NEXT) | instid1(VALU_DEP_1)
	v_div_fmas_f64 v[5:6], v[5:6], v[7:8], v[11:12]
	v_div_fixup_f64 v[58:59], v[5:6], v[3:4], v[1:2]
.LBB6_67:
	s_or_b32 exec_lo, exec_lo, s3
	s_add_u32 s2, s36, s40
	s_addc_u32 s3, s37, s41
	v_add_co_u32 v1, s0, s2, v45
	s_delay_alu instid0(VALU_DEP_1) | instskip(NEXT) | instid1(VALU_DEP_2)
	v_add_co_ci_u32_e64 v2, null, s3, 0, s0
	v_add_co_u32 v1, vcc_lo, 0x1000, v1
	s_delay_alu instid0(VALU_DEP_2)
	v_add_co_ci_u32_e32 v2, vcc_lo, 0, v2, vcc_lo
	s_clause 0x1
	global_store_b128 v45, v[60:63], s[2:3]
	global_store_b128 v[1:2], v[56:59], off
.LBB6_68:
	s_endpgm
	.section	.rodata,"a",@progbits
	.p2align	6, 0x0
	.amdhsa_kernel _ZN2at6native29vectorized_elementwise_kernelILi2EZZZNS0_12_GLOBAL__N_121bessel_y1_kernel_cudaERNS_18TensorIteratorBaseEENKUlvE_clEvENKUlvE_clEvEUldE_St5arrayIPcLm2EEEEviT0_T1_
		.amdhsa_group_segment_fixed_size 0
		.amdhsa_private_segment_fixed_size 128
		.amdhsa_kernarg_size 24
		.amdhsa_user_sgpr_count 15
		.amdhsa_user_sgpr_dispatch_ptr 0
		.amdhsa_user_sgpr_queue_ptr 0
		.amdhsa_user_sgpr_kernarg_segment_ptr 1
		.amdhsa_user_sgpr_dispatch_id 0
		.amdhsa_user_sgpr_private_segment_size 0
		.amdhsa_wavefront_size32 1
		.amdhsa_uses_dynamic_stack 1
		.amdhsa_enable_private_segment 1
		.amdhsa_system_sgpr_workgroup_id_x 1
		.amdhsa_system_sgpr_workgroup_id_y 0
		.amdhsa_system_sgpr_workgroup_id_z 0
		.amdhsa_system_sgpr_workgroup_info 0
		.amdhsa_system_vgpr_workitem_id 0
		.amdhsa_next_free_vgpr 116
		.amdhsa_next_free_sgpr 46
		.amdhsa_reserve_vcc 1
		.amdhsa_float_round_mode_32 0
		.amdhsa_float_round_mode_16_64 0
		.amdhsa_float_denorm_mode_32 3
		.amdhsa_float_denorm_mode_16_64 3
		.amdhsa_dx10_clamp 1
		.amdhsa_ieee_mode 1
		.amdhsa_fp16_overflow 0
		.amdhsa_workgroup_processor_mode 1
		.amdhsa_memory_ordered 1
		.amdhsa_forward_progress 0
		.amdhsa_shared_vgpr_count 0
		.amdhsa_exception_fp_ieee_invalid_op 0
		.amdhsa_exception_fp_denorm_src 0
		.amdhsa_exception_fp_ieee_div_zero 0
		.amdhsa_exception_fp_ieee_overflow 0
		.amdhsa_exception_fp_ieee_underflow 0
		.amdhsa_exception_fp_ieee_inexact 0
		.amdhsa_exception_int_div_zero 0
	.end_amdhsa_kernel
	.section	.text._ZN2at6native29vectorized_elementwise_kernelILi2EZZZNS0_12_GLOBAL__N_121bessel_y1_kernel_cudaERNS_18TensorIteratorBaseEENKUlvE_clEvENKUlvE_clEvEUldE_St5arrayIPcLm2EEEEviT0_T1_,"axG",@progbits,_ZN2at6native29vectorized_elementwise_kernelILi2EZZZNS0_12_GLOBAL__N_121bessel_y1_kernel_cudaERNS_18TensorIteratorBaseEENKUlvE_clEvENKUlvE_clEvEUldE_St5arrayIPcLm2EEEEviT0_T1_,comdat
.Lfunc_end6:
	.size	_ZN2at6native29vectorized_elementwise_kernelILi2EZZZNS0_12_GLOBAL__N_121bessel_y1_kernel_cudaERNS_18TensorIteratorBaseEENKUlvE_clEvENKUlvE_clEvEUldE_St5arrayIPcLm2EEEEviT0_T1_, .Lfunc_end6-_ZN2at6native29vectorized_elementwise_kernelILi2EZZZNS0_12_GLOBAL__N_121bessel_y1_kernel_cudaERNS_18TensorIteratorBaseEENKUlvE_clEvENKUlvE_clEvEUldE_St5arrayIPcLm2EEEEviT0_T1_
                                        ; -- End function
	.section	.AMDGPU.csdata,"",@progbits
; Kernel info:
; codeLenInByte = 22896
; NumSgprs: 48
; NumVgprs: 116
; ScratchSize: 128
; MemoryBound: 0
; FloatMode: 240
; IeeeMode: 1
; LDSByteSize: 0 bytes/workgroup (compile time only)
; SGPRBlocks: 5
; VGPRBlocks: 14
; NumSGPRsForWavesPerEU: 48
; NumVGPRsForWavesPerEU: 116
; Occupancy: 12
; WaveLimiterHint : 1
; COMPUTE_PGM_RSRC2:SCRATCH_EN: 1
; COMPUTE_PGM_RSRC2:USER_SGPR: 15
; COMPUTE_PGM_RSRC2:TRAP_HANDLER: 0
; COMPUTE_PGM_RSRC2:TGID_X_EN: 1
; COMPUTE_PGM_RSRC2:TGID_Y_EN: 0
; COMPUTE_PGM_RSRC2:TGID_Z_EN: 0
; COMPUTE_PGM_RSRC2:TIDIG_COMP_CNT: 0
	.section	.text._ZN2at6native27unrolled_elementwise_kernelIZZZNS0_12_GLOBAL__N_121bessel_y1_kernel_cudaERNS_18TensorIteratorBaseEENKUlvE_clEvENKUlvE_clEvEUldE_St5arrayIPcLm2EELi4E23TrivialOffsetCalculatorILi1EjESC_NS0_6memory15LoadWithoutCastENSD_16StoreWithoutCastEEEviT_T0_T2_T3_T4_T5_,"axG",@progbits,_ZN2at6native27unrolled_elementwise_kernelIZZZNS0_12_GLOBAL__N_121bessel_y1_kernel_cudaERNS_18TensorIteratorBaseEENKUlvE_clEvENKUlvE_clEvEUldE_St5arrayIPcLm2EELi4E23TrivialOffsetCalculatorILi1EjESC_NS0_6memory15LoadWithoutCastENSD_16StoreWithoutCastEEEviT_T0_T2_T3_T4_T5_,comdat
	.globl	_ZN2at6native27unrolled_elementwise_kernelIZZZNS0_12_GLOBAL__N_121bessel_y1_kernel_cudaERNS_18TensorIteratorBaseEENKUlvE_clEvENKUlvE_clEvEUldE_St5arrayIPcLm2EELi4E23TrivialOffsetCalculatorILi1EjESC_NS0_6memory15LoadWithoutCastENSD_16StoreWithoutCastEEEviT_T0_T2_T3_T4_T5_ ; -- Begin function _ZN2at6native27unrolled_elementwise_kernelIZZZNS0_12_GLOBAL__N_121bessel_y1_kernel_cudaERNS_18TensorIteratorBaseEENKUlvE_clEvENKUlvE_clEvEUldE_St5arrayIPcLm2EELi4E23TrivialOffsetCalculatorILi1EjESC_NS0_6memory15LoadWithoutCastENSD_16StoreWithoutCastEEEviT_T0_T2_T3_T4_T5_
	.p2align	8
	.type	_ZN2at6native27unrolled_elementwise_kernelIZZZNS0_12_GLOBAL__N_121bessel_y1_kernel_cudaERNS_18TensorIteratorBaseEENKUlvE_clEvENKUlvE_clEvEUldE_St5arrayIPcLm2EELi4E23TrivialOffsetCalculatorILi1EjESC_NS0_6memory15LoadWithoutCastENSD_16StoreWithoutCastEEEviT_T0_T2_T3_T4_T5_,@function
_ZN2at6native27unrolled_elementwise_kernelIZZZNS0_12_GLOBAL__N_121bessel_y1_kernel_cudaERNS_18TensorIteratorBaseEENKUlvE_clEvENKUlvE_clEvEUldE_St5arrayIPcLm2EELi4E23TrivialOffsetCalculatorILi1EjESC_NS0_6memory15LoadWithoutCastENSD_16StoreWithoutCastEEEviT_T0_T2_T3_T4_T5_: ; @_ZN2at6native27unrolled_elementwise_kernelIZZZNS0_12_GLOBAL__N_121bessel_y1_kernel_cudaERNS_18TensorIteratorBaseEENKUlvE_clEvENKUlvE_clEvEUldE_St5arrayIPcLm2EELi4E23TrivialOffsetCalculatorILi1EjESC_NS0_6memory15LoadWithoutCastENSD_16StoreWithoutCastEEEviT_T0_T2_T3_T4_T5_
; %bb.0:
	s_clause 0x1
	s_load_b32 s6, s[0:1], 0x0
	s_load_b128 s[0:3], s[0:1], 0x8
	s_lshl_b32 s7, s15, 10
	s_getpc_b64 s[4:5]
	s_add_u32 s4, s4, _ZN2at6native25elementwise_kernel_helperILb0EZZZNS0_12_GLOBAL__N_121bessel_y1_kernel_cudaERNS_18TensorIteratorBaseEENKUlvE_clEvENKUlvE_clEvEUldE_NS0_6memory8policies11unroll_baseILi256ESt5arrayIPcLm2EE23TrivialOffsetCalculatorILi1EjESF_NS8_15LoadWithoutCastENS8_16StoreWithoutCastELi4ELi1EEEEEvT0_T1_@rel32@lo+4
	s_addc_u32 s5, s5, _ZN2at6native25elementwise_kernel_helperILb0EZZZNS0_12_GLOBAL__N_121bessel_y1_kernel_cudaERNS_18TensorIteratorBaseEENKUlvE_clEvENKUlvE_clEvEUldE_NS0_6memory8policies11unroll_baseILi256ESt5arrayIPcLm2EE23TrivialOffsetCalculatorILi1EjESF_NS8_15LoadWithoutCastENS8_16StoreWithoutCastELi4ELi1EEEEEvT0_T1_@rel32@hi+12
	v_mov_b32_e32 v31, v0
	s_mov_b32 s12, s15
	s_mov_b32 s32, 0
	s_waitcnt lgkmcnt(0)
	s_sub_i32 s6, s6, s7
	v_dual_mov_b32 v0, s0 :: v_dual_mov_b32 v1, s1
	v_dual_mov_b32 v2, s2 :: v_dual_mov_b32 v3, s3
	v_mov_b32_e32 v4, s6
	s_swappc_b64 s[30:31], s[4:5]
	s_endpgm
	.section	.rodata,"a",@progbits
	.p2align	6, 0x0
	.amdhsa_kernel _ZN2at6native27unrolled_elementwise_kernelIZZZNS0_12_GLOBAL__N_121bessel_y1_kernel_cudaERNS_18TensorIteratorBaseEENKUlvE_clEvENKUlvE_clEvEUldE_St5arrayIPcLm2EELi4E23TrivialOffsetCalculatorILi1EjESC_NS0_6memory15LoadWithoutCastENSD_16StoreWithoutCastEEEviT_T0_T2_T3_T4_T5_
		.amdhsa_group_segment_fixed_size 0
		.amdhsa_private_segment_fixed_size 128
		.amdhsa_kernarg_size 28
		.amdhsa_user_sgpr_count 15
		.amdhsa_user_sgpr_dispatch_ptr 0
		.amdhsa_user_sgpr_queue_ptr 0
		.amdhsa_user_sgpr_kernarg_segment_ptr 1
		.amdhsa_user_sgpr_dispatch_id 0
		.amdhsa_user_sgpr_private_segment_size 0
		.amdhsa_wavefront_size32 1
		.amdhsa_uses_dynamic_stack 1
		.amdhsa_enable_private_segment 1
		.amdhsa_system_sgpr_workgroup_id_x 1
		.amdhsa_system_sgpr_workgroup_id_y 0
		.amdhsa_system_sgpr_workgroup_id_z 0
		.amdhsa_system_sgpr_workgroup_info 0
		.amdhsa_system_vgpr_workitem_id 0
		.amdhsa_next_free_vgpr 116
		.amdhsa_next_free_sgpr 41
		.amdhsa_reserve_vcc 1
		.amdhsa_float_round_mode_32 0
		.amdhsa_float_round_mode_16_64 0
		.amdhsa_float_denorm_mode_32 3
		.amdhsa_float_denorm_mode_16_64 3
		.amdhsa_dx10_clamp 1
		.amdhsa_ieee_mode 1
		.amdhsa_fp16_overflow 0
		.amdhsa_workgroup_processor_mode 1
		.amdhsa_memory_ordered 1
		.amdhsa_forward_progress 0
		.amdhsa_shared_vgpr_count 0
		.amdhsa_exception_fp_ieee_invalid_op 0
		.amdhsa_exception_fp_denorm_src 0
		.amdhsa_exception_fp_ieee_div_zero 0
		.amdhsa_exception_fp_ieee_overflow 0
		.amdhsa_exception_fp_ieee_underflow 0
		.amdhsa_exception_fp_ieee_inexact 0
		.amdhsa_exception_int_div_zero 0
	.end_amdhsa_kernel
	.section	.text._ZN2at6native27unrolled_elementwise_kernelIZZZNS0_12_GLOBAL__N_121bessel_y1_kernel_cudaERNS_18TensorIteratorBaseEENKUlvE_clEvENKUlvE_clEvEUldE_St5arrayIPcLm2EELi4E23TrivialOffsetCalculatorILi1EjESC_NS0_6memory15LoadWithoutCastENSD_16StoreWithoutCastEEEviT_T0_T2_T3_T4_T5_,"axG",@progbits,_ZN2at6native27unrolled_elementwise_kernelIZZZNS0_12_GLOBAL__N_121bessel_y1_kernel_cudaERNS_18TensorIteratorBaseEENKUlvE_clEvENKUlvE_clEvEUldE_St5arrayIPcLm2EELi4E23TrivialOffsetCalculatorILi1EjESC_NS0_6memory15LoadWithoutCastENSD_16StoreWithoutCastEEEviT_T0_T2_T3_T4_T5_,comdat
.Lfunc_end7:
	.size	_ZN2at6native27unrolled_elementwise_kernelIZZZNS0_12_GLOBAL__N_121bessel_y1_kernel_cudaERNS_18TensorIteratorBaseEENKUlvE_clEvENKUlvE_clEvEUldE_St5arrayIPcLm2EELi4E23TrivialOffsetCalculatorILi1EjESC_NS0_6memory15LoadWithoutCastENSD_16StoreWithoutCastEEEviT_T0_T2_T3_T4_T5_, .Lfunc_end7-_ZN2at6native27unrolled_elementwise_kernelIZZZNS0_12_GLOBAL__N_121bessel_y1_kernel_cudaERNS_18TensorIteratorBaseEENKUlvE_clEvENKUlvE_clEvEUldE_St5arrayIPcLm2EELi4E23TrivialOffsetCalculatorILi1EjESC_NS0_6memory15LoadWithoutCastENSD_16StoreWithoutCastEEEviT_T0_T2_T3_T4_T5_
                                        ; -- End function
	.section	.AMDGPU.csdata,"",@progbits
; Kernel info:
; codeLenInByte = 92
; NumSgprs: 43
; NumVgprs: 116
; ScratchSize: 128
; MemoryBound: 0
; FloatMode: 240
; IeeeMode: 1
; LDSByteSize: 0 bytes/workgroup (compile time only)
; SGPRBlocks: 5
; VGPRBlocks: 14
; NumSGPRsForWavesPerEU: 43
; NumVGPRsForWavesPerEU: 116
; Occupancy: 12
; WaveLimiterHint : 0
; COMPUTE_PGM_RSRC2:SCRATCH_EN: 1
; COMPUTE_PGM_RSRC2:USER_SGPR: 15
; COMPUTE_PGM_RSRC2:TRAP_HANDLER: 0
; COMPUTE_PGM_RSRC2:TGID_X_EN: 1
; COMPUTE_PGM_RSRC2:TGID_Y_EN: 0
; COMPUTE_PGM_RSRC2:TGID_Z_EN: 0
; COMPUTE_PGM_RSRC2:TIDIG_COMP_CNT: 0
	.section	.text._ZN2at6native32elementwise_kernel_manual_unrollILi128ELi4EZNS0_22gpu_kernel_impl_nocastIZZZNS0_12_GLOBAL__N_121bessel_y1_kernel_cudaERNS_18TensorIteratorBaseEENKUlvE_clEvENKUlvE_clEvEUldE_EEvS5_RKT_EUlibE_EEviT1_,"axG",@progbits,_ZN2at6native32elementwise_kernel_manual_unrollILi128ELi4EZNS0_22gpu_kernel_impl_nocastIZZZNS0_12_GLOBAL__N_121bessel_y1_kernel_cudaERNS_18TensorIteratorBaseEENKUlvE_clEvENKUlvE_clEvEUldE_EEvS5_RKT_EUlibE_EEviT1_,comdat
	.globl	_ZN2at6native32elementwise_kernel_manual_unrollILi128ELi4EZNS0_22gpu_kernel_impl_nocastIZZZNS0_12_GLOBAL__N_121bessel_y1_kernel_cudaERNS_18TensorIteratorBaseEENKUlvE_clEvENKUlvE_clEvEUldE_EEvS5_RKT_EUlibE_EEviT1_ ; -- Begin function _ZN2at6native32elementwise_kernel_manual_unrollILi128ELi4EZNS0_22gpu_kernel_impl_nocastIZZZNS0_12_GLOBAL__N_121bessel_y1_kernel_cudaERNS_18TensorIteratorBaseEENKUlvE_clEvENKUlvE_clEvEUldE_EEvS5_RKT_EUlibE_EEviT1_
	.p2align	8
	.type	_ZN2at6native32elementwise_kernel_manual_unrollILi128ELi4EZNS0_22gpu_kernel_impl_nocastIZZZNS0_12_GLOBAL__N_121bessel_y1_kernel_cudaERNS_18TensorIteratorBaseEENKUlvE_clEvENKUlvE_clEvEUldE_EEvS5_RKT_EUlibE_EEviT1_,@function
_ZN2at6native32elementwise_kernel_manual_unrollILi128ELi4EZNS0_22gpu_kernel_impl_nocastIZZZNS0_12_GLOBAL__N_121bessel_y1_kernel_cudaERNS_18TensorIteratorBaseEENKUlvE_clEvENKUlvE_clEvEUldE_EEvS5_RKT_EUlibE_EEviT1_: ; @_ZN2at6native32elementwise_kernel_manual_unrollILi128ELi4EZNS0_22gpu_kernel_impl_nocastIZZZNS0_12_GLOBAL__N_121bessel_y1_kernel_cudaERNS_18TensorIteratorBaseEENKUlvE_clEvENKUlvE_clEvEUldE_EEvS5_RKT_EUlibE_EEviT1_
; %bb.0:
	s_clause 0x1
	s_load_b32 s35, s[0:1], 0x8
	s_load_b32 s58, s[0:1], 0x0
	v_lshl_or_b32 v45, s15, 9, v0
	s_or_b32 s0, s0, 8
	s_mov_b32 s32, 0
	s_mov_b32 s2, exec_lo
	s_delay_alu instid0(VALU_DEP_1) | instskip(SKIP_2) | instid1(SALU_CYCLE_1)
	v_or_b32_e32 v1, 0x180, v45
	s_waitcnt lgkmcnt(0)
	s_add_i32 s54, s35, -1
	s_cmp_gt_u32 s54, 1
	s_cselect_b32 s55, -1, 0
	v_cmpx_le_i32_e64 s58, v1
	s_xor_b32 s56, exec_lo, s2
	s_cbranch_execz .LBB8_7
; %bb.1:
	s_clause 0x3
	s_load_b128 s[44:47], s[0:1], 0x4
	s_load_b64 s[48:49], s[0:1], 0x14
	s_load_b128 s[40:43], s[0:1], 0xc4
	s_load_b128 s[36:39], s[0:1], 0x148
	s_cmp_lg_u32 s35, 0
	s_mov_b32 s61, exec_lo
	s_cselect_b32 s60, -1, 0
	s_add_u32 s50, s0, 0xc4
	s_addc_u32 s51, s1, 0
	s_min_u32 s59, s54, 15
	s_cmp_gt_u32 s35, 1
	s_cselect_b32 s57, -1, 0
	v_cmpx_gt_i32_e64 s58, v45
	s_cbranch_execz .LBB8_14
; %bb.2:
	s_and_not1_b32 vcc_lo, exec_lo, s55
	s_cbranch_vccnz .LBB8_21
; %bb.3:
	v_dual_mov_b32 v43, 0 :: v_dual_mov_b32 v0, 0
	s_and_not1_b32 vcc_lo, exec_lo, s60
	s_mov_b32 s6, 0
	s_cbranch_vccnz .LBB8_137
; %bb.4:
	v_mov_b32_e32 v43, 0
	s_add_i32 s8, s59, 1
	s_cmp_eq_u32 s54, 2
	s_mov_b32 s7, 0
	s_cbranch_scc1 .LBB8_133
; %bb.5:
	v_dual_mov_b32 v0, 0 :: v_dual_mov_b32 v43, 0
	v_mov_b32_e32 v1, v45
	s_and_b32 s7, s8, 28
	s_mov_b32 s9, 0
	s_mov_b64 s[2:3], s[50:51]
	s_mov_b64 s[4:5], s[0:1]
.LBB8_6:                                ; =>This Inner Loop Header: Depth=1
	s_clause 0x1
	s_load_b256 s[12:19], s[4:5], 0x4
	s_load_b128 s[28:31], s[4:5], 0x24
	s_load_b256 s[20:27], s[2:3], 0x0
	s_add_u32 s4, s4, 48
	s_addc_u32 s5, s5, 0
	s_add_i32 s9, s9, 4
	s_add_u32 s2, s2, 32
	s_addc_u32 s3, s3, 0
	s_cmp_lg_u32 s7, s9
	s_waitcnt lgkmcnt(0)
	v_mul_hi_u32 v2, s13, v1
	s_delay_alu instid0(VALU_DEP_1) | instskip(NEXT) | instid1(VALU_DEP_1)
	v_add_nc_u32_e32 v2, v1, v2
	v_lshrrev_b32_e32 v2, s14, v2
	s_delay_alu instid0(VALU_DEP_1) | instskip(SKIP_1) | instid1(VALU_DEP_2)
	v_mul_hi_u32 v3, s16, v2
	v_mul_lo_u32 v5, v2, s12
	v_add_nc_u32_e32 v3, v2, v3
	s_delay_alu instid0(VALU_DEP_2) | instskip(NEXT) | instid1(VALU_DEP_2)
	v_sub_nc_u32_e32 v1, v1, v5
	v_lshrrev_b32_e32 v3, s17, v3
	s_delay_alu instid0(VALU_DEP_2) | instskip(SKIP_1) | instid1(VALU_DEP_3)
	v_mul_lo_u32 v5, v1, s20
	v_mul_lo_u32 v7, v1, s21
	v_mul_hi_u32 v4, s19, v3
	s_delay_alu instid0(VALU_DEP_1) | instskip(NEXT) | instid1(VALU_DEP_1)
	v_add_nc_u32_e32 v4, v3, v4
	v_lshrrev_b32_e32 v4, s28, v4
	s_delay_alu instid0(VALU_DEP_1) | instskip(SKIP_1) | instid1(VALU_DEP_2)
	v_mul_hi_u32 v6, s30, v4
	v_mul_lo_u32 v8, v4, s18
	v_add_nc_u32_e32 v1, v4, v6
	v_mul_lo_u32 v6, v3, s15
	s_delay_alu instid0(VALU_DEP_3) | instskip(NEXT) | instid1(VALU_DEP_3)
	v_sub_nc_u32_e32 v3, v3, v8
	v_lshrrev_b32_e32 v1, s31, v1
	s_delay_alu instid0(VALU_DEP_2) | instskip(SKIP_2) | instid1(VALU_DEP_4)
	v_mul_lo_u32 v8, v3, s24
	v_mul_lo_u32 v3, v3, s25
	v_sub_nc_u32_e32 v2, v2, v6
	v_mul_lo_u32 v9, v1, s29
	s_delay_alu instid0(VALU_DEP_2) | instskip(SKIP_1) | instid1(VALU_DEP_3)
	v_mul_lo_u32 v6, v2, s22
	v_mul_lo_u32 v2, v2, s23
	v_sub_nc_u32_e32 v4, v4, v9
	s_delay_alu instid0(VALU_DEP_3) | instskip(NEXT) | instid1(VALU_DEP_2)
	v_add3_u32 v5, v5, v43, v6
	v_mul_lo_u32 v9, v4, s26
	v_mul_lo_u32 v4, v4, s27
	v_add3_u32 v0, v7, v0, v2
	s_delay_alu instid0(VALU_DEP_3) | instskip(NEXT) | instid1(VALU_DEP_2)
	v_add3_u32 v43, v8, v5, v9
	v_add3_u32 v0, v3, v0, v4
	s_cbranch_scc1 .LBB8_6
	s_branch .LBB8_134
.LBB8_7:
	s_and_not1_saveexec_b32 s2, s56
	s_cbranch_execz .LBB8_190
.LBB8_8:
	v_cndmask_b32_e64 v2, 0, 1, s55
	s_and_not1_b32 vcc_lo, exec_lo, s55
	s_cbranch_vccnz .LBB8_20
; %bb.9:
	v_dual_mov_b32 v43, 0 :: v_dual_mov_b32 v0, 0
	s_cmp_lg_u32 s35, 0
	s_mov_b32 s6, 0
	s_cbranch_scc0 .LBB8_26
; %bb.10:
	s_min_u32 s7, s54, 15
	v_mov_b32_e32 v43, 0
	s_add_i32 s7, s7, 1
	s_cmp_eq_u32 s54, 2
	s_mov_b32 s8, 0
	s_cbranch_scc1 .LBB8_23
; %bb.11:
	v_dual_mov_b32 v0, 0 :: v_dual_mov_b32 v43, 0
	v_mov_b32_e32 v3, v45
	s_add_u32 s2, s0, 0xc4
	s_addc_u32 s3, s1, 0
	s_and_b32 s8, s7, 28
	s_mov_b32 s9, 0
	s_mov_b64 s[4:5], s[0:1]
.LBB8_12:                               ; =>This Inner Loop Header: Depth=1
	s_clause 0x1
	s_load_b256 s[12:19], s[4:5], 0x4
	s_load_b128 s[28:31], s[4:5], 0x24
	s_load_b256 s[20:27], s[2:3], 0x0
	s_add_u32 s4, s4, 48
	s_addc_u32 s5, s5, 0
	s_add_i32 s9, s9, 4
	s_add_u32 s2, s2, 32
	s_addc_u32 s3, s3, 0
	s_cmp_lg_u32 s8, s9
	s_waitcnt lgkmcnt(0)
	v_mul_hi_u32 v4, s13, v3
	s_delay_alu instid0(VALU_DEP_1) | instskip(NEXT) | instid1(VALU_DEP_1)
	v_add_nc_u32_e32 v4, v3, v4
	v_lshrrev_b32_e32 v4, s14, v4
	s_delay_alu instid0(VALU_DEP_1) | instskip(SKIP_1) | instid1(VALU_DEP_2)
	v_mul_hi_u32 v5, s16, v4
	v_mul_lo_u32 v7, v4, s12
	v_add_nc_u32_e32 v5, v4, v5
	s_delay_alu instid0(VALU_DEP_2) | instskip(NEXT) | instid1(VALU_DEP_2)
	v_sub_nc_u32_e32 v3, v3, v7
	v_lshrrev_b32_e32 v5, s17, v5
	s_delay_alu instid0(VALU_DEP_2) | instskip(SKIP_1) | instid1(VALU_DEP_3)
	v_mul_lo_u32 v7, v3, s20
	v_mul_lo_u32 v9, v3, s21
	v_mul_hi_u32 v6, s19, v5
	s_delay_alu instid0(VALU_DEP_1) | instskip(NEXT) | instid1(VALU_DEP_1)
	v_add_nc_u32_e32 v6, v5, v6
	v_lshrrev_b32_e32 v6, s28, v6
	s_delay_alu instid0(VALU_DEP_1) | instskip(SKIP_1) | instid1(VALU_DEP_2)
	v_mul_hi_u32 v8, s30, v6
	v_mul_lo_u32 v10, v6, s18
	v_add_nc_u32_e32 v3, v6, v8
	v_mul_lo_u32 v8, v5, s15
	s_delay_alu instid0(VALU_DEP_3) | instskip(NEXT) | instid1(VALU_DEP_3)
	v_sub_nc_u32_e32 v5, v5, v10
	v_lshrrev_b32_e32 v3, s31, v3
	s_delay_alu instid0(VALU_DEP_2) | instskip(SKIP_2) | instid1(VALU_DEP_4)
	v_mul_lo_u32 v10, v5, s24
	v_mul_lo_u32 v5, v5, s25
	v_sub_nc_u32_e32 v4, v4, v8
	v_mul_lo_u32 v11, v3, s29
	s_delay_alu instid0(VALU_DEP_2) | instskip(SKIP_1) | instid1(VALU_DEP_3)
	v_mul_lo_u32 v8, v4, s22
	v_mul_lo_u32 v4, v4, s23
	v_sub_nc_u32_e32 v6, v6, v11
	s_delay_alu instid0(VALU_DEP_3) | instskip(NEXT) | instid1(VALU_DEP_2)
	v_add3_u32 v7, v7, v43, v8
	v_mul_lo_u32 v11, v6, s26
	v_mul_lo_u32 v6, v6, s27
	v_add3_u32 v0, v9, v0, v4
	s_delay_alu instid0(VALU_DEP_3) | instskip(NEXT) | instid1(VALU_DEP_2)
	v_add3_u32 v43, v10, v7, v11
	v_add3_u32 v0, v5, v0, v6
	s_cbranch_scc1 .LBB8_12
; %bb.13:
	s_and_b32 s7, s7, 3
	s_delay_alu instid0(SALU_CYCLE_1)
	s_cmp_eq_u32 s7, 0
	s_cbranch_scc0 .LBB8_24
	s_branch .LBB8_26
.LBB8_14:
	s_or_b32 exec_lo, exec_lo, s61
	s_delay_alu instid0(SALU_CYCLE_1)
	s_mov_b32 s61, exec_lo
	v_cmpx_gt_i32_e64 s58, v45
	s_cbranch_execz .LBB8_157
.LBB8_15:
	s_and_not1_b32 vcc_lo, exec_lo, s55
	s_cbranch_vccnz .LBB8_22
; %bb.16:
	v_dual_mov_b32 v43, 0 :: v_dual_mov_b32 v0, 0
	s_and_not1_b32 vcc_lo, exec_lo, s60
	s_mov_b32 s6, 0
	s_cbranch_vccnz .LBB8_168
; %bb.17:
	v_mov_b32_e32 v43, 0
	s_add_i32 s8, s59, 1
	s_cmp_eq_u32 s54, 2
	s_mov_b32 s7, 0
	s_cbranch_scc1 .LBB8_164
; %bb.18:
	v_dual_mov_b32 v0, 0 :: v_dual_mov_b32 v43, 0
	v_mov_b32_e32 v1, v45
	s_and_b32 s7, s8, 28
	s_mov_b32 s9, 0
	s_mov_b64 s[2:3], s[50:51]
	s_mov_b64 s[4:5], s[0:1]
.LBB8_19:                               ; =>This Inner Loop Header: Depth=1
	s_clause 0x1
	s_load_b256 s[12:19], s[4:5], 0x4
	s_load_b128 s[28:31], s[4:5], 0x24
	s_load_b256 s[20:27], s[2:3], 0x0
	s_add_u32 s4, s4, 48
	s_addc_u32 s5, s5, 0
	s_add_i32 s9, s9, 4
	s_add_u32 s2, s2, 32
	s_addc_u32 s3, s3, 0
	s_cmp_eq_u32 s7, s9
	s_waitcnt lgkmcnt(0)
	v_mul_hi_u32 v2, s13, v1
	s_delay_alu instid0(VALU_DEP_1) | instskip(NEXT) | instid1(VALU_DEP_1)
	v_add_nc_u32_e32 v2, v1, v2
	v_lshrrev_b32_e32 v2, s14, v2
	s_delay_alu instid0(VALU_DEP_1) | instskip(SKIP_1) | instid1(VALU_DEP_2)
	v_mul_hi_u32 v3, s16, v2
	v_mul_lo_u32 v5, v2, s12
	v_add_nc_u32_e32 v3, v2, v3
	s_delay_alu instid0(VALU_DEP_2) | instskip(NEXT) | instid1(VALU_DEP_2)
	v_sub_nc_u32_e32 v1, v1, v5
	v_lshrrev_b32_e32 v3, s17, v3
	s_delay_alu instid0(VALU_DEP_2) | instskip(SKIP_1) | instid1(VALU_DEP_3)
	v_mul_lo_u32 v5, v1, s20
	v_mul_lo_u32 v7, v1, s21
	v_mul_hi_u32 v4, s19, v3
	s_delay_alu instid0(VALU_DEP_1) | instskip(NEXT) | instid1(VALU_DEP_1)
	v_add_nc_u32_e32 v4, v3, v4
	v_lshrrev_b32_e32 v4, s28, v4
	s_delay_alu instid0(VALU_DEP_1) | instskip(SKIP_1) | instid1(VALU_DEP_2)
	v_mul_hi_u32 v6, s30, v4
	v_mul_lo_u32 v8, v4, s18
	v_add_nc_u32_e32 v1, v4, v6
	v_mul_lo_u32 v6, v3, s15
	s_delay_alu instid0(VALU_DEP_3) | instskip(NEXT) | instid1(VALU_DEP_3)
	v_sub_nc_u32_e32 v3, v3, v8
	v_lshrrev_b32_e32 v1, s31, v1
	s_delay_alu instid0(VALU_DEP_2) | instskip(SKIP_2) | instid1(VALU_DEP_4)
	v_mul_lo_u32 v8, v3, s24
	v_mul_lo_u32 v3, v3, s25
	v_sub_nc_u32_e32 v2, v2, v6
	v_mul_lo_u32 v9, v1, s29
	s_delay_alu instid0(VALU_DEP_2) | instskip(SKIP_1) | instid1(VALU_DEP_3)
	v_mul_lo_u32 v6, v2, s22
	v_mul_lo_u32 v2, v2, s23
	v_sub_nc_u32_e32 v4, v4, v9
	s_delay_alu instid0(VALU_DEP_3) | instskip(NEXT) | instid1(VALU_DEP_2)
	v_add3_u32 v5, v5, v43, v6
	v_mul_lo_u32 v9, v4, s26
	v_mul_lo_u32 v4, v4, s27
	v_add3_u32 v0, v7, v0, v2
	s_delay_alu instid0(VALU_DEP_3) | instskip(NEXT) | instid1(VALU_DEP_2)
	v_add3_u32 v43, v8, v5, v9
	v_add3_u32 v0, v3, v0, v4
	s_cbranch_scc0 .LBB8_19
	s_branch .LBB8_165
.LBB8_20:
	s_mov_b32 s6, -1
                                        ; implicit-def: $vgpr43
                                        ; implicit-def: $vgpr0
	s_branch .LBB8_26
.LBB8_21:
	s_mov_b32 s6, -1
                                        ; implicit-def: $vgpr43
                                        ; implicit-def: $vgpr0
	s_branch .LBB8_137
.LBB8_22:
	s_mov_b32 s6, -1
                                        ; implicit-def: $vgpr43
                                        ; implicit-def: $vgpr0
	s_branch .LBB8_168
.LBB8_23:
	v_dual_mov_b32 v3, v45 :: v_dual_mov_b32 v0, 0
	s_and_b32 s7, s7, 3
	s_delay_alu instid0(SALU_CYCLE_1)
	s_cmp_eq_u32 s7, 0
	s_cbranch_scc1 .LBB8_26
.LBB8_24:
	s_lshl_b32 s2, s8, 3
	s_mul_i32 s4, s8, 12
	s_add_u32 s2, s2, s0
	s_addc_u32 s3, 0, s1
	s_add_u32 s2, s2, 0xc4
	s_addc_u32 s3, s3, 0
	;; [unrolled: 2-line block ×3, first 2 shown]
	.p2align	6
.LBB8_25:                               ; =>This Inner Loop Header: Depth=1
	s_clause 0x1
	s_load_b64 s[8:9], s[4:5], 0x4
	s_load_b32 s12, s[4:5], 0xc
	s_load_b64 s[10:11], s[2:3], 0x0
	s_add_u32 s4, s4, 12
	s_addc_u32 s5, s5, 0
	s_add_u32 s2, s2, 8
	s_addc_u32 s3, s3, 0
	s_add_i32 s7, s7, -1
	s_delay_alu instid0(SALU_CYCLE_1) | instskip(SKIP_2) | instid1(VALU_DEP_1)
	s_cmp_lg_u32 s7, 0
	s_waitcnt lgkmcnt(0)
	v_mul_hi_u32 v4, s9, v3
	v_add_nc_u32_e32 v4, v3, v4
	s_delay_alu instid0(VALU_DEP_1) | instskip(NEXT) | instid1(VALU_DEP_1)
	v_lshrrev_b32_e32 v7, s12, v4
	v_mul_lo_u32 v4, v7, s8
	s_delay_alu instid0(VALU_DEP_1) | instskip(NEXT) | instid1(VALU_DEP_1)
	v_sub_nc_u32_e32 v3, v3, v4
	v_mad_u64_u32 v[4:5], null, v3, s10, v[43:44]
	v_mad_u64_u32 v[5:6], null, v3, s11, v[0:1]
	v_mov_b32_e32 v3, v7
	s_delay_alu instid0(VALU_DEP_2)
	v_dual_mov_b32 v43, v4 :: v_dual_mov_b32 v0, v5
	s_cbranch_scc1 .LBB8_25
.LBB8_26:
	s_and_not1_b32 vcc_lo, exec_lo, s6
	s_cbranch_vccnz .LBB8_29
; %bb.27:
	s_clause 0x1
	s_load_b128 s[4:7], s[0:1], 0x4
	s_load_b64 s[2:3], s[0:1], 0xc4
	s_cmp_lt_u32 s35, 2
	s_waitcnt lgkmcnt(0)
	v_mul_hi_u32 v0, s5, v45
	s_delay_alu instid0(VALU_DEP_1) | instskip(NEXT) | instid1(VALU_DEP_1)
	v_add_nc_u32_e32 v0, v45, v0
	v_lshrrev_b32_e32 v3, s6, v0
	s_delay_alu instid0(VALU_DEP_1) | instskip(NEXT) | instid1(VALU_DEP_1)
	v_mul_lo_u32 v0, v3, s4
	v_sub_nc_u32_e32 v0, v45, v0
	s_delay_alu instid0(VALU_DEP_1)
	v_mul_lo_u32 v43, v0, s2
	v_mul_lo_u32 v0, v0, s3
	s_cbranch_scc1 .LBB8_29
; %bb.28:
	s_clause 0x1
	s_load_b128 s[4:7], s[0:1], 0x10
	s_load_b64 s[2:3], s[0:1], 0xcc
	s_waitcnt lgkmcnt(0)
	v_mul_hi_u32 v4, s5, v3
	s_delay_alu instid0(VALU_DEP_1) | instskip(NEXT) | instid1(VALU_DEP_1)
	v_add_nc_u32_e32 v4, v3, v4
	v_lshrrev_b32_e32 v4, s6, v4
	s_delay_alu instid0(VALU_DEP_1) | instskip(NEXT) | instid1(VALU_DEP_1)
	v_mul_lo_u32 v4, v4, s4
	v_sub_nc_u32_e32 v6, v3, v4
	s_delay_alu instid0(VALU_DEP_1) | instskip(SKIP_1) | instid1(VALU_DEP_1)
	v_mad_u64_u32 v[3:4], null, v6, s2, v[43:44]
	v_mad_u64_u32 v[4:5], null, v6, s3, v[0:1]
	v_dual_mov_b32 v43, v3 :: v_dual_mov_b32 v0, v4
.LBB8_29:
	v_cmp_ne_u32_e32 vcc_lo, 1, v2
	v_add_nc_u32_e32 v3, 0x80, v45
	s_cbranch_vccnz .LBB8_35
; %bb.30:
	v_mov_b32_e32 v44, 0
	v_mov_b32_e32 v60, 0
	s_cmp_lg_u32 s35, 0
	s_mov_b32 s6, 0
	s_cbranch_scc0 .LBB8_39
; %bb.31:
	s_min_u32 s7, s54, 15
	v_mov_b32_e32 v44, 0
	s_add_i32 s7, s7, 1
	s_cmp_eq_u32 s54, 2
	s_mov_b32 s8, 0
	s_cbranch_scc1 .LBB8_36
; %bb.32:
	v_mov_b32_e32 v60, 0
	v_mov_b32_e32 v44, 0
	;; [unrolled: 1-line block ×3, first 2 shown]
	s_add_u32 s2, s0, 0xc4
	s_addc_u32 s3, s1, 0
	s_and_b32 s8, s7, 28
	s_mov_b32 s9, 0
	s_mov_b64 s[4:5], s[0:1]
.LBB8_33:                               ; =>This Inner Loop Header: Depth=1
	s_clause 0x1
	s_load_b256 s[12:19], s[4:5], 0x4
	s_load_b128 s[28:31], s[4:5], 0x24
	s_load_b256 s[20:27], s[2:3], 0x0
	s_add_u32 s4, s4, 48
	s_addc_u32 s5, s5, 0
	s_add_i32 s9, s9, 4
	s_add_u32 s2, s2, 32
	s_addc_u32 s3, s3, 0
	s_cmp_lg_u32 s8, s9
	s_waitcnt lgkmcnt(0)
	v_mul_hi_u32 v5, s13, v4
	s_delay_alu instid0(VALU_DEP_1) | instskip(NEXT) | instid1(VALU_DEP_1)
	v_add_nc_u32_e32 v5, v4, v5
	v_lshrrev_b32_e32 v5, s14, v5
	s_delay_alu instid0(VALU_DEP_1) | instskip(SKIP_1) | instid1(VALU_DEP_2)
	v_mul_hi_u32 v6, s16, v5
	v_mul_lo_u32 v8, v5, s12
	v_add_nc_u32_e32 v6, v5, v6
	s_delay_alu instid0(VALU_DEP_2) | instskip(NEXT) | instid1(VALU_DEP_2)
	v_sub_nc_u32_e32 v4, v4, v8
	v_lshrrev_b32_e32 v6, s17, v6
	s_delay_alu instid0(VALU_DEP_2) | instskip(SKIP_1) | instid1(VALU_DEP_3)
	v_mul_lo_u32 v8, v4, s20
	v_mul_lo_u32 v10, v4, s21
	v_mul_hi_u32 v7, s19, v6
	s_delay_alu instid0(VALU_DEP_1) | instskip(NEXT) | instid1(VALU_DEP_1)
	v_add_nc_u32_e32 v7, v6, v7
	v_lshrrev_b32_e32 v7, s28, v7
	s_delay_alu instid0(VALU_DEP_1) | instskip(SKIP_1) | instid1(VALU_DEP_2)
	v_mul_hi_u32 v9, s30, v7
	v_mul_lo_u32 v11, v7, s18
	v_add_nc_u32_e32 v4, v7, v9
	v_mul_lo_u32 v9, v6, s15
	s_delay_alu instid0(VALU_DEP_3) | instskip(NEXT) | instid1(VALU_DEP_3)
	v_sub_nc_u32_e32 v6, v6, v11
	v_lshrrev_b32_e32 v4, s31, v4
	s_delay_alu instid0(VALU_DEP_2) | instskip(SKIP_2) | instid1(VALU_DEP_4)
	v_mul_lo_u32 v11, v6, s24
	v_mul_lo_u32 v6, v6, s25
	v_sub_nc_u32_e32 v5, v5, v9
	v_mul_lo_u32 v12, v4, s29
	s_delay_alu instid0(VALU_DEP_2) | instskip(SKIP_1) | instid1(VALU_DEP_3)
	v_mul_lo_u32 v9, v5, s22
	v_mul_lo_u32 v5, v5, s23
	v_sub_nc_u32_e32 v7, v7, v12
	s_delay_alu instid0(VALU_DEP_3) | instskip(NEXT) | instid1(VALU_DEP_2)
	v_add3_u32 v8, v8, v44, v9
	v_mul_lo_u32 v12, v7, s26
	v_mul_lo_u32 v7, v7, s27
	v_add3_u32 v5, v10, v60, v5
	s_delay_alu instid0(VALU_DEP_3) | instskip(NEXT) | instid1(VALU_DEP_2)
	v_add3_u32 v44, v11, v8, v12
	v_add3_u32 v60, v6, v5, v7
	s_cbranch_scc1 .LBB8_33
; %bb.34:
	s_and_b32 s7, s7, 3
	s_delay_alu instid0(SALU_CYCLE_1)
	s_cmp_eq_u32 s7, 0
	s_cbranch_scc0 .LBB8_37
	s_branch .LBB8_39
.LBB8_35:
	s_mov_b32 s6, -1
                                        ; implicit-def: $vgpr44
                                        ; implicit-def: $vgpr60
	s_branch .LBB8_39
.LBB8_36:
	v_mov_b32_e32 v4, v3
	v_mov_b32_e32 v60, 0
	s_and_b32 s7, s7, 3
	s_delay_alu instid0(SALU_CYCLE_1)
	s_cmp_eq_u32 s7, 0
	s_cbranch_scc1 .LBB8_39
.LBB8_37:
	s_lshl_b32 s2, s8, 3
	s_mul_i32 s4, s8, 12
	s_add_u32 s2, s2, s0
	s_addc_u32 s3, 0, s1
	s_add_u32 s2, s2, 0xc4
	s_addc_u32 s3, s3, 0
	;; [unrolled: 2-line block ×3, first 2 shown]
	.p2align	6
.LBB8_38:                               ; =>This Inner Loop Header: Depth=1
	s_clause 0x1
	s_load_b64 s[8:9], s[4:5], 0x4
	s_load_b32 s12, s[4:5], 0xc
	s_load_b64 s[10:11], s[2:3], 0x0
	s_add_u32 s4, s4, 12
	s_addc_u32 s5, s5, 0
	s_add_u32 s2, s2, 8
	s_addc_u32 s3, s3, 0
	s_add_i32 s7, s7, -1
	s_delay_alu instid0(SALU_CYCLE_1) | instskip(SKIP_2) | instid1(VALU_DEP_1)
	s_cmp_lg_u32 s7, 0
	s_waitcnt lgkmcnt(0)
	v_mul_hi_u32 v5, s9, v4
	v_add_nc_u32_e32 v5, v4, v5
	s_delay_alu instid0(VALU_DEP_1) | instskip(NEXT) | instid1(VALU_DEP_1)
	v_lshrrev_b32_e32 v8, s12, v5
	v_mul_lo_u32 v5, v8, s8
	s_delay_alu instid0(VALU_DEP_1) | instskip(NEXT) | instid1(VALU_DEP_1)
	v_sub_nc_u32_e32 v4, v4, v5
	v_mad_u64_u32 v[5:6], null, v4, s10, v[44:45]
	v_mad_u64_u32 v[6:7], null, v4, s11, v[60:61]
	v_mov_b32_e32 v4, v8
	s_delay_alu instid0(VALU_DEP_3) | instskip(NEXT) | instid1(VALU_DEP_3)
	v_mov_b32_e32 v44, v5
	v_mov_b32_e32 v60, v6
	s_cbranch_scc1 .LBB8_38
.LBB8_39:
	s_and_not1_b32 vcc_lo, exec_lo, s6
	s_cbranch_vccnz .LBB8_42
; %bb.40:
	s_clause 0x1
	s_load_b128 s[4:7], s[0:1], 0x4
	s_load_b64 s[2:3], s[0:1], 0xc4
	s_cmp_lt_u32 s35, 2
	s_waitcnt lgkmcnt(0)
	v_mul_hi_u32 v4, s5, v3
	s_delay_alu instid0(VALU_DEP_1) | instskip(NEXT) | instid1(VALU_DEP_1)
	v_add_nc_u32_e32 v4, v3, v4
	v_lshrrev_b32_e32 v4, s6, v4
	s_delay_alu instid0(VALU_DEP_1) | instskip(NEXT) | instid1(VALU_DEP_1)
	v_mul_lo_u32 v5, v4, s4
	v_sub_nc_u32_e32 v3, v3, v5
	s_delay_alu instid0(VALU_DEP_1)
	v_mul_lo_u32 v44, v3, s2
	v_mul_lo_u32 v60, v3, s3
	s_cbranch_scc1 .LBB8_42
; %bb.41:
	s_clause 0x1
	s_load_b128 s[4:7], s[0:1], 0x10
	s_load_b64 s[2:3], s[0:1], 0xcc
	s_waitcnt lgkmcnt(0)
	v_mul_hi_u32 v3, s5, v4
	s_delay_alu instid0(VALU_DEP_1) | instskip(NEXT) | instid1(VALU_DEP_1)
	v_add_nc_u32_e32 v3, v4, v3
	v_lshrrev_b32_e32 v3, s6, v3
	s_delay_alu instid0(VALU_DEP_1) | instskip(NEXT) | instid1(VALU_DEP_1)
	v_mul_lo_u32 v3, v3, s4
	v_sub_nc_u32_e32 v6, v4, v3
	s_delay_alu instid0(VALU_DEP_1) | instskip(SKIP_1) | instid1(VALU_DEP_2)
	v_mad_u64_u32 v[3:4], null, v6, s2, v[44:45]
	v_mad_u64_u32 v[4:5], null, v6, s3, v[60:61]
	v_mov_b32_e32 v44, v3
	s_delay_alu instid0(VALU_DEP_2)
	v_mov_b32_e32 v60, v4
.LBB8_42:
	v_cmp_ne_u32_e32 vcc_lo, 1, v2
	v_add_nc_u32_e32 v3, 0x100, v45
	s_cbranch_vccnz .LBB8_48
; %bb.43:
	v_mov_b32_e32 v45, 0
	v_mov_b32_e32 v59, 0
	s_cmp_lg_u32 s35, 0
	s_mov_b32 s6, 0
	s_cbranch_scc0 .LBB8_52
; %bb.44:
	s_min_u32 s7, s54, 15
	v_mov_b32_e32 v45, 0
	s_add_i32 s7, s7, 1
	s_cmp_eq_u32 s54, 2
	s_mov_b32 s8, 0
	s_cbranch_scc1 .LBB8_49
; %bb.45:
	v_dual_mov_b32 v59, 0 :: v_dual_mov_b32 v4, v3
	v_mov_b32_e32 v45, 0
	s_add_u32 s2, s0, 0xc4
	s_addc_u32 s3, s1, 0
	s_and_b32 s8, s7, 28
	s_mov_b32 s9, 0
	s_mov_b64 s[4:5], s[0:1]
.LBB8_46:                               ; =>This Inner Loop Header: Depth=1
	s_clause 0x1
	s_load_b256 s[12:19], s[4:5], 0x4
	s_load_b128 s[28:31], s[4:5], 0x24
	s_load_b256 s[20:27], s[2:3], 0x0
	s_add_u32 s4, s4, 48
	s_addc_u32 s5, s5, 0
	s_add_i32 s9, s9, 4
	s_add_u32 s2, s2, 32
	s_addc_u32 s3, s3, 0
	s_cmp_lg_u32 s8, s9
	s_waitcnt lgkmcnt(0)
	v_mul_hi_u32 v5, s13, v4
	s_delay_alu instid0(VALU_DEP_1) | instskip(NEXT) | instid1(VALU_DEP_1)
	v_add_nc_u32_e32 v5, v4, v5
	v_lshrrev_b32_e32 v5, s14, v5
	s_delay_alu instid0(VALU_DEP_1) | instskip(SKIP_1) | instid1(VALU_DEP_2)
	v_mul_hi_u32 v6, s16, v5
	v_mul_lo_u32 v8, v5, s12
	v_add_nc_u32_e32 v6, v5, v6
	s_delay_alu instid0(VALU_DEP_2) | instskip(NEXT) | instid1(VALU_DEP_2)
	v_sub_nc_u32_e32 v4, v4, v8
	v_lshrrev_b32_e32 v6, s17, v6
	s_delay_alu instid0(VALU_DEP_2) | instskip(SKIP_1) | instid1(VALU_DEP_3)
	v_mul_lo_u32 v8, v4, s20
	v_mul_lo_u32 v10, v4, s21
	v_mul_hi_u32 v7, s19, v6
	s_delay_alu instid0(VALU_DEP_1) | instskip(NEXT) | instid1(VALU_DEP_1)
	v_add_nc_u32_e32 v7, v6, v7
	v_lshrrev_b32_e32 v7, s28, v7
	s_delay_alu instid0(VALU_DEP_1) | instskip(SKIP_1) | instid1(VALU_DEP_2)
	v_mul_hi_u32 v9, s30, v7
	v_mul_lo_u32 v11, v7, s18
	v_add_nc_u32_e32 v4, v7, v9
	v_mul_lo_u32 v9, v6, s15
	s_delay_alu instid0(VALU_DEP_3) | instskip(NEXT) | instid1(VALU_DEP_3)
	v_sub_nc_u32_e32 v6, v6, v11
	v_lshrrev_b32_e32 v4, s31, v4
	s_delay_alu instid0(VALU_DEP_2) | instskip(SKIP_2) | instid1(VALU_DEP_4)
	v_mul_lo_u32 v11, v6, s24
	v_mul_lo_u32 v6, v6, s25
	v_sub_nc_u32_e32 v5, v5, v9
	v_mul_lo_u32 v12, v4, s29
	s_delay_alu instid0(VALU_DEP_2) | instskip(SKIP_1) | instid1(VALU_DEP_3)
	v_mul_lo_u32 v9, v5, s22
	v_mul_lo_u32 v5, v5, s23
	v_sub_nc_u32_e32 v7, v7, v12
	s_delay_alu instid0(VALU_DEP_3) | instskip(NEXT) | instid1(VALU_DEP_2)
	v_add3_u32 v8, v8, v45, v9
	v_mul_lo_u32 v12, v7, s26
	v_mul_lo_u32 v7, v7, s27
	v_add3_u32 v5, v10, v59, v5
	s_delay_alu instid0(VALU_DEP_3) | instskip(NEXT) | instid1(VALU_DEP_2)
	v_add3_u32 v45, v11, v8, v12
	v_add3_u32 v59, v6, v5, v7
	s_cbranch_scc1 .LBB8_46
; %bb.47:
	s_and_b32 s7, s7, 3
	s_delay_alu instid0(SALU_CYCLE_1)
	s_cmp_eq_u32 s7, 0
	s_cbranch_scc0 .LBB8_50
	s_branch .LBB8_52
.LBB8_48:
	s_mov_b32 s6, -1
                                        ; implicit-def: $vgpr45
                                        ; implicit-def: $vgpr59
	s_branch .LBB8_52
.LBB8_49:
	v_dual_mov_b32 v4, v3 :: v_dual_mov_b32 v59, 0
	s_and_b32 s7, s7, 3
	s_delay_alu instid0(SALU_CYCLE_1)
	s_cmp_eq_u32 s7, 0
	s_cbranch_scc1 .LBB8_52
.LBB8_50:
	s_lshl_b32 s2, s8, 3
	s_mul_i32 s4, s8, 12
	s_add_u32 s2, s2, s0
	s_addc_u32 s3, 0, s1
	s_add_u32 s2, s2, 0xc4
	s_addc_u32 s3, s3, 0
	;; [unrolled: 2-line block ×3, first 2 shown]
	.p2align	6
.LBB8_51:                               ; =>This Inner Loop Header: Depth=1
	s_clause 0x1
	s_load_b64 s[8:9], s[4:5], 0x4
	s_load_b32 s12, s[4:5], 0xc
	s_load_b64 s[10:11], s[2:3], 0x0
	s_add_u32 s4, s4, 12
	s_addc_u32 s5, s5, 0
	s_add_u32 s2, s2, 8
	s_addc_u32 s3, s3, 0
	s_add_i32 s7, s7, -1
	s_delay_alu instid0(SALU_CYCLE_1) | instskip(SKIP_2) | instid1(VALU_DEP_1)
	s_cmp_lg_u32 s7, 0
	s_waitcnt lgkmcnt(0)
	v_mul_hi_u32 v5, s9, v4
	v_add_nc_u32_e32 v5, v4, v5
	s_delay_alu instid0(VALU_DEP_1) | instskip(NEXT) | instid1(VALU_DEP_1)
	v_lshrrev_b32_e32 v8, s12, v5
	v_mul_lo_u32 v5, v8, s8
	s_delay_alu instid0(VALU_DEP_1) | instskip(NEXT) | instid1(VALU_DEP_1)
	v_sub_nc_u32_e32 v4, v4, v5
	v_mad_u64_u32 v[5:6], null, v4, s10, v[45:46]
	v_mad_u64_u32 v[6:7], null, v4, s11, v[59:60]
	s_delay_alu instid0(VALU_DEP_2) | instskip(NEXT) | instid1(VALU_DEP_2)
	v_dual_mov_b32 v4, v8 :: v_dual_mov_b32 v45, v5
	v_mov_b32_e32 v59, v6
	s_cbranch_scc1 .LBB8_51
.LBB8_52:
	s_and_not1_b32 vcc_lo, exec_lo, s6
	s_cbranch_vccnz .LBB8_55
; %bb.53:
	s_clause 0x1
	s_load_b128 s[4:7], s[0:1], 0x4
	s_load_b64 s[2:3], s[0:1], 0xc4
	s_cmp_lt_u32 s35, 2
	s_waitcnt lgkmcnt(0)
	v_mul_hi_u32 v4, s5, v3
	s_delay_alu instid0(VALU_DEP_1) | instskip(NEXT) | instid1(VALU_DEP_1)
	v_add_nc_u32_e32 v4, v3, v4
	v_lshrrev_b32_e32 v4, s6, v4
	s_delay_alu instid0(VALU_DEP_1) | instskip(NEXT) | instid1(VALU_DEP_1)
	v_mul_lo_u32 v5, v4, s4
	v_sub_nc_u32_e32 v3, v3, v5
	s_delay_alu instid0(VALU_DEP_1)
	v_mul_lo_u32 v45, v3, s2
	v_mul_lo_u32 v59, v3, s3
	s_cbranch_scc1 .LBB8_55
; %bb.54:
	s_clause 0x1
	s_load_b128 s[4:7], s[0:1], 0x10
	s_load_b64 s[2:3], s[0:1], 0xcc
	s_waitcnt lgkmcnt(0)
	v_mul_hi_u32 v3, s5, v4
	s_delay_alu instid0(VALU_DEP_1) | instskip(NEXT) | instid1(VALU_DEP_1)
	v_add_nc_u32_e32 v3, v4, v3
	v_lshrrev_b32_e32 v3, s6, v3
	s_delay_alu instid0(VALU_DEP_1) | instskip(NEXT) | instid1(VALU_DEP_1)
	v_mul_lo_u32 v3, v3, s4
	v_sub_nc_u32_e32 v6, v4, v3
	s_delay_alu instid0(VALU_DEP_1) | instskip(SKIP_1) | instid1(VALU_DEP_2)
	v_mad_u64_u32 v[3:4], null, v6, s2, v[45:46]
	v_mad_u64_u32 v[4:5], null, v6, s3, v[59:60]
	v_mov_b32_e32 v45, v3
	s_delay_alu instid0(VALU_DEP_2)
	v_mov_b32_e32 v59, v4
.LBB8_55:
	v_cmp_ne_u32_e32 vcc_lo, 1, v2
	s_cbranch_vccnz .LBB8_61
; %bb.56:
	v_mov_b32_e32 v46, 0
	v_mov_b32_e32 v56, 0
	s_cmp_lg_u32 s35, 0
	s_mov_b32 s6, 0
	s_cbranch_scc0 .LBB8_65
; %bb.57:
	s_min_u32 s7, s54, 15
	v_mov_b32_e32 v46, 0
	s_add_i32 s7, s7, 1
	s_cmp_eq_u32 s54, 2
	s_mov_b32 s8, 0
	s_cbranch_scc1 .LBB8_62
; %bb.58:
	v_mov_b32_e32 v56, 0
	v_mov_b32_e32 v46, 0
	;; [unrolled: 1-line block ×3, first 2 shown]
	s_add_u32 s2, s0, 0xc4
	s_addc_u32 s3, s1, 0
	s_and_b32 s8, s7, 28
	s_mov_b32 s9, 0
	s_mov_b64 s[4:5], s[0:1]
.LBB8_59:                               ; =>This Inner Loop Header: Depth=1
	s_clause 0x1
	s_load_b256 s[12:19], s[4:5], 0x4
	s_load_b128 s[28:31], s[4:5], 0x24
	s_load_b256 s[20:27], s[2:3], 0x0
	s_add_u32 s4, s4, 48
	s_addc_u32 s5, s5, 0
	s_add_i32 s9, s9, 4
	s_add_u32 s2, s2, 32
	s_addc_u32 s3, s3, 0
	s_cmp_lg_u32 s8, s9
	s_waitcnt lgkmcnt(0)
	v_mul_hi_u32 v3, s13, v2
	s_delay_alu instid0(VALU_DEP_1) | instskip(NEXT) | instid1(VALU_DEP_1)
	v_add_nc_u32_e32 v3, v2, v3
	v_lshrrev_b32_e32 v3, s14, v3
	s_delay_alu instid0(VALU_DEP_1) | instskip(SKIP_1) | instid1(VALU_DEP_2)
	v_mul_hi_u32 v4, s16, v3
	v_mul_lo_u32 v6, v3, s12
	v_add_nc_u32_e32 v4, v3, v4
	s_delay_alu instid0(VALU_DEP_2) | instskip(NEXT) | instid1(VALU_DEP_2)
	v_sub_nc_u32_e32 v2, v2, v6
	v_lshrrev_b32_e32 v4, s17, v4
	s_delay_alu instid0(VALU_DEP_2) | instskip(SKIP_1) | instid1(VALU_DEP_3)
	v_mul_lo_u32 v6, v2, s20
	v_mul_lo_u32 v8, v2, s21
	v_mul_hi_u32 v5, s19, v4
	s_delay_alu instid0(VALU_DEP_1) | instskip(NEXT) | instid1(VALU_DEP_1)
	v_add_nc_u32_e32 v5, v4, v5
	v_lshrrev_b32_e32 v5, s28, v5
	s_delay_alu instid0(VALU_DEP_1) | instskip(SKIP_1) | instid1(VALU_DEP_2)
	v_mul_hi_u32 v7, s30, v5
	v_mul_lo_u32 v9, v5, s18
	v_add_nc_u32_e32 v2, v5, v7
	v_mul_lo_u32 v7, v4, s15
	s_delay_alu instid0(VALU_DEP_3) | instskip(NEXT) | instid1(VALU_DEP_3)
	v_sub_nc_u32_e32 v4, v4, v9
	v_lshrrev_b32_e32 v2, s31, v2
	s_delay_alu instid0(VALU_DEP_2) | instskip(SKIP_2) | instid1(VALU_DEP_4)
	v_mul_lo_u32 v9, v4, s24
	v_mul_lo_u32 v4, v4, s25
	v_sub_nc_u32_e32 v3, v3, v7
	v_mul_lo_u32 v10, v2, s29
	s_delay_alu instid0(VALU_DEP_2) | instskip(SKIP_1) | instid1(VALU_DEP_3)
	v_mul_lo_u32 v7, v3, s22
	v_mul_lo_u32 v3, v3, s23
	v_sub_nc_u32_e32 v5, v5, v10
	s_delay_alu instid0(VALU_DEP_3) | instskip(NEXT) | instid1(VALU_DEP_2)
	v_add3_u32 v6, v6, v46, v7
	v_mul_lo_u32 v10, v5, s26
	v_mul_lo_u32 v5, v5, s27
	v_add3_u32 v3, v8, v56, v3
	s_delay_alu instid0(VALU_DEP_3) | instskip(NEXT) | instid1(VALU_DEP_2)
	v_add3_u32 v46, v9, v6, v10
	v_add3_u32 v56, v4, v3, v5
	s_cbranch_scc1 .LBB8_59
; %bb.60:
	s_and_b32 s7, s7, 3
	s_delay_alu instid0(SALU_CYCLE_1)
	s_cmp_eq_u32 s7, 0
	s_cbranch_scc0 .LBB8_63
	s_branch .LBB8_65
.LBB8_61:
	s_mov_b32 s6, -1
                                        ; implicit-def: $vgpr46
                                        ; implicit-def: $vgpr56
	s_branch .LBB8_65
.LBB8_62:
	v_mov_b32_e32 v2, v1
	v_mov_b32_e32 v56, 0
	s_and_b32 s7, s7, 3
	s_delay_alu instid0(SALU_CYCLE_1)
	s_cmp_eq_u32 s7, 0
	s_cbranch_scc1 .LBB8_65
.LBB8_63:
	s_lshl_b32 s2, s8, 3
	s_mul_i32 s4, s8, 12
	s_add_u32 s2, s2, s0
	s_addc_u32 s3, 0, s1
	s_add_u32 s2, s2, 0xc4
	s_addc_u32 s3, s3, 0
	;; [unrolled: 2-line block ×3, first 2 shown]
	.p2align	6
.LBB8_64:                               ; =>This Inner Loop Header: Depth=1
	s_clause 0x1
	s_load_b64 s[8:9], s[4:5], 0x4
	s_load_b32 s12, s[4:5], 0xc
	s_load_b64 s[10:11], s[2:3], 0x0
	s_add_u32 s4, s4, 12
	s_addc_u32 s5, s5, 0
	s_add_u32 s2, s2, 8
	s_addc_u32 s3, s3, 0
	s_add_i32 s7, s7, -1
	s_delay_alu instid0(SALU_CYCLE_1) | instskip(SKIP_2) | instid1(VALU_DEP_1)
	s_cmp_lg_u32 s7, 0
	s_waitcnt lgkmcnt(0)
	v_mul_hi_u32 v3, s9, v2
	v_add_nc_u32_e32 v3, v2, v3
	s_delay_alu instid0(VALU_DEP_1) | instskip(NEXT) | instid1(VALU_DEP_1)
	v_lshrrev_b32_e32 v6, s12, v3
	v_mul_lo_u32 v3, v6, s8
	s_delay_alu instid0(VALU_DEP_1) | instskip(NEXT) | instid1(VALU_DEP_1)
	v_sub_nc_u32_e32 v2, v2, v3
	v_mad_u64_u32 v[3:4], null, v2, s10, v[46:47]
	v_mad_u64_u32 v[4:5], null, v2, s11, v[56:57]
	v_mov_b32_e32 v2, v6
	s_delay_alu instid0(VALU_DEP_3) | instskip(NEXT) | instid1(VALU_DEP_3)
	v_mov_b32_e32 v46, v3
	v_mov_b32_e32 v56, v4
	s_cbranch_scc1 .LBB8_64
.LBB8_65:
	s_and_not1_b32 vcc_lo, exec_lo, s6
	s_cbranch_vccnz .LBB8_68
; %bb.66:
	s_clause 0x1
	s_load_b128 s[4:7], s[0:1], 0x4
	s_load_b64 s[2:3], s[0:1], 0xc4
	s_cmp_lt_u32 s35, 2
	s_waitcnt lgkmcnt(0)
	v_mul_hi_u32 v2, s5, v1
	s_delay_alu instid0(VALU_DEP_1) | instskip(NEXT) | instid1(VALU_DEP_1)
	v_add_nc_u32_e32 v2, v1, v2
	v_lshrrev_b32_e32 v2, s6, v2
	s_delay_alu instid0(VALU_DEP_1) | instskip(NEXT) | instid1(VALU_DEP_1)
	v_mul_lo_u32 v3, v2, s4
	v_sub_nc_u32_e32 v1, v1, v3
	s_delay_alu instid0(VALU_DEP_1)
	v_mul_lo_u32 v46, v1, s2
	v_mul_lo_u32 v56, v1, s3
	s_cbranch_scc1 .LBB8_68
; %bb.67:
	s_clause 0x1
	s_load_b128 s[4:7], s[0:1], 0x10
	s_load_b64 s[2:3], s[0:1], 0xcc
	s_waitcnt lgkmcnt(0)
	v_mul_hi_u32 v1, s5, v2
	s_delay_alu instid0(VALU_DEP_1) | instskip(NEXT) | instid1(VALU_DEP_1)
	v_add_nc_u32_e32 v1, v2, v1
	v_lshrrev_b32_e32 v1, s6, v1
	s_delay_alu instid0(VALU_DEP_1) | instskip(NEXT) | instid1(VALU_DEP_1)
	v_mul_lo_u32 v1, v1, s4
	v_sub_nc_u32_e32 v4, v2, v1
	s_delay_alu instid0(VALU_DEP_1) | instskip(SKIP_1) | instid1(VALU_DEP_2)
	v_mad_u64_u32 v[1:2], null, v4, s2, v[46:47]
	v_mad_u64_u32 v[2:3], null, v4, s3, v[56:57]
	v_mov_b32_e32 v46, v1
	s_delay_alu instid0(VALU_DEP_2)
	v_mov_b32_e32 v56, v2
.LBB8_68:
	s_waitcnt lgkmcnt(0)
	s_load_b128 s[36:39], s[0:1], 0x148
                                        ; implicit-def: $vgpr57_vgpr58
	s_mov_b32 s0, exec_lo
	s_waitcnt lgkmcnt(0)
	global_load_b64 v[41:42], v0, s[38:39]
	s_waitcnt vmcnt(0)
	v_cmpx_ge_f64_e32 0x40140000, v[41:42]
	s_xor_b32 s35, exec_lo, s0
	s_cbranch_execz .LBB8_74
; %bb.69:
	v_mov_b32_e32 v57, 0
	v_mov_b32_e32 v58, 0xfff00000
	s_mov_b32 s40, exec_lo
	v_cmpx_neq_f64_e32 0, v[41:42]
	s_cbranch_execz .LBB8_73
; %bb.70:
	v_mov_b32_e32 v57, 0
	v_mov_b32_e32 v58, 0x7ff80000
	s_mov_b32 s41, exec_lo
	v_cmpx_nge_f64_e32 0, v[41:42]
	s_cbranch_execz .LBB8_72
; %bb.71:
	v_mul_f64 v[0:1], v[41:42], v[41:42]
	s_mov_b32 s0, 0xa93f7ac2
	s_mov_b32 s1, 0x40829269
	;; [unrolled: 1-line block ×4, first 2 shown]
	s_delay_alu instid0(VALU_DEP_1)
	v_fma_f64 v[2:3], v[0:1], 0, s[0:1]
	s_mov_b32 s0, 0xbe58ef7f
	s_mov_b32 s1, 0x410cc160
	s_delay_alu instid0(VALU_DEP_1) | instid1(SALU_CYCLE_1)
	v_fma_f64 v[2:3], v[0:1], v[2:3], s[0:1]
	s_mov_b32 s0, 0x62f9b6c5
	s_mov_b32 s1, 0x41d2d2be
	s_delay_alu instid0(SALU_CYCLE_1) | instskip(SKIP_2) | instid1(VALU_DEP_2)
	v_fma_f64 v[4:5], v[0:1], 0, s[0:1]
	s_mov_b32 s0, 0x58836521
	s_mov_b32 s1, 0xc262d72d
	v_fma_f64 v[2:3], v[0:1], v[2:3], s[2:3]
	s_mov_b32 s2, 0x906b7b83
	s_mov_b32 s3, 0x421178c3
	s_delay_alu instid0(VALU_DEP_2) | instskip(SKIP_2) | instid1(VALU_DEP_2)
	v_fma_f64 v[4:5], v[0:1], v[4:5], s[0:1]
	s_mov_b32 s0, 0xb0910fef
	s_mov_b32 s1, 0x42da0954
	v_fma_f64 v[2:3], v[0:1], v[2:3], s[2:3]
	s_mov_b32 s2, 0xfda99316
	s_mov_b32 s3, 0x428c3f5e
	s_delay_alu instid0(VALU_DEP_2) | instskip(SKIP_2) | instid1(VALU_DEP_2)
	;; [unrolled: 7-line block ×4, first 2 shown]
	v_fma_f64 v[4:5], v[0:1], v[4:5], s[0:1]
	s_mov_b32 s0, 0x5dde2b17
	s_mov_b32 s1, 0xc3a59e41
	v_fma_f64 v[2:3], v[0:1], v[2:3], s[2:3]
	s_mov_b32 s2, 0x90f6747f
	s_mov_b32 s3, 0x43cb90f1
	s_delay_alu instid0(VALU_DEP_2) | instskip(SKIP_3) | instid1(VALU_DEP_2)
	v_fma_f64 v[4:5], v[0:1], v[4:5], s[0:1]
	s_getpc_b64 s[0:1]
	s_add_u32 s0, s0, _Z17bessel_j1_forwardIdET_S0_@rel32@lo+4
	s_addc_u32 s1, s1, _Z17bessel_j1_forwardIdET_S0_@rel32@hi+12
	v_fma_f64 v[0:1], v[0:1], v[2:3], s[2:3]
	s_delay_alu instid0(VALU_DEP_1) | instskip(NEXT) | instid1(VALU_DEP_1)
	v_div_scale_f64 v[2:3], null, v[0:1], v[0:1], v[4:5]
	v_rcp_f64_e32 v[6:7], v[2:3]
	s_waitcnt_depctr 0xfff
	v_fma_f64 v[8:9], -v[2:3], v[6:7], 1.0
	s_delay_alu instid0(VALU_DEP_1) | instskip(NEXT) | instid1(VALU_DEP_1)
	v_fma_f64 v[6:7], v[6:7], v[8:9], v[6:7]
	v_fma_f64 v[8:9], -v[2:3], v[6:7], 1.0
	s_delay_alu instid0(VALU_DEP_1) | instskip(SKIP_1) | instid1(VALU_DEP_1)
	v_fma_f64 v[6:7], v[6:7], v[8:9], v[6:7]
	v_div_scale_f64 v[8:9], vcc_lo, v[4:5], v[0:1], v[4:5]
	v_mul_f64 v[10:11], v[8:9], v[6:7]
	s_delay_alu instid0(VALU_DEP_1) | instskip(NEXT) | instid1(VALU_DEP_1)
	v_fma_f64 v[2:3], -v[2:3], v[10:11], v[8:9]
	v_div_fmas_f64 v[2:3], v[2:3], v[6:7], v[10:11]
	s_delay_alu instid0(VALU_DEP_1)
	v_div_fixup_f64 v[57:58], v[2:3], v[0:1], v[4:5]
	v_dual_mov_b32 v0, v41 :: v_dual_mov_b32 v1, v42
	s_swappc_b64 s[30:31], s[0:1]
	v_frexp_mant_f64_e32 v[2:3], v[41:42]
	s_mov_b32 s1, 0x3fe55555
	s_mov_b32 s0, 0x55555555
	v_mov_b32_e32 v4, 0
	s_mov_b32 s2, 0x6b47b09a
	s_mov_b32 s4, 0xbf559e2b
	;; [unrolled: 1-line block ×4, first 2 shown]
	v_div_scale_f64 v[18:19], null, v[41:42], v[41:42], -1.0
	s_delay_alu instid0(VALU_DEP_3) | instskip(SKIP_1) | instid1(VALU_DEP_2)
	v_cmp_gt_f64_e32 vcc_lo, s[0:1], v[2:3]
	s_mov_b32 s0, 0x55555780
	v_rcp_f64_e32 v[22:23], v[18:19]
	v_cndmask_b32_e64 v5, 0x3ff00000, 2.0, vcc_lo
	s_delay_alu instid0(VALU_DEP_1) | instskip(NEXT) | instid1(VALU_DEP_1)
	v_mul_f64 v[2:3], v[2:3], v[4:5]
	v_add_f64 v[4:5], v[2:3], 1.0
	v_add_f64 v[10:11], v[2:3], -1.0
	s_delay_alu instid0(VALU_DEP_2) | instskip(SKIP_1) | instid1(VALU_DEP_1)
	v_rcp_f64_e32 v[6:7], v[4:5]
	v_add_f64 v[12:13], v[4:5], -1.0
	v_add_f64 v[2:3], v[2:3], -v[12:13]
	s_waitcnt_depctr 0xfff
	v_fma_f64 v[8:9], -v[4:5], v[6:7], 1.0
	s_delay_alu instid0(VALU_DEP_1) | instskip(NEXT) | instid1(VALU_DEP_1)
	v_fma_f64 v[6:7], v[8:9], v[6:7], v[6:7]
	v_fma_f64 v[8:9], -v[4:5], v[6:7], 1.0
	s_delay_alu instid0(VALU_DEP_1) | instskip(NEXT) | instid1(VALU_DEP_1)
	v_fma_f64 v[6:7], v[8:9], v[6:7], v[6:7]
	v_mul_f64 v[8:9], v[10:11], v[6:7]
	s_delay_alu instid0(VALU_DEP_1) | instskip(NEXT) | instid1(VALU_DEP_1)
	v_mul_f64 v[14:15], v[4:5], v[8:9]
	v_fma_f64 v[4:5], v[8:9], v[4:5], -v[14:15]
	s_delay_alu instid0(VALU_DEP_1) | instskip(NEXT) | instid1(VALU_DEP_1)
	v_fma_f64 v[2:3], v[8:9], v[2:3], v[4:5]
	v_add_f64 v[4:5], v[14:15], v[2:3]
	s_delay_alu instid0(VALU_DEP_1) | instskip(SKIP_1) | instid1(VALU_DEP_2)
	v_add_f64 v[12:13], v[10:11], -v[4:5]
	v_add_f64 v[14:15], v[4:5], -v[14:15]
	;; [unrolled: 1-line block ×3, first 2 shown]
	s_delay_alu instid0(VALU_DEP_2) | instskip(SKIP_1) | instid1(VALU_DEP_3)
	v_add_f64 v[2:3], v[14:15], -v[2:3]
	v_frexp_exp_i32_f64_e32 v14, v[41:42]
	v_add_f64 v[4:5], v[10:11], -v[4:5]
	s_delay_alu instid0(VALU_DEP_1) | instskip(NEXT) | instid1(VALU_DEP_1)
	v_add_f64 v[2:3], v[2:3], v[4:5]
	v_add_f64 v[2:3], v[12:13], v[2:3]
	s_delay_alu instid0(VALU_DEP_1) | instskip(NEXT) | instid1(VALU_DEP_1)
	v_mul_f64 v[2:3], v[6:7], v[2:3]
	v_add_f64 v[4:5], v[8:9], v[2:3]
	s_delay_alu instid0(VALU_DEP_1) | instskip(NEXT) | instid1(VALU_DEP_1)
	v_mul_f64 v[6:7], v[4:5], v[4:5]
	v_fma_f64 v[10:11], v[6:7], s[4:5], s[2:3]
	s_mov_b32 s2, 0xd7f4df2e
	s_mov_b32 s3, 0x3fc7474d
	v_mul_f64 v[12:13], v[4:5], v[6:7]
	s_delay_alu instid0(VALU_DEP_2)
	v_fma_f64 v[10:11], v[6:7], v[10:11], s[2:3]
	s_mov_b32 s2, 0x16291751
	s_mov_b32 s3, 0x3fcc71c0
	s_delay_alu instid0(VALU_DEP_1) | instid1(SALU_CYCLE_1)
	v_fma_f64 v[10:11], v[6:7], v[10:11], s[2:3]
	s_mov_b32 s2, 0x9b27acf1
	s_mov_b32 s3, 0x3fd24924
	s_delay_alu instid0(VALU_DEP_1) | instid1(SALU_CYCLE_1)
	;; [unrolled: 4-line block ×3, first 2 shown]
	v_fma_f64 v[10:11], v[6:7], v[10:11], s[2:3]
	s_delay_alu instid0(VALU_DEP_1) | instskip(SKIP_4) | instid1(VALU_DEP_3)
	v_fma_f64 v[6:7], v[6:7], v[10:11], s[0:1]
	v_ldexp_f64 v[10:11], v[4:5], 1
	v_add_f64 v[4:5], v[4:5], -v[8:9]
	s_mov_b32 s0, 0xfefa39ef
	s_mov_b32 s1, 0x3fe62e42
	v_mul_f64 v[6:7], v[12:13], v[6:7]
	v_subrev_co_ci_u32_e32 v12, vcc_lo, 0, v14, vcc_lo
	s_delay_alu instid0(VALU_DEP_3) | instskip(NEXT) | instid1(VALU_DEP_2)
	v_add_f64 v[2:3], v[2:3], -v[4:5]
	v_cvt_f64_i32_e32 v[12:13], v12
	s_delay_alu instid0(VALU_DEP_4) | instskip(NEXT) | instid1(VALU_DEP_3)
	v_add_f64 v[8:9], v[10:11], v[6:7]
	v_ldexp_f64 v[2:3], v[2:3], 1
	s_delay_alu instid0(VALU_DEP_3) | instskip(NEXT) | instid1(VALU_DEP_3)
	v_mul_f64 v[14:15], v[12:13], s[0:1]
	v_add_f64 v[4:5], v[8:9], -v[10:11]
	s_delay_alu instid0(VALU_DEP_2) | instskip(SKIP_2) | instid1(VALU_DEP_2)
	v_fma_f64 v[10:11], v[12:13], s[0:1], -v[14:15]
	s_mov_b32 s0, 0x3b39803f
	s_mov_b32 s1, 0x3c7abc9e
	v_add_f64 v[4:5], v[6:7], -v[4:5]
	s_delay_alu instid0(VALU_DEP_2) | instskip(SKIP_2) | instid1(VALU_DEP_2)
	v_fma_f64 v[6:7], v[12:13], s[0:1], v[10:11]
	s_mov_b32 s0, 0x6dc9c883
	s_mov_b32 s1, 0x3fe45f30
	v_add_f64 v[2:3], v[2:3], v[4:5]
	s_delay_alu instid0(VALU_DEP_2) | instskip(NEXT) | instid1(VALU_DEP_2)
	v_add_f64 v[4:5], v[14:15], v[6:7]
	v_add_f64 v[10:11], v[8:9], v[2:3]
	s_delay_alu instid0(VALU_DEP_2) | instskip(NEXT) | instid1(VALU_DEP_2)
	v_add_f64 v[14:15], v[4:5], -v[14:15]
	v_add_f64 v[12:13], v[4:5], v[10:11]
	v_add_f64 v[8:9], v[10:11], -v[8:9]
	s_delay_alu instid0(VALU_DEP_3) | instskip(NEXT) | instid1(VALU_DEP_3)
	v_add_f64 v[6:7], v[6:7], -v[14:15]
	v_add_f64 v[16:17], v[12:13], -v[4:5]
	s_delay_alu instid0(VALU_DEP_3) | instskip(NEXT) | instid1(VALU_DEP_2)
	v_add_f64 v[2:3], v[2:3], -v[8:9]
	v_add_f64 v[20:21], v[12:13], -v[16:17]
	;; [unrolled: 1-line block ×3, first 2 shown]
	v_fma_f64 v[10:11], -v[18:19], v[22:23], 1.0
	s_delay_alu instid0(VALU_DEP_4) | instskip(NEXT) | instid1(VALU_DEP_4)
	v_add_f64 v[14:15], v[6:7], v[2:3]
	v_add_f64 v[4:5], v[4:5], -v[20:21]
	s_delay_alu instid0(VALU_DEP_1) | instskip(NEXT) | instid1(VALU_DEP_4)
	v_add_f64 v[4:5], v[8:9], v[4:5]
	v_fma_f64 v[8:9], v[22:23], v[10:11], v[22:23]
	s_delay_alu instid0(VALU_DEP_4) | instskip(SKIP_1) | instid1(VALU_DEP_4)
	v_add_f64 v[10:11], v[14:15], -v[6:7]
	v_div_scale_f64 v[22:23], vcc_lo, -1.0, v[41:42], -1.0
	v_add_f64 v[4:5], v[14:15], v[4:5]
	s_delay_alu instid0(VALU_DEP_4) | instskip(NEXT) | instid1(VALU_DEP_4)
	v_fma_f64 v[16:17], -v[18:19], v[8:9], 1.0
	v_add_f64 v[14:15], v[14:15], -v[10:11]
	v_add_f64 v[2:3], v[2:3], -v[10:11]
	s_delay_alu instid0(VALU_DEP_4) | instskip(NEXT) | instid1(VALU_DEP_4)
	v_add_f64 v[20:21], v[12:13], v[4:5]
	v_fma_f64 v[8:9], v[8:9], v[16:17], v[8:9]
	s_delay_alu instid0(VALU_DEP_4) | instskip(NEXT) | instid1(VALU_DEP_3)
	v_add_f64 v[6:7], v[6:7], -v[14:15]
	v_add_f64 v[10:11], v[20:21], -v[12:13]
	s_delay_alu instid0(VALU_DEP_3) | instskip(NEXT) | instid1(VALU_DEP_3)
	v_mul_f64 v[12:13], v[22:23], v[8:9]
	v_add_f64 v[2:3], v[2:3], v[6:7]
	s_delay_alu instid0(VALU_DEP_3) | instskip(NEXT) | instid1(VALU_DEP_3)
	v_add_f64 v[4:5], v[4:5], -v[10:11]
	v_fma_f64 v[6:7], -v[18:19], v[12:13], v[22:23]
	s_delay_alu instid0(VALU_DEP_2) | instskip(NEXT) | instid1(VALU_DEP_2)
	v_add_f64 v[2:3], v[2:3], v[4:5]
	v_div_fmas_f64 v[4:5], v[6:7], v[8:9], v[12:13]
	s_delay_alu instid0(VALU_DEP_2) | instskip(NEXT) | instid1(VALU_DEP_2)
	v_add_f64 v[2:3], v[20:21], v[2:3]
	v_div_fixup_f64 v[4:5], v[4:5], v[41:42], -1.0
	s_delay_alu instid0(VALU_DEP_1) | instskip(NEXT) | instid1(VALU_DEP_1)
	v_fma_f64 v[0:1], v[2:3], v[0:1], v[4:5]
	v_mul_f64 v[0:1], v[0:1], s[0:1]
	s_delay_alu instid0(VALU_DEP_1)
	v_fma_f64 v[57:58], v[41:42], v[57:58], v[0:1]
.LBB8_72:
	s_or_b32 exec_lo, exec_lo, s41
.LBB8_73:
	s_delay_alu instid0(SALU_CYCLE_1)
	s_or_b32 exec_lo, exec_lo, s40
                                        ; implicit-def: $vgpr41_vgpr42
.LBB8_74:
	s_and_not1_saveexec_b32 s3, s35
	s_cbranch_execz .LBB8_84
; %bb.75:
	s_mov_b32 s0, 0x7f3321d2
	s_mov_b32 s1, 0xc002d97c
                                        ; implicit-def: $vgpr18
                                        ; implicit-def: $vgpr2_vgpr3
                                        ; implicit-def: $vgpr4_vgpr5
	s_delay_alu instid0(SALU_CYCLE_1) | instskip(NEXT) | instid1(VALU_DEP_1)
	v_add_f64 v[0:1], v[41:42], s[0:1]
	v_cmp_ngt_f64_e64 s1, 0x41d00000, |v[0:1]|
	v_trig_preop_f64 v[14:15], |v[0:1]|, 0
	v_trig_preop_f64 v[12:13], |v[0:1]|, 1
	v_ldexp_f64 v[16:17], |v[0:1]|, 0xffffff80
	v_trig_preop_f64 v[10:11], |v[0:1]|, 2
	v_and_b32_e32 v20, 0x7fffffff, v1
	s_and_saveexec_b32 s0, s1
	s_delay_alu instid0(SALU_CYCLE_1)
	s_xor_b32 s2, exec_lo, s0
	s_cbranch_execz .LBB8_77
; %bb.76:
	v_cmp_le_f64_e64 vcc_lo, 0x7b000000, |v[0:1]|
	v_mov_b32_e32 v31, 0
	s_mov_b32 s4, 0x54442d18
	s_mov_b32 s5, 0x3ff921fb
	;; [unrolled: 1-line block ×4, first 2 shown]
	v_cndmask_b32_e32 v3, v20, v17, vcc_lo
	v_cndmask_b32_e32 v2, v0, v16, vcc_lo
	s_delay_alu instid0(VALU_DEP_1) | instskip(SKIP_1) | instid1(VALU_DEP_2)
	v_mul_f64 v[4:5], v[14:15], v[2:3]
	v_mul_f64 v[6:7], v[12:13], v[2:3]
	v_fma_f64 v[8:9], v[14:15], v[2:3], -v[4:5]
	s_delay_alu instid0(VALU_DEP_2) | instskip(NEXT) | instid1(VALU_DEP_2)
	v_fma_f64 v[29:30], v[12:13], v[2:3], -v[6:7]
	v_add_f64 v[18:19], v[6:7], v[8:9]
	s_delay_alu instid0(VALU_DEP_1) | instskip(SKIP_1) | instid1(VALU_DEP_2)
	v_add_f64 v[21:22], v[18:19], -v[6:7]
	v_add_f64 v[25:26], v[4:5], v[18:19]
	v_add_f64 v[23:24], v[18:19], -v[21:22]
	v_add_f64 v[8:9], v[8:9], -v[21:22]
	s_delay_alu instid0(VALU_DEP_3) | instskip(SKIP_1) | instid1(VALU_DEP_4)
	v_ldexp_f64 v[21:22], v[25:26], -2
	v_add_f64 v[4:5], v[25:26], -v[4:5]
	v_add_f64 v[6:7], v[6:7], -v[23:24]
	s_delay_alu instid0(VALU_DEP_3) | instskip(NEXT) | instid1(VALU_DEP_3)
	v_cmp_neq_f64_e64 vcc_lo, 0x7ff00000, |v[21:22]|
	v_add_f64 v[4:5], v[18:19], -v[4:5]
	s_delay_alu instid0(VALU_DEP_3) | instskip(SKIP_1) | instid1(VALU_DEP_1)
	v_add_f64 v[6:7], v[8:9], v[6:7]
	v_fract_f64_e32 v[8:9], v[21:22]
	v_dual_cndmask_b32 v9, 0, v9 :: v_dual_cndmask_b32 v8, 0, v8
	v_mul_f64 v[27:28], v[10:11], v[2:3]
	s_delay_alu instid0(VALU_DEP_2) | instskip(NEXT) | instid1(VALU_DEP_2)
	v_ldexp_f64 v[8:9], v[8:9], 2
	v_add_f64 v[23:24], v[27:28], v[29:30]
	v_fma_f64 v[2:3], v[10:11], v[2:3], -v[27:28]
	s_delay_alu instid0(VALU_DEP_2) | instskip(NEXT) | instid1(VALU_DEP_1)
	v_add_f64 v[18:19], v[23:24], v[6:7]
	v_add_f64 v[21:22], v[4:5], v[18:19]
	s_delay_alu instid0(VALU_DEP_1) | instskip(SKIP_1) | instid1(VALU_DEP_2)
	v_add_f64 v[25:26], v[21:22], v[8:9]
	v_add_f64 v[4:5], v[21:22], -v[4:5]
	v_cmp_gt_f64_e32 vcc_lo, 0, v[25:26]
	v_add_f64 v[25:26], v[23:24], -v[27:28]
	s_delay_alu instid0(VALU_DEP_3) | instskip(SKIP_1) | instid1(VALU_DEP_3)
	v_add_f64 v[4:5], v[18:19], -v[4:5]
	v_cndmask_b32_e64 v32, 0, 0x40100000, vcc_lo
	v_add_f64 v[36:37], v[23:24], -v[25:26]
	v_add_f64 v[25:26], v[29:30], -v[25:26]
	s_delay_alu instid0(VALU_DEP_3) | instskip(SKIP_1) | instid1(VALU_DEP_4)
	v_add_f64 v[8:9], v[8:9], v[31:32]
	v_add_f64 v[32:33], v[18:19], -v[23:24]
	v_add_f64 v[29:30], v[27:28], -v[36:37]
	s_delay_alu instid0(VALU_DEP_3) | instskip(NEXT) | instid1(VALU_DEP_3)
	v_add_f64 v[34:35], v[21:22], v[8:9]
	v_add_f64 v[38:39], v[18:19], -v[32:33]
	v_add_f64 v[6:7], v[6:7], -v[32:33]
	s_delay_alu instid0(VALU_DEP_4) | instskip(NEXT) | instid1(VALU_DEP_4)
	v_add_f64 v[25:26], v[25:26], v[29:30]
	v_cvt_i32_f64_e32 v34, v[34:35]
	s_delay_alu instid0(VALU_DEP_4) | instskip(NEXT) | instid1(VALU_DEP_2)
	v_add_f64 v[23:24], v[23:24], -v[38:39]
	v_cvt_f64_i32_e32 v[32:33], v34
	s_delay_alu instid0(VALU_DEP_2) | instskip(NEXT) | instid1(VALU_DEP_2)
	v_add_f64 v[6:7], v[6:7], v[23:24]
	v_add_f64 v[8:9], v[8:9], -v[32:33]
	s_delay_alu instid0(VALU_DEP_2) | instskip(NEXT) | instid1(VALU_DEP_2)
	v_add_f64 v[6:7], v[25:26], v[6:7]
	v_add_f64 v[23:24], v[21:22], v[8:9]
	s_delay_alu instid0(VALU_DEP_2) | instskip(NEXT) | instid1(VALU_DEP_2)
	v_add_f64 v[2:3], v[2:3], v[6:7]
	v_add_f64 v[6:7], v[23:24], -v[8:9]
	v_cmp_le_f64_e32 vcc_lo, 0.5, v[23:24]
	s_delay_alu instid0(VALU_DEP_3) | instskip(NEXT) | instid1(VALU_DEP_3)
	v_add_f64 v[2:3], v[4:5], v[2:3]
	v_add_f64 v[4:5], v[21:22], -v[6:7]
	v_cndmask_b32_e64 v32, 0, 0x3ff00000, vcc_lo
	v_add_co_ci_u32_e64 v18, s0, 0, v34, vcc_lo
	s_delay_alu instid0(VALU_DEP_3) | instskip(NEXT) | instid1(VALU_DEP_3)
	v_add_f64 v[2:3], v[2:3], v[4:5]
	v_add_f64 v[4:5], v[23:24], -v[31:32]
	s_delay_alu instid0(VALU_DEP_1) | instskip(NEXT) | instid1(VALU_DEP_1)
	v_add_f64 v[6:7], v[4:5], v[2:3]
	v_mul_f64 v[8:9], v[6:7], s[4:5]
	v_add_f64 v[4:5], v[6:7], -v[4:5]
	s_delay_alu instid0(VALU_DEP_2) | instskip(NEXT) | instid1(VALU_DEP_2)
	v_fma_f64 v[21:22], v[6:7], s[4:5], -v[8:9]
	v_add_f64 v[2:3], v[2:3], -v[4:5]
	s_delay_alu instid0(VALU_DEP_2) | instskip(NEXT) | instid1(VALU_DEP_1)
	v_fma_f64 v[4:5], v[6:7], s[6:7], v[21:22]
	v_fma_f64 v[4:5], v[2:3], s[4:5], v[4:5]
	s_delay_alu instid0(VALU_DEP_1) | instskip(NEXT) | instid1(VALU_DEP_1)
	v_add_f64 v[2:3], v[8:9], v[4:5]
	v_add_f64 v[6:7], v[2:3], -v[8:9]
	s_delay_alu instid0(VALU_DEP_1)
	v_add_f64 v[4:5], v[4:5], -v[6:7]
	s_and_not1_saveexec_b32 s0, s2
	s_cbranch_execz .LBB8_79
	s_branch .LBB8_78
.LBB8_77:
	s_and_not1_saveexec_b32 s0, s2
	s_cbranch_execz .LBB8_79
.LBB8_78:
	s_mov_b32 s4, 0x6dc9c883
	s_mov_b32 s5, 0x3fe45f30
	;; [unrolled: 1-line block ×3, first 2 shown]
	v_mul_f64 v[2:3], |v[0:1]|, s[4:5]
	s_mov_b32 s4, 0x54442d18
	s_mov_b32 s5, 0xbff921fb
	;; [unrolled: 1-line block ×3, first 2 shown]
	s_delay_alu instid0(VALU_DEP_1) | instskip(NEXT) | instid1(VALU_DEP_1)
	v_rndne_f64_e32 v[6:7], v[2:3]
	v_fma_f64 v[2:3], v[6:7], s[4:5], |v[0:1]|
	v_mul_f64 v[4:5], v[6:7], s[6:7]
	s_mov_b32 s4, 0x252049c0
	s_mov_b32 s5, 0xb97b839a
	s_delay_alu instid0(VALU_DEP_2) | instskip(NEXT) | instid1(VALU_DEP_2)
	v_fma_f64 v[18:19], v[6:7], s[6:7], v[2:3]
	v_add_f64 v[8:9], v[2:3], v[4:5]
	s_mov_b32 s7, 0x3c91a626
	s_delay_alu instid0(VALU_DEP_1) | instskip(NEXT) | instid1(VALU_DEP_3)
	v_add_f64 v[2:3], v[2:3], -v[8:9]
	v_add_f64 v[8:9], v[8:9], -v[18:19]
	s_delay_alu instid0(VALU_DEP_2) | instskip(SKIP_1) | instid1(VALU_DEP_2)
	v_add_f64 v[2:3], v[2:3], v[4:5]
	v_fma_f64 v[4:5], v[6:7], s[6:7], v[4:5]
	v_add_f64 v[2:3], v[8:9], v[2:3]
	s_delay_alu instid0(VALU_DEP_1) | instskip(NEXT) | instid1(VALU_DEP_1)
	v_add_f64 v[2:3], v[2:3], -v[4:5]
	v_fma_f64 v[4:5], v[6:7], s[4:5], v[2:3]
	s_delay_alu instid0(VALU_DEP_1) | instskip(NEXT) | instid1(VALU_DEP_1)
	v_add_f64 v[2:3], v[18:19], v[4:5]
	v_add_f64 v[8:9], v[2:3], -v[18:19]
	v_cvt_i32_f64_e32 v18, v[6:7]
	s_delay_alu instid0(VALU_DEP_2)
	v_add_f64 v[4:5], v[4:5], -v[8:9]
.LBB8_79:
	s_or_b32 exec_lo, exec_lo, s0
                                        ; implicit-def: $vgpr19
                                        ; implicit-def: $vgpr6_vgpr7
                                        ; implicit-def: $vgpr8_vgpr9
	s_and_saveexec_b32 s0, s1
	s_delay_alu instid0(SALU_CYCLE_1)
	s_xor_b32 s1, exec_lo, s0
	s_cbranch_execz .LBB8_81
; %bb.80:
	v_cmp_le_f64_e64 vcc_lo, 0x7b000000, |v[0:1]|
	v_mov_b32_e32 v29, 0
	s_mov_b32 s4, 0x54442d18
	s_mov_b32 s5, 0x3ff921fb
	;; [unrolled: 1-line block ×4, first 2 shown]
	v_cndmask_b32_e32 v7, v20, v17, vcc_lo
	v_cndmask_b32_e32 v6, v0, v16, vcc_lo
	s_delay_alu instid0(VALU_DEP_1) | instskip(SKIP_1) | instid1(VALU_DEP_2)
	v_mul_f64 v[8:9], v[14:15], v[6:7]
	v_mul_f64 v[16:17], v[12:13], v[6:7]
	v_fma_f64 v[14:15], v[14:15], v[6:7], -v[8:9]
	s_delay_alu instid0(VALU_DEP_2) | instskip(NEXT) | instid1(VALU_DEP_2)
	v_fma_f64 v[12:13], v[12:13], v[6:7], -v[16:17]
	v_add_f64 v[19:20], v[16:17], v[14:15]
	s_delay_alu instid0(VALU_DEP_1) | instskip(SKIP_1) | instid1(VALU_DEP_2)
	v_add_f64 v[21:22], v[19:20], -v[16:17]
	v_add_f64 v[25:26], v[8:9], v[19:20]
	v_add_f64 v[23:24], v[19:20], -v[21:22]
	v_add_f64 v[14:15], v[14:15], -v[21:22]
	s_delay_alu instid0(VALU_DEP_3) | instskip(SKIP_1) | instid1(VALU_DEP_4)
	v_ldexp_f64 v[21:22], v[25:26], -2
	v_add_f64 v[8:9], v[25:26], -v[8:9]
	v_add_f64 v[16:17], v[16:17], -v[23:24]
	s_delay_alu instid0(VALU_DEP_3) | instskip(NEXT) | instid1(VALU_DEP_3)
	v_cmp_neq_f64_e64 vcc_lo, 0x7ff00000, |v[21:22]|
	v_add_f64 v[8:9], v[19:20], -v[8:9]
	s_delay_alu instid0(VALU_DEP_3) | instskip(SKIP_1) | instid1(VALU_DEP_1)
	v_add_f64 v[14:15], v[14:15], v[16:17]
	v_fract_f64_e32 v[16:17], v[21:22]
	v_dual_cndmask_b32 v17, 0, v17 :: v_dual_cndmask_b32 v16, 0, v16
	v_mul_f64 v[27:28], v[10:11], v[6:7]
	s_delay_alu instid0(VALU_DEP_2) | instskip(NEXT) | instid1(VALU_DEP_2)
	v_ldexp_f64 v[16:17], v[16:17], 2
	v_add_f64 v[23:24], v[27:28], v[12:13]
	v_fma_f64 v[6:7], v[10:11], v[6:7], -v[27:28]
	s_delay_alu instid0(VALU_DEP_2) | instskip(NEXT) | instid1(VALU_DEP_1)
	v_add_f64 v[19:20], v[23:24], v[14:15]
	v_add_f64 v[21:22], v[8:9], v[19:20]
	s_delay_alu instid0(VALU_DEP_1) | instskip(SKIP_1) | instid1(VALU_DEP_2)
	v_add_f64 v[25:26], v[21:22], v[16:17]
	v_add_f64 v[8:9], v[21:22], -v[8:9]
	v_cmp_gt_f64_e32 vcc_lo, 0, v[25:26]
	v_add_f64 v[25:26], v[23:24], -v[27:28]
	s_delay_alu instid0(VALU_DEP_3) | instskip(SKIP_1) | instid1(VALU_DEP_3)
	v_add_f64 v[8:9], v[19:20], -v[8:9]
	v_cndmask_b32_e64 v30, 0, 0x40100000, vcc_lo
	v_add_f64 v[34:35], v[23:24], -v[25:26]
	v_add_f64 v[12:13], v[12:13], -v[25:26]
	s_delay_alu instid0(VALU_DEP_3) | instskip(SKIP_1) | instid1(VALU_DEP_4)
	v_add_f64 v[16:17], v[16:17], v[29:30]
	v_add_f64 v[30:31], v[19:20], -v[23:24]
	v_add_f64 v[25:26], v[27:28], -v[34:35]
	s_delay_alu instid0(VALU_DEP_3) | instskip(NEXT) | instid1(VALU_DEP_3)
	v_add_f64 v[32:33], v[21:22], v[16:17]
	v_add_f64 v[36:37], v[19:20], -v[30:31]
	v_add_f64 v[14:15], v[14:15], -v[30:31]
	s_delay_alu instid0(VALU_DEP_4) | instskip(NEXT) | instid1(VALU_DEP_4)
	v_add_f64 v[12:13], v[12:13], v[25:26]
	v_cvt_i32_f64_e32 v32, v[32:33]
	s_delay_alu instid0(VALU_DEP_4) | instskip(NEXT) | instid1(VALU_DEP_2)
	v_add_f64 v[23:24], v[23:24], -v[36:37]
	v_cvt_f64_i32_e32 v[30:31], v32
	s_delay_alu instid0(VALU_DEP_2) | instskip(NEXT) | instid1(VALU_DEP_2)
	v_add_f64 v[14:15], v[14:15], v[23:24]
	v_add_f64 v[16:17], v[16:17], -v[30:31]
	s_delay_alu instid0(VALU_DEP_2) | instskip(NEXT) | instid1(VALU_DEP_2)
	v_add_f64 v[10:11], v[12:13], v[14:15]
	v_add_f64 v[12:13], v[21:22], v[16:17]
	s_delay_alu instid0(VALU_DEP_2) | instskip(NEXT) | instid1(VALU_DEP_2)
	v_add_f64 v[6:7], v[6:7], v[10:11]
	v_add_f64 v[10:11], v[12:13], -v[16:17]
	v_cmp_le_f64_e32 vcc_lo, 0.5, v[12:13]
	s_delay_alu instid0(VALU_DEP_3) | instskip(NEXT) | instid1(VALU_DEP_3)
	v_add_f64 v[6:7], v[8:9], v[6:7]
	v_add_f64 v[8:9], v[21:22], -v[10:11]
	v_cndmask_b32_e64 v30, 0, 0x3ff00000, vcc_lo
	v_add_co_ci_u32_e64 v19, s0, 0, v32, vcc_lo
	s_delay_alu instid0(VALU_DEP_3) | instskip(NEXT) | instid1(VALU_DEP_3)
	v_add_f64 v[6:7], v[6:7], v[8:9]
	v_add_f64 v[8:9], v[12:13], -v[29:30]
	s_delay_alu instid0(VALU_DEP_1) | instskip(NEXT) | instid1(VALU_DEP_1)
	v_add_f64 v[10:11], v[8:9], v[6:7]
	v_mul_f64 v[12:13], v[10:11], s[4:5]
	v_add_f64 v[8:9], v[10:11], -v[8:9]
	s_delay_alu instid0(VALU_DEP_2) | instskip(NEXT) | instid1(VALU_DEP_2)
	v_fma_f64 v[14:15], v[10:11], s[4:5], -v[12:13]
	v_add_f64 v[6:7], v[6:7], -v[8:9]
	s_delay_alu instid0(VALU_DEP_2) | instskip(NEXT) | instid1(VALU_DEP_1)
	v_fma_f64 v[8:9], v[10:11], s[6:7], v[14:15]
	v_fma_f64 v[8:9], v[6:7], s[4:5], v[8:9]
	s_delay_alu instid0(VALU_DEP_1) | instskip(NEXT) | instid1(VALU_DEP_1)
	v_add_f64 v[6:7], v[12:13], v[8:9]
	v_add_f64 v[10:11], v[6:7], -v[12:13]
	s_delay_alu instid0(VALU_DEP_1)
	v_add_f64 v[8:9], v[8:9], -v[10:11]
	s_and_not1_saveexec_b32 s0, s1
	s_cbranch_execnz .LBB8_82
	s_branch .LBB8_83
.LBB8_81:
	s_and_not1_saveexec_b32 s0, s1
	s_cbranch_execz .LBB8_83
.LBB8_82:
	s_mov_b32 s4, 0x6dc9c883
	s_mov_b32 s5, 0x3fe45f30
	;; [unrolled: 1-line block ×3, first 2 shown]
	v_mul_f64 v[6:7], |v[0:1]|, s[4:5]
	s_mov_b32 s4, 0x54442d18
	s_mov_b32 s5, 0xbff921fb
	;; [unrolled: 1-line block ×3, first 2 shown]
	s_delay_alu instid0(VALU_DEP_1) | instskip(NEXT) | instid1(VALU_DEP_1)
	v_rndne_f64_e32 v[10:11], v[6:7]
	v_fma_f64 v[6:7], v[10:11], s[4:5], |v[0:1]|
	v_mul_f64 v[8:9], v[10:11], s[6:7]
	s_mov_b32 s4, 0x252049c0
	s_mov_b32 s5, 0xb97b839a
	v_cvt_i32_f64_e32 v19, v[10:11]
	s_delay_alu instid0(VALU_DEP_3) | instskip(NEXT) | instid1(VALU_DEP_3)
	v_fma_f64 v[14:15], v[10:11], s[6:7], v[6:7]
	v_add_f64 v[12:13], v[6:7], v[8:9]
	s_mov_b32 s7, 0x3c91a626
	s_delay_alu instid0(VALU_DEP_1) | instskip(NEXT) | instid1(VALU_DEP_3)
	v_add_f64 v[6:7], v[6:7], -v[12:13]
	v_add_f64 v[12:13], v[12:13], -v[14:15]
	s_delay_alu instid0(VALU_DEP_2) | instskip(SKIP_1) | instid1(VALU_DEP_2)
	v_add_f64 v[6:7], v[6:7], v[8:9]
	v_fma_f64 v[8:9], v[10:11], s[6:7], v[8:9]
	v_add_f64 v[6:7], v[12:13], v[6:7]
	s_delay_alu instid0(VALU_DEP_1) | instskip(NEXT) | instid1(VALU_DEP_1)
	v_add_f64 v[6:7], v[6:7], -v[8:9]
	v_fma_f64 v[8:9], v[10:11], s[4:5], v[6:7]
	s_delay_alu instid0(VALU_DEP_1) | instskip(NEXT) | instid1(VALU_DEP_1)
	v_add_f64 v[6:7], v[14:15], v[8:9]
	v_add_f64 v[12:13], v[6:7], -v[14:15]
	s_delay_alu instid0(VALU_DEP_1)
	v_add_f64 v[8:9], v[8:9], -v[12:13]
.LBB8_83:
	s_or_b32 exec_lo, exec_lo, s0
	v_div_scale_f64 v[10:11], null, v[41:42], v[41:42], 0x40140000
	v_div_scale_f64 v[16:17], vcc_lo, 0x40140000, v[41:42], 0x40140000
	s_mov_b32 s0, 0x6b70ba40
	s_mov_b32 s1, 0x3faa27fa
	;; [unrolled: 1-line block ×6, first 2 shown]
	v_mul_f64 v[26:27], v[2:3], v[2:3]
	v_mul_f64 v[32:33], v[6:7], v[6:7]
	s_mov_b32 s8, 0x796cde01
	s_mov_b32 s9, 0x3ec71de3
	v_mul_f64 v[67:68], v[4:5], 0.5
	v_rcp_f64_e32 v[12:13], v[10:11]
	s_delay_alu instid0(VALU_DEP_3) | instskip(SKIP_1) | instid1(VALU_DEP_4)
	v_mul_f64 v[51:52], v[26:27], 0.5
	v_mul_f64 v[69:70], v[2:3], -v[26:27]
	v_mul_f64 v[75:76], v[6:7], -v[32:33]
	s_waitcnt_depctr 0xfff
	v_fma_f64 v[14:15], -v[10:11], v[12:13], 1.0
	v_add_f64 v[53:54], -v[51:52], 1.0
	s_delay_alu instid0(VALU_DEP_2) | instskip(NEXT) | instid1(VALU_DEP_2)
	v_fma_f64 v[12:13], v[12:13], v[14:15], v[12:13]
	v_add_f64 v[71:72], -v[53:54], 1.0
	s_delay_alu instid0(VALU_DEP_2) | instskip(NEXT) | instid1(VALU_DEP_2)
	v_fma_f64 v[14:15], -v[10:11], v[12:13], 1.0
	v_add_f64 v[51:52], v[71:72], -v[51:52]
	s_delay_alu instid0(VALU_DEP_2) | instskip(NEXT) | instid1(VALU_DEP_2)
	v_fma_f64 v[12:13], v[12:13], v[14:15], v[12:13]
	v_fma_f64 v[51:52], v[2:3], -v[4:5], v[51:52]
	s_delay_alu instid0(VALU_DEP_2) | instskip(NEXT) | instid1(VALU_DEP_1)
	v_mul_f64 v[14:15], v[16:17], v[12:13]
	v_fma_f64 v[10:11], -v[10:11], v[14:15], v[16:17]
	s_delay_alu instid0(VALU_DEP_1) | instskip(NEXT) | instid1(VALU_DEP_1)
	v_div_fmas_f64 v[10:11], v[10:11], v[12:13], v[14:15]
	v_div_fixup_f64 v[10:11], v[10:11], v[41:42], 0x40140000
	s_delay_alu instid0(VALU_DEP_1) | instskip(NEXT) | instid1(VALU_DEP_1)
	v_mul_f64 v[12:13], v[10:11], v[10:11]
	v_fma_f64 v[14:15], v[12:13], 0, s[0:1]
	s_mov_b32 s0, 0x4c6c651b
	s_mov_b32 s1, 0x3f48f92c
	v_fma_f64 v[16:17], v[12:13], 0, s[4:5]
	v_fma_f64 v[20:21], v[12:13], 0, s[0:1]
	s_mov_b32 s0, 0xc66d8fd6
	s_mov_b32 s1, 0x4013edb5
	v_fma_f64 v[22:23], v[12:13], 0, s[6:7]
	s_mov_b32 s4, 0x5948aa83
	s_mov_b32 s5, 0x3fb19fdd
	s_mov_b32 s6, 0xa20e5f6f
	s_mov_b32 s7, 0x409081cb
	s_delay_alu instid0(VALU_DEP_4) | instskip(SKIP_2) | instid1(VALU_DEP_4)
	v_fma_f64 v[14:15], v[12:13], v[14:15], s[0:1]
	s_mov_b32 s0, 0xa3fec4b6
	s_mov_b32 s1, 0x3fb2b948
	v_fma_f64 v[16:17], v[12:13], v[16:17], s[4:5]
	s_delay_alu instid0(VALU_DEP_4) | instskip(SKIP_2) | instid1(VALU_DEP_4)
	v_fma_f64 v[20:21], v[12:13], v[20:21], s[0:1]
	s_mov_b32 s0, 0x9acf1c67
	s_mov_b32 s1, 0x4052f4b9
	v_fma_f64 v[22:23], v[12:13], v[22:23], s[6:7]
	s_mov_b32 s4, 0xb850eed6
	s_mov_b32 s5, 0x3ff1aea9
	s_mov_b32 s6, 0x1bfdfe81
	s_mov_b32 s7, 0x40b37a69
	s_delay_alu instid0(VALU_DEP_4) | instskip(SKIP_2) | instid1(VALU_DEP_4)
	v_fma_f64 v[14:15], v[12:13], v[14:15], s[0:1]
	s_mov_b32 s0, 0xc21596d6
	s_mov_b32 s1, 0x3ff208fe
	v_fma_f64 v[16:17], v[12:13], v[16:17], s[4:5]
	s_delay_alu instid0(VALU_DEP_4) | instskip(SKIP_2) | instid1(VALU_DEP_4)
	;; [unrolled: 14-line block ×5, first 2 shown]
	v_fma_f64 v[20:21], v[12:13], v[20:21], s[0:1]
	s_mov_b32 s0, 0x4c54bb0b
	s_mov_b32 s1, 0x406a760a
	v_fma_f64 v[22:23], v[12:13], v[22:23], s[6:7]
	s_mov_b32 s4, 0x4d159eb5
	s_mov_b32 s5, 0x403934ff
	;; [unrolled: 1-line block ×4, first 2 shown]
	s_delay_alu instid0(VALU_DEP_4) | instskip(SKIP_2) | instid1(VALU_DEP_4)
	v_fma_f64 v[14:15], v[12:13], v[14:15], s[0:1]
	s_mov_b32 s0, 0x6ae75997
	s_mov_b32 s1, 0x4075017f
	v_fma_f64 v[16:17], v[12:13], v[16:17], 1.0
	s_delay_alu instid0(VALU_DEP_4) | instskip(NEXT) | instid1(VALU_DEP_4)
	v_fma_f64 v[20:21], v[12:13], v[20:21], 1.0
	v_fma_f64 v[22:23], v[12:13], v[22:23], s[0:1]
	s_mov_b32 s0, 0xb42fdfa7
	s_mov_b32 s1, 0xbe5ae600
	s_delay_alu instid0(VALU_DEP_4) | instskip(SKIP_2) | instid1(VALU_DEP_3)
	v_fma_f64 v[12:13], v[12:13], v[14:15], s[4:5]
	s_mov_b32 s4, 0xf9a43bb8
	s_mov_b32 s5, 0x3de5e0b2
	v_div_scale_f64 v[14:15], null, v[16:17], v[16:17], v[20:21]
	v_fma_f64 v[34:35], v[26:27], s[4:5], s[0:1]
	v_fma_f64 v[47:48], v[32:33], s[4:5], s[0:1]
	v_cmp_gt_f64_e64 s0, 0x10000000, v[41:42]
	s_mov_b32 s4, 0x9037ab78
	s_mov_b32 s5, 0x3e21eeb6
	v_div_scale_f64 v[73:74], vcc_lo, v[20:21], v[16:17], v[20:21]
	v_fma_f64 v[49:50], v[26:27], s[6:7], s[4:5]
	v_div_scale_f64 v[24:25], null, v[22:23], v[22:23], v[12:13]
	v_rcp_f64_e32 v[28:29], v[14:15]
	v_fma_f64 v[34:35], v[26:27], v[34:35], s[8:9]
	s_delay_alu instid0(VALU_DEP_2) | instskip(SKIP_3) | instid1(VALU_DEP_2)
	v_rcp_f64_e32 v[30:31], v[24:25]
	s_waitcnt_depctr 0xfff
	v_fma_f64 v[36:37], -v[14:15], v[28:29], 1.0
	v_fma_f64 v[38:39], -v[24:25], v[30:31], 1.0
	v_fma_f64 v[28:29], v[28:29], v[36:37], v[28:29]
	v_fma_f64 v[36:37], v[32:33], v[47:48], s[8:9]
	;; [unrolled: 1-line block ×3, first 2 shown]
	s_mov_b32 s6, 0x19e83e5c
	s_mov_b32 s7, 0xbf2a01a0
	s_mov_b32 s4, 0xa17f65f6
	v_fma_f64 v[34:35], v[26:27], v[34:35], s[6:7]
	s_mov_b32 s5, 0xbe927e4f
	s_delay_alu instid0(SALU_CYCLE_1) | instskip(SKIP_4) | instid1(VALU_DEP_3)
	v_fma_f64 v[49:50], v[26:27], v[49:50], s[4:5]
	v_fma_f64 v[30:31], v[30:31], v[38:39], v[30:31]
	v_cndmask_b32_e64 v38, 0, 1, s0
	v_fma_f64 v[57:58], -v[14:15], v[28:29], 1.0
	v_fma_f64 v[36:37], v[32:33], v[36:37], s[6:7]
	v_lshlrev_b32_e32 v40, 8, v38
	v_mul_f64 v[38:39], v[32:33], 0.5
	v_fma_f64 v[47:48], v[32:33], v[47:48], s[4:5]
	s_mov_b32 s6, 0x11110bb3
	s_mov_b32 s7, 0x3f811111
	v_ldexp_f64 v[40:41], v[41:42], v40
	v_fma_f64 v[34:35], v[26:27], v[34:35], s[6:7]
	s_mov_b32 s4, 0x19f4ec90
	s_mov_b32 s5, 0x3efa01a0
	s_delay_alu instid0(SALU_CYCLE_1)
	v_fma_f64 v[49:50], v[26:27], v[49:50], s[4:5]
	v_fma_f64 v[61:62], -v[24:25], v[30:31], 1.0
	v_fma_f64 v[28:29], v[28:29], v[57:58], v[28:29]
	v_div_scale_f64 v[57:58], s1, v[12:13], v[22:23], v[12:13]
	v_add_f64 v[63:64], -v[38:39], 1.0
	v_fma_f64 v[36:37], v[32:33], v[36:37], s[6:7]
	v_fma_f64 v[47:48], v[32:33], v[47:48], s[4:5]
	s_mov_b32 s4, 0x16c16967
	v_rsq_f64_e32 v[65:66], v[40:41]
	v_fma_f64 v[34:35], v[69:70], v[34:35], v[67:68]
	s_mov_b32 s5, 0xbf56c16c
	s_delay_alu instid0(SALU_CYCLE_1)
	v_fma_f64 v[49:50], v[26:27], v[49:50], s[4:5]
	v_fma_f64 v[30:31], v[30:31], v[61:62], v[30:31]
	v_mul_f64 v[61:62], v[8:9], 0.5
	v_mul_f64 v[67:68], v[73:74], v[28:29]
	v_add_f64 v[77:78], -v[63:64], 1.0
	v_fma_f64 v[47:48], v[32:33], v[47:48], s[4:5]
	s_mov_b32 s4, 0x55555555
	s_mov_b32 s5, 0x3fa55555
	v_fma_f64 v[4:5], v[26:27], v[34:35], -v[4:5]
	s_delay_alu instid0(TRANS32_DEP_1)
	v_mul_f64 v[79:80], v[40:41], v[65:66]
	v_mul_f64 v[65:66], v[65:66], 0.5
	v_mul_f64 v[34:35], v[32:33], v[32:33]
	v_fma_f64 v[49:50], v[26:27], v[49:50], s[4:5]
	v_mul_f64 v[71:72], v[57:58], v[30:31]
	v_fma_f64 v[36:37], v[75:76], v[36:37], v[61:62]
	v_mul_f64 v[61:62], v[26:27], v[26:27]
	v_fma_f64 v[14:15], -v[14:15], v[67:68], v[73:74]
	v_add_f64 v[38:39], v[77:78], -v[38:39]
	v_fma_f64 v[77:78], -v[65:66], v[79:80], 0.5
	v_fma_f64 v[24:25], -v[24:25], v[71:72], v[57:58]
	v_fma_f64 v[26:27], v[32:33], v[36:37], -v[8:9]
	v_fma_f64 v[32:33], v[32:33], v[47:48], s[4:5]
	s_mov_b32 s5, 0xbfc55555
	v_div_fmas_f64 v[14:15], v[14:15], v[28:29], v[67:68]
	s_mov_b32 vcc_lo, s1
	v_fma_f64 v[4:5], v[69:70], s[4:5], v[4:5]
	v_fma_f64 v[8:9], v[6:7], -v[8:9], v[38:39]
	v_fma_f64 v[38:39], v[61:62], v[49:50], v[51:52]
	v_cmp_class_f64_e64 s1, v[0:1], 0x1f8
	v_and_b32_e32 v0, 1, v19
	v_fma_f64 v[36:37], v[79:80], v[77:78], v[79:80]
	v_fma_f64 v[28:29], v[65:66], v[77:78], v[65:66]
	s_delay_alu instid0(VALU_DEP_3)
	v_cmp_eq_u32_e64 s2, 0, v0
	v_div_fmas_f64 v[24:25], v[24:25], v[30:31], v[71:72]
	v_fma_f64 v[26:27], v[75:76], s[4:5], v[26:27]
	v_add_f64 v[2:3], v[2:3], -v[4:5]
	v_fma_f64 v[8:9], v[34:35], v[32:33], v[8:9]
	v_add_f64 v[32:33], v[53:54], v[38:39]
	v_fma_f64 v[30:31], -v[36:37], v[36:37], v[40:41]
	v_div_fixup_f64 v[4:5], v[24:25], v[22:23], v[12:13]
	v_add_f64 v[6:7], v[6:7], -v[26:27]
	v_and_b32_e32 v22, 1, v18
	v_add_f64 v[8:9], v[63:64], v[8:9]
	s_delay_alu instid0(VALU_DEP_2)
	v_cmp_eq_u32_e32 vcc_lo, 0, v22
	v_cndmask_b32_e32 v2, v32, v2, vcc_lo
	v_fma_f64 v[12:13], v[30:31], v[28:29], v[36:37]
	v_mul_f64 v[4:5], v[10:11], v[4:5]
	v_lshlrev_b32_e32 v10, 30, v19
	v_xor_b32_e32 v7, 0x80000000, v7
	s_delay_alu instid0(VALU_DEP_2) | instskip(SKIP_1) | instid1(VALU_DEP_3)
	v_and_b32_e32 v0, 0x80000000, v10
	v_cndmask_b32_e64 v8, v6, v8, s2
	v_cndmask_b32_e64 v6, v7, v9, s2
	v_div_fixup_f64 v[10:11], v[14:15], v[16:17], v[20:21]
	s_delay_alu instid0(VALU_DEP_3) | instskip(NEXT) | instid1(VALU_DEP_3)
	v_cndmask_b32_e64 v8, 0, v8, s1
	v_xor_b32_e32 v9, v6, v0
	v_fma_f64 v[6:7], -v[12:13], v[12:13], v[40:41]
	v_cndmask_b32_e64 v0, 0, v2, s1
	v_lshlrev_b32_e32 v2, 30, v18
	s_delay_alu instid0(VALU_DEP_4) | instskip(NEXT) | instid1(VALU_DEP_2)
	v_cndmask_b32_e64 v9, 0x7ff80000, v9, s1
	v_xor_b32_e32 v1, v2, v1
	v_cndmask_b32_e32 v2, v33, v3, vcc_lo
	v_cmp_class_f64_e64 vcc_lo, v[40:41], 0x260
	s_delay_alu instid0(VALU_DEP_3) | instskip(NEXT) | instid1(VALU_DEP_1)
	v_and_b32_e32 v1, 0x80000000, v1
	v_xor_b32_e32 v1, v2, v1
	s_delay_alu instid0(VALU_DEP_1) | instskip(SKIP_2) | instid1(VALU_DEP_2)
	v_cndmask_b32_e64 v1, 0x7ff80000, v1, s1
	v_mul_f64 v[4:5], v[4:5], v[8:9]
	v_fma_f64 v[2:3], v[6:7], v[28:29], v[12:13]
	v_fma_f64 v[0:1], v[10:11], v[0:1], v[4:5]
	v_cndmask_b32_e64 v4, 0, 0xffffff80, s0
	s_mov_b32 s0, 0x33d43651
	s_mov_b32 s1, 0x3fe98845
	s_delay_alu instid0(VALU_DEP_1) | instskip(NEXT) | instid1(VALU_DEP_3)
	v_ldexp_f64 v[2:3], v[2:3], v4
	v_mul_f64 v[0:1], v[0:1], s[0:1]
	s_delay_alu instid0(VALU_DEP_2) | instskip(NEXT) | instid1(VALU_DEP_1)
	v_dual_cndmask_b32 v3, v3, v41 :: v_dual_cndmask_b32 v2, v2, v40
	v_div_scale_f64 v[4:5], null, v[2:3], v[2:3], v[0:1]
	s_delay_alu instid0(VALU_DEP_1) | instskip(SKIP_2) | instid1(VALU_DEP_1)
	v_rcp_f64_e32 v[6:7], v[4:5]
	s_waitcnt_depctr 0xfff
	v_fma_f64 v[8:9], -v[4:5], v[6:7], 1.0
	v_fma_f64 v[6:7], v[6:7], v[8:9], v[6:7]
	s_delay_alu instid0(VALU_DEP_1) | instskip(NEXT) | instid1(VALU_DEP_1)
	v_fma_f64 v[8:9], -v[4:5], v[6:7], 1.0
	v_fma_f64 v[6:7], v[6:7], v[8:9], v[6:7]
	v_div_scale_f64 v[8:9], vcc_lo, v[0:1], v[2:3], v[0:1]
	s_delay_alu instid0(VALU_DEP_1) | instskip(NEXT) | instid1(VALU_DEP_1)
	v_mul_f64 v[10:11], v[8:9], v[6:7]
	v_fma_f64 v[4:5], -v[4:5], v[10:11], v[8:9]
	s_delay_alu instid0(VALU_DEP_1) | instskip(NEXT) | instid1(VALU_DEP_1)
	v_div_fmas_f64 v[4:5], v[4:5], v[6:7], v[10:11]
	v_div_fixup_f64 v[57:58], v[4:5], v[2:3], v[0:1]
.LBB8_84:
	s_or_b32 exec_lo, exec_lo, s3
	global_load_b64 v[41:42], v60, s[38:39]
                                        ; implicit-def: $vgpr60_vgpr61
	s_mov_b32 s0, exec_lo
	s_waitcnt vmcnt(0)
	v_cmpx_ge_f64_e32 0x40140000, v[41:42]
	s_xor_b32 s35, exec_lo, s0
	s_cbranch_execz .LBB8_90
; %bb.85:
	v_mov_b32_e32 v60, 0
	v_mov_b32_e32 v61, 0xfff00000
	s_mov_b32 s40, exec_lo
	v_cmpx_neq_f64_e32 0, v[41:42]
	s_cbranch_execz .LBB8_89
; %bb.86:
	v_mov_b32_e32 v60, 0
	v_mov_b32_e32 v61, 0x7ff80000
	s_mov_b32 s41, exec_lo
	v_cmpx_nge_f64_e32 0, v[41:42]
	s_cbranch_execz .LBB8_88
; %bb.87:
	v_mul_f64 v[0:1], v[41:42], v[41:42]
	s_mov_b32 s0, 0xa93f7ac2
	s_mov_b32 s1, 0x40829269
	;; [unrolled: 1-line block ×4, first 2 shown]
	s_delay_alu instid0(VALU_DEP_1)
	v_fma_f64 v[2:3], v[0:1], 0, s[0:1]
	s_mov_b32 s0, 0xbe58ef7f
	s_mov_b32 s1, 0x410cc160
	s_delay_alu instid0(VALU_DEP_1) | instid1(SALU_CYCLE_1)
	v_fma_f64 v[2:3], v[0:1], v[2:3], s[0:1]
	s_mov_b32 s0, 0x62f9b6c5
	s_mov_b32 s1, 0x41d2d2be
	s_delay_alu instid0(SALU_CYCLE_1) | instskip(SKIP_2) | instid1(VALU_DEP_2)
	v_fma_f64 v[4:5], v[0:1], 0, s[0:1]
	s_mov_b32 s0, 0x58836521
	s_mov_b32 s1, 0xc262d72d
	v_fma_f64 v[2:3], v[0:1], v[2:3], s[2:3]
	s_mov_b32 s2, 0x906b7b83
	s_mov_b32 s3, 0x421178c3
	s_delay_alu instid0(VALU_DEP_2) | instskip(SKIP_2) | instid1(VALU_DEP_2)
	v_fma_f64 v[4:5], v[0:1], v[4:5], s[0:1]
	s_mov_b32 s0, 0xb0910fef
	s_mov_b32 s1, 0x42da0954
	v_fma_f64 v[2:3], v[0:1], v[2:3], s[2:3]
	s_mov_b32 s2, 0xfda99316
	s_mov_b32 s3, 0x428c3f5e
	s_delay_alu instid0(VALU_DEP_2) | instskip(SKIP_2) | instid1(VALU_DEP_2)
	;; [unrolled: 7-line block ×4, first 2 shown]
	v_fma_f64 v[4:5], v[0:1], v[4:5], s[0:1]
	s_mov_b32 s0, 0x5dde2b17
	s_mov_b32 s1, 0xc3a59e41
	v_fma_f64 v[2:3], v[0:1], v[2:3], s[2:3]
	s_mov_b32 s2, 0x90f6747f
	s_mov_b32 s3, 0x43cb90f1
	s_delay_alu instid0(VALU_DEP_2) | instskip(SKIP_3) | instid1(VALU_DEP_2)
	v_fma_f64 v[4:5], v[0:1], v[4:5], s[0:1]
	s_getpc_b64 s[0:1]
	s_add_u32 s0, s0, _Z17bessel_j1_forwardIdET_S0_@rel32@lo+4
	s_addc_u32 s1, s1, _Z17bessel_j1_forwardIdET_S0_@rel32@hi+12
	v_fma_f64 v[0:1], v[0:1], v[2:3], s[2:3]
	s_delay_alu instid0(VALU_DEP_1) | instskip(NEXT) | instid1(VALU_DEP_1)
	v_div_scale_f64 v[2:3], null, v[0:1], v[0:1], v[4:5]
	v_rcp_f64_e32 v[6:7], v[2:3]
	s_waitcnt_depctr 0xfff
	v_fma_f64 v[8:9], -v[2:3], v[6:7], 1.0
	s_delay_alu instid0(VALU_DEP_1) | instskip(NEXT) | instid1(VALU_DEP_1)
	v_fma_f64 v[6:7], v[6:7], v[8:9], v[6:7]
	v_fma_f64 v[8:9], -v[2:3], v[6:7], 1.0
	s_delay_alu instid0(VALU_DEP_1) | instskip(SKIP_1) | instid1(VALU_DEP_1)
	v_fma_f64 v[6:7], v[6:7], v[8:9], v[6:7]
	v_div_scale_f64 v[8:9], vcc_lo, v[4:5], v[0:1], v[4:5]
	v_mul_f64 v[10:11], v[8:9], v[6:7]
	s_delay_alu instid0(VALU_DEP_1) | instskip(NEXT) | instid1(VALU_DEP_1)
	v_fma_f64 v[2:3], -v[2:3], v[10:11], v[8:9]
	v_div_fmas_f64 v[2:3], v[2:3], v[6:7], v[10:11]
	s_delay_alu instid0(VALU_DEP_1)
	v_div_fixup_f64 v[60:61], v[2:3], v[0:1], v[4:5]
	v_dual_mov_b32 v0, v41 :: v_dual_mov_b32 v1, v42
	s_swappc_b64 s[30:31], s[0:1]
	v_frexp_mant_f64_e32 v[2:3], v[41:42]
	s_mov_b32 s1, 0x3fe55555
	s_mov_b32 s0, 0x55555555
	v_mov_b32_e32 v4, 0
	s_mov_b32 s2, 0x6b47b09a
	s_mov_b32 s4, 0xbf559e2b
	;; [unrolled: 1-line block ×4, first 2 shown]
	v_div_scale_f64 v[18:19], null, v[41:42], v[41:42], -1.0
	s_delay_alu instid0(VALU_DEP_3) | instskip(SKIP_1) | instid1(VALU_DEP_2)
	v_cmp_gt_f64_e32 vcc_lo, s[0:1], v[2:3]
	s_mov_b32 s0, 0x55555780
	v_rcp_f64_e32 v[22:23], v[18:19]
	v_cndmask_b32_e64 v5, 0x3ff00000, 2.0, vcc_lo
	s_delay_alu instid0(VALU_DEP_1) | instskip(NEXT) | instid1(VALU_DEP_1)
	v_mul_f64 v[2:3], v[2:3], v[4:5]
	v_add_f64 v[4:5], v[2:3], 1.0
	v_add_f64 v[10:11], v[2:3], -1.0
	s_delay_alu instid0(VALU_DEP_2) | instskip(SKIP_1) | instid1(VALU_DEP_1)
	v_rcp_f64_e32 v[6:7], v[4:5]
	v_add_f64 v[12:13], v[4:5], -1.0
	v_add_f64 v[2:3], v[2:3], -v[12:13]
	s_waitcnt_depctr 0xfff
	v_fma_f64 v[8:9], -v[4:5], v[6:7], 1.0
	s_delay_alu instid0(VALU_DEP_1) | instskip(NEXT) | instid1(VALU_DEP_1)
	v_fma_f64 v[6:7], v[8:9], v[6:7], v[6:7]
	v_fma_f64 v[8:9], -v[4:5], v[6:7], 1.0
	s_delay_alu instid0(VALU_DEP_1) | instskip(NEXT) | instid1(VALU_DEP_1)
	v_fma_f64 v[6:7], v[8:9], v[6:7], v[6:7]
	v_mul_f64 v[8:9], v[10:11], v[6:7]
	s_delay_alu instid0(VALU_DEP_1) | instskip(NEXT) | instid1(VALU_DEP_1)
	v_mul_f64 v[14:15], v[4:5], v[8:9]
	v_fma_f64 v[4:5], v[8:9], v[4:5], -v[14:15]
	s_delay_alu instid0(VALU_DEP_1) | instskip(NEXT) | instid1(VALU_DEP_1)
	v_fma_f64 v[2:3], v[8:9], v[2:3], v[4:5]
	v_add_f64 v[4:5], v[14:15], v[2:3]
	s_delay_alu instid0(VALU_DEP_1) | instskip(SKIP_1) | instid1(VALU_DEP_2)
	v_add_f64 v[12:13], v[10:11], -v[4:5]
	v_add_f64 v[14:15], v[4:5], -v[14:15]
	;; [unrolled: 1-line block ×3, first 2 shown]
	s_delay_alu instid0(VALU_DEP_2) | instskip(SKIP_1) | instid1(VALU_DEP_3)
	v_add_f64 v[2:3], v[14:15], -v[2:3]
	v_frexp_exp_i32_f64_e32 v14, v[41:42]
	v_add_f64 v[4:5], v[10:11], -v[4:5]
	s_delay_alu instid0(VALU_DEP_1) | instskip(NEXT) | instid1(VALU_DEP_1)
	v_add_f64 v[2:3], v[2:3], v[4:5]
	v_add_f64 v[2:3], v[12:13], v[2:3]
	s_delay_alu instid0(VALU_DEP_1) | instskip(NEXT) | instid1(VALU_DEP_1)
	v_mul_f64 v[2:3], v[6:7], v[2:3]
	v_add_f64 v[4:5], v[8:9], v[2:3]
	s_delay_alu instid0(VALU_DEP_1) | instskip(NEXT) | instid1(VALU_DEP_1)
	v_mul_f64 v[6:7], v[4:5], v[4:5]
	v_fma_f64 v[10:11], v[6:7], s[4:5], s[2:3]
	s_mov_b32 s2, 0xd7f4df2e
	s_mov_b32 s3, 0x3fc7474d
	v_mul_f64 v[12:13], v[4:5], v[6:7]
	s_delay_alu instid0(VALU_DEP_2)
	v_fma_f64 v[10:11], v[6:7], v[10:11], s[2:3]
	s_mov_b32 s2, 0x16291751
	s_mov_b32 s3, 0x3fcc71c0
	s_delay_alu instid0(VALU_DEP_1) | instid1(SALU_CYCLE_1)
	v_fma_f64 v[10:11], v[6:7], v[10:11], s[2:3]
	s_mov_b32 s2, 0x9b27acf1
	s_mov_b32 s3, 0x3fd24924
	s_delay_alu instid0(VALU_DEP_1) | instid1(SALU_CYCLE_1)
	;; [unrolled: 4-line block ×3, first 2 shown]
	v_fma_f64 v[10:11], v[6:7], v[10:11], s[2:3]
	s_delay_alu instid0(VALU_DEP_1) | instskip(SKIP_4) | instid1(VALU_DEP_3)
	v_fma_f64 v[6:7], v[6:7], v[10:11], s[0:1]
	v_ldexp_f64 v[10:11], v[4:5], 1
	v_add_f64 v[4:5], v[4:5], -v[8:9]
	s_mov_b32 s0, 0xfefa39ef
	s_mov_b32 s1, 0x3fe62e42
	v_mul_f64 v[6:7], v[12:13], v[6:7]
	v_subrev_co_ci_u32_e32 v12, vcc_lo, 0, v14, vcc_lo
	s_delay_alu instid0(VALU_DEP_3) | instskip(NEXT) | instid1(VALU_DEP_2)
	v_add_f64 v[2:3], v[2:3], -v[4:5]
	v_cvt_f64_i32_e32 v[12:13], v12
	s_delay_alu instid0(VALU_DEP_4) | instskip(NEXT) | instid1(VALU_DEP_3)
	v_add_f64 v[8:9], v[10:11], v[6:7]
	v_ldexp_f64 v[2:3], v[2:3], 1
	s_delay_alu instid0(VALU_DEP_3) | instskip(NEXT) | instid1(VALU_DEP_3)
	v_mul_f64 v[14:15], v[12:13], s[0:1]
	v_add_f64 v[4:5], v[8:9], -v[10:11]
	s_delay_alu instid0(VALU_DEP_2) | instskip(SKIP_2) | instid1(VALU_DEP_2)
	v_fma_f64 v[10:11], v[12:13], s[0:1], -v[14:15]
	s_mov_b32 s0, 0x3b39803f
	s_mov_b32 s1, 0x3c7abc9e
	v_add_f64 v[4:5], v[6:7], -v[4:5]
	s_delay_alu instid0(VALU_DEP_2) | instskip(SKIP_2) | instid1(VALU_DEP_2)
	v_fma_f64 v[6:7], v[12:13], s[0:1], v[10:11]
	s_mov_b32 s0, 0x6dc9c883
	s_mov_b32 s1, 0x3fe45f30
	v_add_f64 v[2:3], v[2:3], v[4:5]
	s_delay_alu instid0(VALU_DEP_2) | instskip(NEXT) | instid1(VALU_DEP_2)
	v_add_f64 v[4:5], v[14:15], v[6:7]
	v_add_f64 v[10:11], v[8:9], v[2:3]
	s_delay_alu instid0(VALU_DEP_2) | instskip(NEXT) | instid1(VALU_DEP_2)
	v_add_f64 v[14:15], v[4:5], -v[14:15]
	v_add_f64 v[12:13], v[4:5], v[10:11]
	v_add_f64 v[8:9], v[10:11], -v[8:9]
	s_delay_alu instid0(VALU_DEP_3) | instskip(NEXT) | instid1(VALU_DEP_3)
	v_add_f64 v[6:7], v[6:7], -v[14:15]
	v_add_f64 v[16:17], v[12:13], -v[4:5]
	s_delay_alu instid0(VALU_DEP_3) | instskip(NEXT) | instid1(VALU_DEP_2)
	v_add_f64 v[2:3], v[2:3], -v[8:9]
	v_add_f64 v[20:21], v[12:13], -v[16:17]
	;; [unrolled: 1-line block ×3, first 2 shown]
	v_fma_f64 v[10:11], -v[18:19], v[22:23], 1.0
	s_delay_alu instid0(VALU_DEP_4) | instskip(NEXT) | instid1(VALU_DEP_4)
	v_add_f64 v[14:15], v[6:7], v[2:3]
	v_add_f64 v[4:5], v[4:5], -v[20:21]
	s_delay_alu instid0(VALU_DEP_1) | instskip(NEXT) | instid1(VALU_DEP_4)
	v_add_f64 v[4:5], v[8:9], v[4:5]
	v_fma_f64 v[8:9], v[22:23], v[10:11], v[22:23]
	s_delay_alu instid0(VALU_DEP_4) | instskip(SKIP_1) | instid1(VALU_DEP_4)
	v_add_f64 v[10:11], v[14:15], -v[6:7]
	v_div_scale_f64 v[22:23], vcc_lo, -1.0, v[41:42], -1.0
	v_add_f64 v[4:5], v[14:15], v[4:5]
	s_delay_alu instid0(VALU_DEP_4) | instskip(NEXT) | instid1(VALU_DEP_4)
	v_fma_f64 v[16:17], -v[18:19], v[8:9], 1.0
	v_add_f64 v[14:15], v[14:15], -v[10:11]
	v_add_f64 v[2:3], v[2:3], -v[10:11]
	s_delay_alu instid0(VALU_DEP_4) | instskip(NEXT) | instid1(VALU_DEP_4)
	v_add_f64 v[20:21], v[12:13], v[4:5]
	v_fma_f64 v[8:9], v[8:9], v[16:17], v[8:9]
	s_delay_alu instid0(VALU_DEP_4) | instskip(NEXT) | instid1(VALU_DEP_3)
	v_add_f64 v[6:7], v[6:7], -v[14:15]
	v_add_f64 v[10:11], v[20:21], -v[12:13]
	s_delay_alu instid0(VALU_DEP_3) | instskip(NEXT) | instid1(VALU_DEP_3)
	v_mul_f64 v[12:13], v[22:23], v[8:9]
	v_add_f64 v[2:3], v[2:3], v[6:7]
	s_delay_alu instid0(VALU_DEP_3) | instskip(NEXT) | instid1(VALU_DEP_3)
	v_add_f64 v[4:5], v[4:5], -v[10:11]
	v_fma_f64 v[6:7], -v[18:19], v[12:13], v[22:23]
	s_delay_alu instid0(VALU_DEP_2) | instskip(NEXT) | instid1(VALU_DEP_2)
	v_add_f64 v[2:3], v[2:3], v[4:5]
	v_div_fmas_f64 v[4:5], v[6:7], v[8:9], v[12:13]
	s_delay_alu instid0(VALU_DEP_2) | instskip(NEXT) | instid1(VALU_DEP_2)
	v_add_f64 v[2:3], v[20:21], v[2:3]
	v_div_fixup_f64 v[4:5], v[4:5], v[41:42], -1.0
	s_delay_alu instid0(VALU_DEP_1) | instskip(NEXT) | instid1(VALU_DEP_1)
	v_fma_f64 v[0:1], v[2:3], v[0:1], v[4:5]
	v_mul_f64 v[0:1], v[0:1], s[0:1]
	s_delay_alu instid0(VALU_DEP_1)
	v_fma_f64 v[60:61], v[41:42], v[60:61], v[0:1]
.LBB8_88:
	s_or_b32 exec_lo, exec_lo, s41
.LBB8_89:
	s_delay_alu instid0(SALU_CYCLE_1)
	s_or_b32 exec_lo, exec_lo, s40
                                        ; implicit-def: $vgpr41_vgpr42
.LBB8_90:
	s_and_not1_saveexec_b32 s3, s35
	s_cbranch_execz .LBB8_100
; %bb.91:
	s_mov_b32 s0, 0x7f3321d2
	s_mov_b32 s1, 0xc002d97c
                                        ; implicit-def: $vgpr18
                                        ; implicit-def: $vgpr2_vgpr3
                                        ; implicit-def: $vgpr4_vgpr5
	s_delay_alu instid0(SALU_CYCLE_1) | instskip(NEXT) | instid1(VALU_DEP_1)
	v_add_f64 v[0:1], v[41:42], s[0:1]
	v_cmp_ngt_f64_e64 s1, 0x41d00000, |v[0:1]|
	v_trig_preop_f64 v[14:15], |v[0:1]|, 0
	v_trig_preop_f64 v[12:13], |v[0:1]|, 1
	v_ldexp_f64 v[16:17], |v[0:1]|, 0xffffff80
	v_trig_preop_f64 v[10:11], |v[0:1]|, 2
	v_and_b32_e32 v20, 0x7fffffff, v1
	s_and_saveexec_b32 s0, s1
	s_delay_alu instid0(SALU_CYCLE_1)
	s_xor_b32 s2, exec_lo, s0
	s_cbranch_execz .LBB8_93
; %bb.92:
	v_cmp_le_f64_e64 vcc_lo, 0x7b000000, |v[0:1]|
	v_mov_b32_e32 v31, 0
	s_mov_b32 s4, 0x54442d18
	s_mov_b32 s5, 0x3ff921fb
	;; [unrolled: 1-line block ×4, first 2 shown]
	v_cndmask_b32_e32 v3, v20, v17, vcc_lo
	v_cndmask_b32_e32 v2, v0, v16, vcc_lo
	s_delay_alu instid0(VALU_DEP_1) | instskip(SKIP_1) | instid1(VALU_DEP_2)
	v_mul_f64 v[4:5], v[14:15], v[2:3]
	v_mul_f64 v[6:7], v[12:13], v[2:3]
	v_fma_f64 v[8:9], v[14:15], v[2:3], -v[4:5]
	s_delay_alu instid0(VALU_DEP_2) | instskip(NEXT) | instid1(VALU_DEP_2)
	v_fma_f64 v[29:30], v[12:13], v[2:3], -v[6:7]
	v_add_f64 v[18:19], v[6:7], v[8:9]
	s_delay_alu instid0(VALU_DEP_1) | instskip(SKIP_1) | instid1(VALU_DEP_2)
	v_add_f64 v[21:22], v[18:19], -v[6:7]
	v_add_f64 v[25:26], v[4:5], v[18:19]
	v_add_f64 v[23:24], v[18:19], -v[21:22]
	v_add_f64 v[8:9], v[8:9], -v[21:22]
	s_delay_alu instid0(VALU_DEP_3) | instskip(SKIP_1) | instid1(VALU_DEP_4)
	v_ldexp_f64 v[21:22], v[25:26], -2
	v_add_f64 v[4:5], v[25:26], -v[4:5]
	v_add_f64 v[6:7], v[6:7], -v[23:24]
	s_delay_alu instid0(VALU_DEP_3) | instskip(NEXT) | instid1(VALU_DEP_3)
	v_cmp_neq_f64_e64 vcc_lo, 0x7ff00000, |v[21:22]|
	v_add_f64 v[4:5], v[18:19], -v[4:5]
	s_delay_alu instid0(VALU_DEP_3) | instskip(SKIP_1) | instid1(VALU_DEP_1)
	v_add_f64 v[6:7], v[8:9], v[6:7]
	v_fract_f64_e32 v[8:9], v[21:22]
	v_dual_cndmask_b32 v9, 0, v9 :: v_dual_cndmask_b32 v8, 0, v8
	v_mul_f64 v[27:28], v[10:11], v[2:3]
	s_delay_alu instid0(VALU_DEP_2) | instskip(NEXT) | instid1(VALU_DEP_2)
	v_ldexp_f64 v[8:9], v[8:9], 2
	v_add_f64 v[23:24], v[27:28], v[29:30]
	v_fma_f64 v[2:3], v[10:11], v[2:3], -v[27:28]
	s_delay_alu instid0(VALU_DEP_2) | instskip(NEXT) | instid1(VALU_DEP_1)
	v_add_f64 v[18:19], v[23:24], v[6:7]
	v_add_f64 v[21:22], v[4:5], v[18:19]
	s_delay_alu instid0(VALU_DEP_1) | instskip(SKIP_1) | instid1(VALU_DEP_2)
	v_add_f64 v[25:26], v[21:22], v[8:9]
	v_add_f64 v[4:5], v[21:22], -v[4:5]
	v_cmp_gt_f64_e32 vcc_lo, 0, v[25:26]
	v_add_f64 v[25:26], v[23:24], -v[27:28]
	s_delay_alu instid0(VALU_DEP_3) | instskip(SKIP_1) | instid1(VALU_DEP_3)
	v_add_f64 v[4:5], v[18:19], -v[4:5]
	v_cndmask_b32_e64 v32, 0, 0x40100000, vcc_lo
	v_add_f64 v[36:37], v[23:24], -v[25:26]
	v_add_f64 v[25:26], v[29:30], -v[25:26]
	s_delay_alu instid0(VALU_DEP_3) | instskip(SKIP_1) | instid1(VALU_DEP_4)
	v_add_f64 v[8:9], v[8:9], v[31:32]
	v_add_f64 v[32:33], v[18:19], -v[23:24]
	v_add_f64 v[29:30], v[27:28], -v[36:37]
	s_delay_alu instid0(VALU_DEP_3) | instskip(NEXT) | instid1(VALU_DEP_3)
	v_add_f64 v[34:35], v[21:22], v[8:9]
	v_add_f64 v[38:39], v[18:19], -v[32:33]
	v_add_f64 v[6:7], v[6:7], -v[32:33]
	s_delay_alu instid0(VALU_DEP_4) | instskip(NEXT) | instid1(VALU_DEP_4)
	v_add_f64 v[25:26], v[25:26], v[29:30]
	v_cvt_i32_f64_e32 v34, v[34:35]
	s_delay_alu instid0(VALU_DEP_4) | instskip(NEXT) | instid1(VALU_DEP_2)
	v_add_f64 v[23:24], v[23:24], -v[38:39]
	v_cvt_f64_i32_e32 v[32:33], v34
	s_delay_alu instid0(VALU_DEP_2) | instskip(NEXT) | instid1(VALU_DEP_2)
	v_add_f64 v[6:7], v[6:7], v[23:24]
	v_add_f64 v[8:9], v[8:9], -v[32:33]
	s_delay_alu instid0(VALU_DEP_2) | instskip(NEXT) | instid1(VALU_DEP_2)
	v_add_f64 v[6:7], v[25:26], v[6:7]
	v_add_f64 v[23:24], v[21:22], v[8:9]
	s_delay_alu instid0(VALU_DEP_2) | instskip(NEXT) | instid1(VALU_DEP_2)
	v_add_f64 v[2:3], v[2:3], v[6:7]
	v_add_f64 v[6:7], v[23:24], -v[8:9]
	v_cmp_le_f64_e32 vcc_lo, 0.5, v[23:24]
	s_delay_alu instid0(VALU_DEP_3) | instskip(NEXT) | instid1(VALU_DEP_3)
	v_add_f64 v[2:3], v[4:5], v[2:3]
	v_add_f64 v[4:5], v[21:22], -v[6:7]
	v_cndmask_b32_e64 v32, 0, 0x3ff00000, vcc_lo
	v_add_co_ci_u32_e64 v18, s0, 0, v34, vcc_lo
	s_delay_alu instid0(VALU_DEP_3) | instskip(NEXT) | instid1(VALU_DEP_3)
	v_add_f64 v[2:3], v[2:3], v[4:5]
	v_add_f64 v[4:5], v[23:24], -v[31:32]
	s_delay_alu instid0(VALU_DEP_1) | instskip(NEXT) | instid1(VALU_DEP_1)
	v_add_f64 v[6:7], v[4:5], v[2:3]
	v_mul_f64 v[8:9], v[6:7], s[4:5]
	v_add_f64 v[4:5], v[6:7], -v[4:5]
	s_delay_alu instid0(VALU_DEP_2) | instskip(NEXT) | instid1(VALU_DEP_2)
	v_fma_f64 v[21:22], v[6:7], s[4:5], -v[8:9]
	v_add_f64 v[2:3], v[2:3], -v[4:5]
	s_delay_alu instid0(VALU_DEP_2) | instskip(NEXT) | instid1(VALU_DEP_1)
	v_fma_f64 v[4:5], v[6:7], s[6:7], v[21:22]
	v_fma_f64 v[4:5], v[2:3], s[4:5], v[4:5]
	s_delay_alu instid0(VALU_DEP_1) | instskip(NEXT) | instid1(VALU_DEP_1)
	v_add_f64 v[2:3], v[8:9], v[4:5]
	v_add_f64 v[6:7], v[2:3], -v[8:9]
	s_delay_alu instid0(VALU_DEP_1)
	v_add_f64 v[4:5], v[4:5], -v[6:7]
	s_and_not1_saveexec_b32 s0, s2
	s_cbranch_execz .LBB8_95
	s_branch .LBB8_94
.LBB8_93:
	s_and_not1_saveexec_b32 s0, s2
	s_cbranch_execz .LBB8_95
.LBB8_94:
	s_mov_b32 s4, 0x6dc9c883
	s_mov_b32 s5, 0x3fe45f30
	s_mov_b32 s7, 0xbc91a626
	v_mul_f64 v[2:3], |v[0:1]|, s[4:5]
	s_mov_b32 s4, 0x54442d18
	s_mov_b32 s5, 0xbff921fb
	s_mov_b32 s6, 0x33145c00
	s_delay_alu instid0(VALU_DEP_1) | instskip(NEXT) | instid1(VALU_DEP_1)
	v_rndne_f64_e32 v[6:7], v[2:3]
	v_fma_f64 v[2:3], v[6:7], s[4:5], |v[0:1]|
	v_mul_f64 v[4:5], v[6:7], s[6:7]
	s_mov_b32 s4, 0x252049c0
	s_mov_b32 s5, 0xb97b839a
	s_delay_alu instid0(VALU_DEP_2) | instskip(NEXT) | instid1(VALU_DEP_2)
	v_fma_f64 v[18:19], v[6:7], s[6:7], v[2:3]
	v_add_f64 v[8:9], v[2:3], v[4:5]
	s_mov_b32 s7, 0x3c91a626
	s_delay_alu instid0(VALU_DEP_1) | instskip(NEXT) | instid1(VALU_DEP_3)
	v_add_f64 v[2:3], v[2:3], -v[8:9]
	v_add_f64 v[8:9], v[8:9], -v[18:19]
	s_delay_alu instid0(VALU_DEP_2) | instskip(SKIP_1) | instid1(VALU_DEP_2)
	v_add_f64 v[2:3], v[2:3], v[4:5]
	v_fma_f64 v[4:5], v[6:7], s[6:7], v[4:5]
	v_add_f64 v[2:3], v[8:9], v[2:3]
	s_delay_alu instid0(VALU_DEP_1) | instskip(NEXT) | instid1(VALU_DEP_1)
	v_add_f64 v[2:3], v[2:3], -v[4:5]
	v_fma_f64 v[4:5], v[6:7], s[4:5], v[2:3]
	s_delay_alu instid0(VALU_DEP_1) | instskip(NEXT) | instid1(VALU_DEP_1)
	v_add_f64 v[2:3], v[18:19], v[4:5]
	v_add_f64 v[8:9], v[2:3], -v[18:19]
	v_cvt_i32_f64_e32 v18, v[6:7]
	s_delay_alu instid0(VALU_DEP_2)
	v_add_f64 v[4:5], v[4:5], -v[8:9]
.LBB8_95:
	s_or_b32 exec_lo, exec_lo, s0
                                        ; implicit-def: $vgpr19
                                        ; implicit-def: $vgpr6_vgpr7
                                        ; implicit-def: $vgpr8_vgpr9
	s_and_saveexec_b32 s0, s1
	s_delay_alu instid0(SALU_CYCLE_1)
	s_xor_b32 s1, exec_lo, s0
	s_cbranch_execz .LBB8_97
; %bb.96:
	v_cmp_le_f64_e64 vcc_lo, 0x7b000000, |v[0:1]|
	v_mov_b32_e32 v29, 0
	s_mov_b32 s4, 0x54442d18
	s_mov_b32 s5, 0x3ff921fb
	;; [unrolled: 1-line block ×4, first 2 shown]
	v_cndmask_b32_e32 v7, v20, v17, vcc_lo
	v_cndmask_b32_e32 v6, v0, v16, vcc_lo
	s_delay_alu instid0(VALU_DEP_1) | instskip(SKIP_1) | instid1(VALU_DEP_2)
	v_mul_f64 v[8:9], v[14:15], v[6:7]
	v_mul_f64 v[16:17], v[12:13], v[6:7]
	v_fma_f64 v[14:15], v[14:15], v[6:7], -v[8:9]
	s_delay_alu instid0(VALU_DEP_2) | instskip(NEXT) | instid1(VALU_DEP_2)
	v_fma_f64 v[12:13], v[12:13], v[6:7], -v[16:17]
	v_add_f64 v[19:20], v[16:17], v[14:15]
	s_delay_alu instid0(VALU_DEP_1) | instskip(SKIP_1) | instid1(VALU_DEP_2)
	v_add_f64 v[21:22], v[19:20], -v[16:17]
	v_add_f64 v[25:26], v[8:9], v[19:20]
	v_add_f64 v[23:24], v[19:20], -v[21:22]
	v_add_f64 v[14:15], v[14:15], -v[21:22]
	s_delay_alu instid0(VALU_DEP_3) | instskip(SKIP_1) | instid1(VALU_DEP_4)
	v_ldexp_f64 v[21:22], v[25:26], -2
	v_add_f64 v[8:9], v[25:26], -v[8:9]
	v_add_f64 v[16:17], v[16:17], -v[23:24]
	s_delay_alu instid0(VALU_DEP_3) | instskip(NEXT) | instid1(VALU_DEP_3)
	v_cmp_neq_f64_e64 vcc_lo, 0x7ff00000, |v[21:22]|
	v_add_f64 v[8:9], v[19:20], -v[8:9]
	s_delay_alu instid0(VALU_DEP_3) | instskip(SKIP_1) | instid1(VALU_DEP_1)
	v_add_f64 v[14:15], v[14:15], v[16:17]
	v_fract_f64_e32 v[16:17], v[21:22]
	v_dual_cndmask_b32 v17, 0, v17 :: v_dual_cndmask_b32 v16, 0, v16
	v_mul_f64 v[27:28], v[10:11], v[6:7]
	s_delay_alu instid0(VALU_DEP_2) | instskip(NEXT) | instid1(VALU_DEP_2)
	v_ldexp_f64 v[16:17], v[16:17], 2
	v_add_f64 v[23:24], v[27:28], v[12:13]
	v_fma_f64 v[6:7], v[10:11], v[6:7], -v[27:28]
	s_delay_alu instid0(VALU_DEP_2) | instskip(NEXT) | instid1(VALU_DEP_1)
	v_add_f64 v[19:20], v[23:24], v[14:15]
	v_add_f64 v[21:22], v[8:9], v[19:20]
	s_delay_alu instid0(VALU_DEP_1) | instskip(SKIP_1) | instid1(VALU_DEP_2)
	v_add_f64 v[25:26], v[21:22], v[16:17]
	v_add_f64 v[8:9], v[21:22], -v[8:9]
	v_cmp_gt_f64_e32 vcc_lo, 0, v[25:26]
	v_add_f64 v[25:26], v[23:24], -v[27:28]
	s_delay_alu instid0(VALU_DEP_3) | instskip(SKIP_1) | instid1(VALU_DEP_3)
	v_add_f64 v[8:9], v[19:20], -v[8:9]
	v_cndmask_b32_e64 v30, 0, 0x40100000, vcc_lo
	v_add_f64 v[34:35], v[23:24], -v[25:26]
	v_add_f64 v[12:13], v[12:13], -v[25:26]
	s_delay_alu instid0(VALU_DEP_3) | instskip(SKIP_1) | instid1(VALU_DEP_4)
	v_add_f64 v[16:17], v[16:17], v[29:30]
	v_add_f64 v[30:31], v[19:20], -v[23:24]
	v_add_f64 v[25:26], v[27:28], -v[34:35]
	s_delay_alu instid0(VALU_DEP_3) | instskip(NEXT) | instid1(VALU_DEP_3)
	v_add_f64 v[32:33], v[21:22], v[16:17]
	v_add_f64 v[36:37], v[19:20], -v[30:31]
	v_add_f64 v[14:15], v[14:15], -v[30:31]
	s_delay_alu instid0(VALU_DEP_4) | instskip(NEXT) | instid1(VALU_DEP_4)
	v_add_f64 v[12:13], v[12:13], v[25:26]
	v_cvt_i32_f64_e32 v32, v[32:33]
	s_delay_alu instid0(VALU_DEP_4) | instskip(NEXT) | instid1(VALU_DEP_2)
	v_add_f64 v[23:24], v[23:24], -v[36:37]
	v_cvt_f64_i32_e32 v[30:31], v32
	s_delay_alu instid0(VALU_DEP_2) | instskip(NEXT) | instid1(VALU_DEP_2)
	v_add_f64 v[14:15], v[14:15], v[23:24]
	v_add_f64 v[16:17], v[16:17], -v[30:31]
	s_delay_alu instid0(VALU_DEP_2) | instskip(NEXT) | instid1(VALU_DEP_2)
	v_add_f64 v[10:11], v[12:13], v[14:15]
	v_add_f64 v[12:13], v[21:22], v[16:17]
	s_delay_alu instid0(VALU_DEP_2) | instskip(NEXT) | instid1(VALU_DEP_2)
	v_add_f64 v[6:7], v[6:7], v[10:11]
	v_add_f64 v[10:11], v[12:13], -v[16:17]
	v_cmp_le_f64_e32 vcc_lo, 0.5, v[12:13]
	s_delay_alu instid0(VALU_DEP_3) | instskip(NEXT) | instid1(VALU_DEP_3)
	v_add_f64 v[6:7], v[8:9], v[6:7]
	v_add_f64 v[8:9], v[21:22], -v[10:11]
	v_cndmask_b32_e64 v30, 0, 0x3ff00000, vcc_lo
	v_add_co_ci_u32_e64 v19, s0, 0, v32, vcc_lo
	s_delay_alu instid0(VALU_DEP_3) | instskip(NEXT) | instid1(VALU_DEP_3)
	v_add_f64 v[6:7], v[6:7], v[8:9]
	v_add_f64 v[8:9], v[12:13], -v[29:30]
	s_delay_alu instid0(VALU_DEP_1) | instskip(NEXT) | instid1(VALU_DEP_1)
	v_add_f64 v[10:11], v[8:9], v[6:7]
	v_mul_f64 v[12:13], v[10:11], s[4:5]
	v_add_f64 v[8:9], v[10:11], -v[8:9]
	s_delay_alu instid0(VALU_DEP_2) | instskip(NEXT) | instid1(VALU_DEP_2)
	v_fma_f64 v[14:15], v[10:11], s[4:5], -v[12:13]
	v_add_f64 v[6:7], v[6:7], -v[8:9]
	s_delay_alu instid0(VALU_DEP_2) | instskip(NEXT) | instid1(VALU_DEP_1)
	v_fma_f64 v[8:9], v[10:11], s[6:7], v[14:15]
	v_fma_f64 v[8:9], v[6:7], s[4:5], v[8:9]
	s_delay_alu instid0(VALU_DEP_1) | instskip(NEXT) | instid1(VALU_DEP_1)
	v_add_f64 v[6:7], v[12:13], v[8:9]
	v_add_f64 v[10:11], v[6:7], -v[12:13]
	s_delay_alu instid0(VALU_DEP_1)
	v_add_f64 v[8:9], v[8:9], -v[10:11]
	s_and_not1_saveexec_b32 s0, s1
	s_cbranch_execnz .LBB8_98
	s_branch .LBB8_99
.LBB8_97:
	s_and_not1_saveexec_b32 s0, s1
	s_cbranch_execz .LBB8_99
.LBB8_98:
	s_mov_b32 s4, 0x6dc9c883
	s_mov_b32 s5, 0x3fe45f30
	;; [unrolled: 1-line block ×3, first 2 shown]
	v_mul_f64 v[6:7], |v[0:1]|, s[4:5]
	s_mov_b32 s4, 0x54442d18
	s_mov_b32 s5, 0xbff921fb
	;; [unrolled: 1-line block ×3, first 2 shown]
	s_delay_alu instid0(VALU_DEP_1) | instskip(NEXT) | instid1(VALU_DEP_1)
	v_rndne_f64_e32 v[10:11], v[6:7]
	v_fma_f64 v[6:7], v[10:11], s[4:5], |v[0:1]|
	v_mul_f64 v[8:9], v[10:11], s[6:7]
	s_mov_b32 s4, 0x252049c0
	s_mov_b32 s5, 0xb97b839a
	v_cvt_i32_f64_e32 v19, v[10:11]
	s_delay_alu instid0(VALU_DEP_3) | instskip(NEXT) | instid1(VALU_DEP_3)
	v_fma_f64 v[14:15], v[10:11], s[6:7], v[6:7]
	v_add_f64 v[12:13], v[6:7], v[8:9]
	s_mov_b32 s7, 0x3c91a626
	s_delay_alu instid0(VALU_DEP_1) | instskip(NEXT) | instid1(VALU_DEP_3)
	v_add_f64 v[6:7], v[6:7], -v[12:13]
	v_add_f64 v[12:13], v[12:13], -v[14:15]
	s_delay_alu instid0(VALU_DEP_2) | instskip(SKIP_1) | instid1(VALU_DEP_2)
	v_add_f64 v[6:7], v[6:7], v[8:9]
	v_fma_f64 v[8:9], v[10:11], s[6:7], v[8:9]
	v_add_f64 v[6:7], v[12:13], v[6:7]
	s_delay_alu instid0(VALU_DEP_1) | instskip(NEXT) | instid1(VALU_DEP_1)
	v_add_f64 v[6:7], v[6:7], -v[8:9]
	v_fma_f64 v[8:9], v[10:11], s[4:5], v[6:7]
	s_delay_alu instid0(VALU_DEP_1) | instskip(NEXT) | instid1(VALU_DEP_1)
	v_add_f64 v[6:7], v[14:15], v[8:9]
	v_add_f64 v[12:13], v[6:7], -v[14:15]
	s_delay_alu instid0(VALU_DEP_1)
	v_add_f64 v[8:9], v[8:9], -v[12:13]
.LBB8_99:
	s_or_b32 exec_lo, exec_lo, s0
	v_div_scale_f64 v[10:11], null, v[41:42], v[41:42], 0x40140000
	v_div_scale_f64 v[16:17], vcc_lo, 0x40140000, v[41:42], 0x40140000
	s_mov_b32 s0, 0x6b70ba40
	s_mov_b32 s1, 0x3faa27fa
	;; [unrolled: 1-line block ×6, first 2 shown]
	v_mul_f64 v[26:27], v[2:3], v[2:3]
	v_mul_f64 v[32:33], v[6:7], v[6:7]
	s_mov_b32 s8, 0x796cde01
	s_mov_b32 s9, 0x3ec71de3
	v_mul_f64 v[68:69], v[4:5], 0.5
	v_rcp_f64_e32 v[12:13], v[10:11]
	s_delay_alu instid0(VALU_DEP_3) | instskip(SKIP_1) | instid1(VALU_DEP_4)
	v_mul_f64 v[51:52], v[26:27], 0.5
	v_mul_f64 v[70:71], v[2:3], -v[26:27]
	v_mul_f64 v[76:77], v[6:7], -v[32:33]
	s_waitcnt_depctr 0xfff
	v_fma_f64 v[14:15], -v[10:11], v[12:13], 1.0
	v_add_f64 v[53:54], -v[51:52], 1.0
	s_delay_alu instid0(VALU_DEP_2) | instskip(NEXT) | instid1(VALU_DEP_2)
	v_fma_f64 v[12:13], v[12:13], v[14:15], v[12:13]
	v_add_f64 v[72:73], -v[53:54], 1.0
	s_delay_alu instid0(VALU_DEP_2) | instskip(NEXT) | instid1(VALU_DEP_2)
	v_fma_f64 v[14:15], -v[10:11], v[12:13], 1.0
	v_add_f64 v[51:52], v[72:73], -v[51:52]
	s_delay_alu instid0(VALU_DEP_2) | instskip(NEXT) | instid1(VALU_DEP_2)
	v_fma_f64 v[12:13], v[12:13], v[14:15], v[12:13]
	v_fma_f64 v[51:52], v[2:3], -v[4:5], v[51:52]
	s_delay_alu instid0(VALU_DEP_2) | instskip(NEXT) | instid1(VALU_DEP_1)
	v_mul_f64 v[14:15], v[16:17], v[12:13]
	v_fma_f64 v[10:11], -v[10:11], v[14:15], v[16:17]
	s_delay_alu instid0(VALU_DEP_1) | instskip(NEXT) | instid1(VALU_DEP_1)
	v_div_fmas_f64 v[10:11], v[10:11], v[12:13], v[14:15]
	v_div_fixup_f64 v[10:11], v[10:11], v[41:42], 0x40140000
	s_delay_alu instid0(VALU_DEP_1) | instskip(NEXT) | instid1(VALU_DEP_1)
	v_mul_f64 v[12:13], v[10:11], v[10:11]
	v_fma_f64 v[14:15], v[12:13], 0, s[0:1]
	s_mov_b32 s0, 0x4c6c651b
	s_mov_b32 s1, 0x3f48f92c
	v_fma_f64 v[16:17], v[12:13], 0, s[4:5]
	v_fma_f64 v[20:21], v[12:13], 0, s[0:1]
	s_mov_b32 s0, 0xc66d8fd6
	s_mov_b32 s1, 0x4013edb5
	v_fma_f64 v[22:23], v[12:13], 0, s[6:7]
	s_mov_b32 s4, 0x5948aa83
	s_mov_b32 s5, 0x3fb19fdd
	s_mov_b32 s6, 0xa20e5f6f
	s_mov_b32 s7, 0x409081cb
	s_delay_alu instid0(VALU_DEP_4) | instskip(SKIP_2) | instid1(VALU_DEP_4)
	v_fma_f64 v[14:15], v[12:13], v[14:15], s[0:1]
	s_mov_b32 s0, 0xa3fec4b6
	s_mov_b32 s1, 0x3fb2b948
	v_fma_f64 v[16:17], v[12:13], v[16:17], s[4:5]
	s_delay_alu instid0(VALU_DEP_4) | instskip(SKIP_2) | instid1(VALU_DEP_4)
	v_fma_f64 v[20:21], v[12:13], v[20:21], s[0:1]
	s_mov_b32 s0, 0x9acf1c67
	s_mov_b32 s1, 0x4052f4b9
	v_fma_f64 v[22:23], v[12:13], v[22:23], s[6:7]
	s_mov_b32 s4, 0xb850eed6
	s_mov_b32 s5, 0x3ff1aea9
	s_mov_b32 s6, 0x1bfdfe81
	s_mov_b32 s7, 0x40b37a69
	s_delay_alu instid0(VALU_DEP_4) | instskip(SKIP_2) | instid1(VALU_DEP_4)
	v_fma_f64 v[14:15], v[12:13], v[14:15], s[0:1]
	s_mov_b32 s0, 0xc21596d6
	s_mov_b32 s1, 0x3ff208fe
	v_fma_f64 v[16:17], v[12:13], v[16:17], s[4:5]
	s_delay_alu instid0(VALU_DEP_4) | instskip(SKIP_2) | instid1(VALU_DEP_4)
	;; [unrolled: 14-line block ×5, first 2 shown]
	v_fma_f64 v[20:21], v[12:13], v[20:21], s[0:1]
	s_mov_b32 s0, 0x4c54bb0b
	s_mov_b32 s1, 0x406a760a
	v_fma_f64 v[22:23], v[12:13], v[22:23], s[6:7]
	s_mov_b32 s4, 0x4d159eb5
	s_mov_b32 s5, 0x403934ff
	;; [unrolled: 1-line block ×4, first 2 shown]
	s_delay_alu instid0(VALU_DEP_4) | instskip(SKIP_2) | instid1(VALU_DEP_4)
	v_fma_f64 v[14:15], v[12:13], v[14:15], s[0:1]
	s_mov_b32 s0, 0x6ae75997
	s_mov_b32 s1, 0x4075017f
	v_fma_f64 v[16:17], v[12:13], v[16:17], 1.0
	s_delay_alu instid0(VALU_DEP_4) | instskip(NEXT) | instid1(VALU_DEP_4)
	v_fma_f64 v[20:21], v[12:13], v[20:21], 1.0
	v_fma_f64 v[22:23], v[12:13], v[22:23], s[0:1]
	s_mov_b32 s0, 0xb42fdfa7
	s_mov_b32 s1, 0xbe5ae600
	s_delay_alu instid0(VALU_DEP_4) | instskip(SKIP_2) | instid1(VALU_DEP_3)
	v_fma_f64 v[12:13], v[12:13], v[14:15], s[4:5]
	s_mov_b32 s4, 0xf9a43bb8
	s_mov_b32 s5, 0x3de5e0b2
	v_div_scale_f64 v[14:15], null, v[16:17], v[16:17], v[20:21]
	v_fma_f64 v[34:35], v[26:27], s[4:5], s[0:1]
	v_fma_f64 v[47:48], v[32:33], s[4:5], s[0:1]
	v_cmp_gt_f64_e64 s0, 0x10000000, v[41:42]
	s_mov_b32 s4, 0x9037ab78
	s_mov_b32 s5, 0x3e21eeb6
	v_div_scale_f64 v[74:75], vcc_lo, v[20:21], v[16:17], v[20:21]
	v_fma_f64 v[49:50], v[26:27], s[6:7], s[4:5]
	v_div_scale_f64 v[24:25], null, v[22:23], v[22:23], v[12:13]
	v_rcp_f64_e32 v[28:29], v[14:15]
	v_fma_f64 v[34:35], v[26:27], v[34:35], s[8:9]
	s_delay_alu instid0(VALU_DEP_2) | instskip(SKIP_3) | instid1(VALU_DEP_2)
	v_rcp_f64_e32 v[30:31], v[24:25]
	s_waitcnt_depctr 0xfff
	v_fma_f64 v[36:37], -v[14:15], v[28:29], 1.0
	v_fma_f64 v[38:39], -v[24:25], v[30:31], 1.0
	v_fma_f64 v[28:29], v[28:29], v[36:37], v[28:29]
	v_fma_f64 v[36:37], v[32:33], v[47:48], s[8:9]
	;; [unrolled: 1-line block ×3, first 2 shown]
	s_mov_b32 s6, 0x19e83e5c
	s_mov_b32 s7, 0xbf2a01a0
	;; [unrolled: 1-line block ×3, first 2 shown]
	v_fma_f64 v[34:35], v[26:27], v[34:35], s[6:7]
	s_mov_b32 s5, 0xbe927e4f
	s_delay_alu instid0(SALU_CYCLE_1) | instskip(SKIP_4) | instid1(VALU_DEP_3)
	v_fma_f64 v[49:50], v[26:27], v[49:50], s[4:5]
	v_fma_f64 v[30:31], v[30:31], v[38:39], v[30:31]
	v_cndmask_b32_e64 v38, 0, 1, s0
	v_fma_f64 v[60:61], -v[14:15], v[28:29], 1.0
	v_fma_f64 v[36:37], v[32:33], v[36:37], s[6:7]
	v_lshlrev_b32_e32 v40, 8, v38
	v_mul_f64 v[38:39], v[32:33], 0.5
	v_fma_f64 v[47:48], v[32:33], v[47:48], s[4:5]
	s_mov_b32 s6, 0x11110bb3
	s_mov_b32 s7, 0x3f811111
	v_ldexp_f64 v[40:41], v[41:42], v40
	v_fma_f64 v[34:35], v[26:27], v[34:35], s[6:7]
	s_mov_b32 s4, 0x19f4ec90
	s_mov_b32 s5, 0x3efa01a0
	s_delay_alu instid0(SALU_CYCLE_1)
	v_fma_f64 v[49:50], v[26:27], v[49:50], s[4:5]
	v_fma_f64 v[62:63], -v[24:25], v[30:31], 1.0
	v_fma_f64 v[28:29], v[28:29], v[60:61], v[28:29]
	v_div_scale_f64 v[60:61], s1, v[12:13], v[22:23], v[12:13]
	v_add_f64 v[64:65], -v[38:39], 1.0
	v_fma_f64 v[36:37], v[32:33], v[36:37], s[6:7]
	v_fma_f64 v[47:48], v[32:33], v[47:48], s[4:5]
	s_mov_b32 s4, 0x16c16967
	v_rsq_f64_e32 v[66:67], v[40:41]
	v_fma_f64 v[34:35], v[70:71], v[34:35], v[68:69]
	s_mov_b32 s5, 0xbf56c16c
	s_delay_alu instid0(SALU_CYCLE_1)
	v_fma_f64 v[49:50], v[26:27], v[49:50], s[4:5]
	v_fma_f64 v[30:31], v[30:31], v[62:63], v[30:31]
	v_mul_f64 v[62:63], v[8:9], 0.5
	v_mul_f64 v[68:69], v[74:75], v[28:29]
	v_add_f64 v[78:79], -v[64:65], 1.0
	v_fma_f64 v[47:48], v[32:33], v[47:48], s[4:5]
	s_mov_b32 s4, 0x55555555
	s_mov_b32 s5, 0x3fa55555
	v_fma_f64 v[4:5], v[26:27], v[34:35], -v[4:5]
	s_delay_alu instid0(TRANS32_DEP_1)
	v_mul_f64 v[80:81], v[40:41], v[66:67]
	v_mul_f64 v[66:67], v[66:67], 0.5
	v_mul_f64 v[34:35], v[32:33], v[32:33]
	v_fma_f64 v[49:50], v[26:27], v[49:50], s[4:5]
	v_mul_f64 v[72:73], v[60:61], v[30:31]
	v_fma_f64 v[36:37], v[76:77], v[36:37], v[62:63]
	v_mul_f64 v[62:63], v[26:27], v[26:27]
	v_fma_f64 v[14:15], -v[14:15], v[68:69], v[74:75]
	v_add_f64 v[38:39], v[78:79], -v[38:39]
	v_fma_f64 v[78:79], -v[66:67], v[80:81], 0.5
	v_fma_f64 v[24:25], -v[24:25], v[72:73], v[60:61]
	v_fma_f64 v[26:27], v[32:33], v[36:37], -v[8:9]
	v_fma_f64 v[32:33], v[32:33], v[47:48], s[4:5]
	s_mov_b32 s5, 0xbfc55555
	v_div_fmas_f64 v[14:15], v[14:15], v[28:29], v[68:69]
	s_mov_b32 vcc_lo, s1
	v_fma_f64 v[4:5], v[70:71], s[4:5], v[4:5]
	v_fma_f64 v[8:9], v[6:7], -v[8:9], v[38:39]
	v_fma_f64 v[38:39], v[62:63], v[49:50], v[51:52]
	v_cmp_class_f64_e64 s1, v[0:1], 0x1f8
	v_and_b32_e32 v0, 1, v19
	v_fma_f64 v[36:37], v[80:81], v[78:79], v[80:81]
	v_fma_f64 v[28:29], v[66:67], v[78:79], v[66:67]
	s_delay_alu instid0(VALU_DEP_3)
	v_cmp_eq_u32_e64 s2, 0, v0
	v_div_fmas_f64 v[24:25], v[24:25], v[30:31], v[72:73]
	v_fma_f64 v[26:27], v[76:77], s[4:5], v[26:27]
	v_add_f64 v[2:3], v[2:3], -v[4:5]
	v_fma_f64 v[8:9], v[34:35], v[32:33], v[8:9]
	v_add_f64 v[32:33], v[53:54], v[38:39]
	v_fma_f64 v[30:31], -v[36:37], v[36:37], v[40:41]
	v_div_fixup_f64 v[4:5], v[24:25], v[22:23], v[12:13]
	v_add_f64 v[6:7], v[6:7], -v[26:27]
	v_and_b32_e32 v22, 1, v18
	v_add_f64 v[8:9], v[64:65], v[8:9]
	s_delay_alu instid0(VALU_DEP_2)
	v_cmp_eq_u32_e32 vcc_lo, 0, v22
	v_cndmask_b32_e32 v2, v32, v2, vcc_lo
	v_fma_f64 v[12:13], v[30:31], v[28:29], v[36:37]
	v_mul_f64 v[4:5], v[10:11], v[4:5]
	v_lshlrev_b32_e32 v10, 30, v19
	v_xor_b32_e32 v7, 0x80000000, v7
	s_delay_alu instid0(VALU_DEP_2) | instskip(SKIP_1) | instid1(VALU_DEP_3)
	v_and_b32_e32 v0, 0x80000000, v10
	v_cndmask_b32_e64 v8, v6, v8, s2
	v_cndmask_b32_e64 v6, v7, v9, s2
	v_div_fixup_f64 v[10:11], v[14:15], v[16:17], v[20:21]
	s_delay_alu instid0(VALU_DEP_3) | instskip(NEXT) | instid1(VALU_DEP_3)
	v_cndmask_b32_e64 v8, 0, v8, s1
	v_xor_b32_e32 v9, v6, v0
	v_fma_f64 v[6:7], -v[12:13], v[12:13], v[40:41]
	v_cndmask_b32_e64 v0, 0, v2, s1
	v_lshlrev_b32_e32 v2, 30, v18
	s_delay_alu instid0(VALU_DEP_4) | instskip(NEXT) | instid1(VALU_DEP_2)
	v_cndmask_b32_e64 v9, 0x7ff80000, v9, s1
	v_xor_b32_e32 v1, v2, v1
	v_cndmask_b32_e32 v2, v33, v3, vcc_lo
	v_cmp_class_f64_e64 vcc_lo, v[40:41], 0x260
	s_delay_alu instid0(VALU_DEP_3) | instskip(NEXT) | instid1(VALU_DEP_1)
	v_and_b32_e32 v1, 0x80000000, v1
	v_xor_b32_e32 v1, v2, v1
	s_delay_alu instid0(VALU_DEP_1) | instskip(SKIP_2) | instid1(VALU_DEP_2)
	v_cndmask_b32_e64 v1, 0x7ff80000, v1, s1
	v_mul_f64 v[4:5], v[4:5], v[8:9]
	v_fma_f64 v[2:3], v[6:7], v[28:29], v[12:13]
	v_fma_f64 v[0:1], v[10:11], v[0:1], v[4:5]
	v_cndmask_b32_e64 v4, 0, 0xffffff80, s0
	s_mov_b32 s0, 0x33d43651
	s_mov_b32 s1, 0x3fe98845
	s_delay_alu instid0(VALU_DEP_1) | instskip(NEXT) | instid1(VALU_DEP_3)
	v_ldexp_f64 v[2:3], v[2:3], v4
	v_mul_f64 v[0:1], v[0:1], s[0:1]
	s_delay_alu instid0(VALU_DEP_2) | instskip(NEXT) | instid1(VALU_DEP_1)
	v_dual_cndmask_b32 v3, v3, v41 :: v_dual_cndmask_b32 v2, v2, v40
	v_div_scale_f64 v[4:5], null, v[2:3], v[2:3], v[0:1]
	s_delay_alu instid0(VALU_DEP_1) | instskip(SKIP_2) | instid1(VALU_DEP_1)
	v_rcp_f64_e32 v[6:7], v[4:5]
	s_waitcnt_depctr 0xfff
	v_fma_f64 v[8:9], -v[4:5], v[6:7], 1.0
	v_fma_f64 v[6:7], v[6:7], v[8:9], v[6:7]
	s_delay_alu instid0(VALU_DEP_1) | instskip(NEXT) | instid1(VALU_DEP_1)
	v_fma_f64 v[8:9], -v[4:5], v[6:7], 1.0
	v_fma_f64 v[6:7], v[6:7], v[8:9], v[6:7]
	v_div_scale_f64 v[8:9], vcc_lo, v[0:1], v[2:3], v[0:1]
	s_delay_alu instid0(VALU_DEP_1) | instskip(NEXT) | instid1(VALU_DEP_1)
	v_mul_f64 v[10:11], v[8:9], v[6:7]
	v_fma_f64 v[4:5], -v[4:5], v[10:11], v[8:9]
	s_delay_alu instid0(VALU_DEP_1) | instskip(NEXT) | instid1(VALU_DEP_1)
	v_div_fmas_f64 v[4:5], v[4:5], v[6:7], v[10:11]
	v_div_fixup_f64 v[60:61], v[4:5], v[2:3], v[0:1]
.LBB8_100:
	s_or_b32 exec_lo, exec_lo, s3
	global_load_b64 v[41:42], v59, s[38:39]
                                        ; implicit-def: $vgpr62_vgpr63
	s_mov_b32 s0, exec_lo
	s_waitcnt vmcnt(0)
	v_cmpx_ge_f64_e32 0x40140000, v[41:42]
	s_xor_b32 s35, exec_lo, s0
	s_cbranch_execz .LBB8_106
; %bb.101:
	v_mov_b32_e32 v62, 0
	v_mov_b32_e32 v63, 0xfff00000
	s_mov_b32 s40, exec_lo
	v_cmpx_neq_f64_e32 0, v[41:42]
	s_cbranch_execz .LBB8_105
; %bb.102:
	v_mov_b32_e32 v62, 0
	v_mov_b32_e32 v63, 0x7ff80000
	s_mov_b32 s41, exec_lo
	v_cmpx_nge_f64_e32 0, v[41:42]
	s_cbranch_execz .LBB8_104
; %bb.103:
	v_mul_f64 v[0:1], v[41:42], v[41:42]
	s_mov_b32 s0, 0xa93f7ac2
	s_mov_b32 s1, 0x40829269
	;; [unrolled: 1-line block ×4, first 2 shown]
	s_delay_alu instid0(VALU_DEP_1)
	v_fma_f64 v[2:3], v[0:1], 0, s[0:1]
	s_mov_b32 s0, 0xbe58ef7f
	s_mov_b32 s1, 0x410cc160
	s_delay_alu instid0(VALU_DEP_1) | instid1(SALU_CYCLE_1)
	v_fma_f64 v[2:3], v[0:1], v[2:3], s[0:1]
	s_mov_b32 s0, 0x62f9b6c5
	s_mov_b32 s1, 0x41d2d2be
	s_delay_alu instid0(SALU_CYCLE_1) | instskip(SKIP_2) | instid1(VALU_DEP_2)
	v_fma_f64 v[4:5], v[0:1], 0, s[0:1]
	s_mov_b32 s0, 0x58836521
	s_mov_b32 s1, 0xc262d72d
	v_fma_f64 v[2:3], v[0:1], v[2:3], s[2:3]
	s_mov_b32 s2, 0x906b7b83
	s_mov_b32 s3, 0x421178c3
	s_delay_alu instid0(VALU_DEP_2) | instskip(SKIP_2) | instid1(VALU_DEP_2)
	v_fma_f64 v[4:5], v[0:1], v[4:5], s[0:1]
	s_mov_b32 s0, 0xb0910fef
	s_mov_b32 s1, 0x42da0954
	v_fma_f64 v[2:3], v[0:1], v[2:3], s[2:3]
	s_mov_b32 s2, 0xfda99316
	s_mov_b32 s3, 0x428c3f5e
	s_delay_alu instid0(VALU_DEP_2) | instskip(SKIP_2) | instid1(VALU_DEP_2)
	;; [unrolled: 7-line block ×4, first 2 shown]
	v_fma_f64 v[4:5], v[0:1], v[4:5], s[0:1]
	s_mov_b32 s0, 0x5dde2b17
	s_mov_b32 s1, 0xc3a59e41
	v_fma_f64 v[2:3], v[0:1], v[2:3], s[2:3]
	s_mov_b32 s2, 0x90f6747f
	s_mov_b32 s3, 0x43cb90f1
	s_delay_alu instid0(VALU_DEP_2) | instskip(SKIP_3) | instid1(VALU_DEP_2)
	v_fma_f64 v[4:5], v[0:1], v[4:5], s[0:1]
	s_getpc_b64 s[0:1]
	s_add_u32 s0, s0, _Z17bessel_j1_forwardIdET_S0_@rel32@lo+4
	s_addc_u32 s1, s1, _Z17bessel_j1_forwardIdET_S0_@rel32@hi+12
	v_fma_f64 v[0:1], v[0:1], v[2:3], s[2:3]
	s_delay_alu instid0(VALU_DEP_1) | instskip(NEXT) | instid1(VALU_DEP_1)
	v_div_scale_f64 v[2:3], null, v[0:1], v[0:1], v[4:5]
	v_rcp_f64_e32 v[6:7], v[2:3]
	s_waitcnt_depctr 0xfff
	v_fma_f64 v[8:9], -v[2:3], v[6:7], 1.0
	s_delay_alu instid0(VALU_DEP_1) | instskip(NEXT) | instid1(VALU_DEP_1)
	v_fma_f64 v[6:7], v[6:7], v[8:9], v[6:7]
	v_fma_f64 v[8:9], -v[2:3], v[6:7], 1.0
	s_delay_alu instid0(VALU_DEP_1) | instskip(SKIP_1) | instid1(VALU_DEP_1)
	v_fma_f64 v[6:7], v[6:7], v[8:9], v[6:7]
	v_div_scale_f64 v[8:9], vcc_lo, v[4:5], v[0:1], v[4:5]
	v_mul_f64 v[10:11], v[8:9], v[6:7]
	s_delay_alu instid0(VALU_DEP_1) | instskip(NEXT) | instid1(VALU_DEP_1)
	v_fma_f64 v[2:3], -v[2:3], v[10:11], v[8:9]
	v_div_fmas_f64 v[2:3], v[2:3], v[6:7], v[10:11]
	s_delay_alu instid0(VALU_DEP_1)
	v_div_fixup_f64 v[62:63], v[2:3], v[0:1], v[4:5]
	v_dual_mov_b32 v0, v41 :: v_dual_mov_b32 v1, v42
	s_swappc_b64 s[30:31], s[0:1]
	v_frexp_mant_f64_e32 v[2:3], v[41:42]
	s_mov_b32 s1, 0x3fe55555
	s_mov_b32 s0, 0x55555555
	v_mov_b32_e32 v4, 0
	s_mov_b32 s2, 0x6b47b09a
	s_mov_b32 s4, 0xbf559e2b
	;; [unrolled: 1-line block ×4, first 2 shown]
	v_div_scale_f64 v[18:19], null, v[41:42], v[41:42], -1.0
	s_delay_alu instid0(VALU_DEP_3) | instskip(SKIP_1) | instid1(VALU_DEP_2)
	v_cmp_gt_f64_e32 vcc_lo, s[0:1], v[2:3]
	s_mov_b32 s0, 0x55555780
	v_rcp_f64_e32 v[22:23], v[18:19]
	v_cndmask_b32_e64 v5, 0x3ff00000, 2.0, vcc_lo
	s_delay_alu instid0(VALU_DEP_1) | instskip(NEXT) | instid1(VALU_DEP_1)
	v_mul_f64 v[2:3], v[2:3], v[4:5]
	v_add_f64 v[4:5], v[2:3], 1.0
	v_add_f64 v[10:11], v[2:3], -1.0
	s_delay_alu instid0(VALU_DEP_2) | instskip(SKIP_1) | instid1(VALU_DEP_1)
	v_rcp_f64_e32 v[6:7], v[4:5]
	v_add_f64 v[12:13], v[4:5], -1.0
	v_add_f64 v[2:3], v[2:3], -v[12:13]
	s_waitcnt_depctr 0xfff
	v_fma_f64 v[8:9], -v[4:5], v[6:7], 1.0
	s_delay_alu instid0(VALU_DEP_1) | instskip(NEXT) | instid1(VALU_DEP_1)
	v_fma_f64 v[6:7], v[8:9], v[6:7], v[6:7]
	v_fma_f64 v[8:9], -v[4:5], v[6:7], 1.0
	s_delay_alu instid0(VALU_DEP_1) | instskip(NEXT) | instid1(VALU_DEP_1)
	v_fma_f64 v[6:7], v[8:9], v[6:7], v[6:7]
	v_mul_f64 v[8:9], v[10:11], v[6:7]
	s_delay_alu instid0(VALU_DEP_1) | instskip(NEXT) | instid1(VALU_DEP_1)
	v_mul_f64 v[14:15], v[4:5], v[8:9]
	v_fma_f64 v[4:5], v[8:9], v[4:5], -v[14:15]
	s_delay_alu instid0(VALU_DEP_1) | instskip(NEXT) | instid1(VALU_DEP_1)
	v_fma_f64 v[2:3], v[8:9], v[2:3], v[4:5]
	v_add_f64 v[4:5], v[14:15], v[2:3]
	s_delay_alu instid0(VALU_DEP_1) | instskip(SKIP_1) | instid1(VALU_DEP_2)
	v_add_f64 v[12:13], v[10:11], -v[4:5]
	v_add_f64 v[14:15], v[4:5], -v[14:15]
	;; [unrolled: 1-line block ×3, first 2 shown]
	s_delay_alu instid0(VALU_DEP_2) | instskip(SKIP_1) | instid1(VALU_DEP_3)
	v_add_f64 v[2:3], v[14:15], -v[2:3]
	v_frexp_exp_i32_f64_e32 v14, v[41:42]
	v_add_f64 v[4:5], v[10:11], -v[4:5]
	s_delay_alu instid0(VALU_DEP_1) | instskip(NEXT) | instid1(VALU_DEP_1)
	v_add_f64 v[2:3], v[2:3], v[4:5]
	v_add_f64 v[2:3], v[12:13], v[2:3]
	s_delay_alu instid0(VALU_DEP_1) | instskip(NEXT) | instid1(VALU_DEP_1)
	v_mul_f64 v[2:3], v[6:7], v[2:3]
	v_add_f64 v[4:5], v[8:9], v[2:3]
	s_delay_alu instid0(VALU_DEP_1) | instskip(NEXT) | instid1(VALU_DEP_1)
	v_mul_f64 v[6:7], v[4:5], v[4:5]
	v_fma_f64 v[10:11], v[6:7], s[4:5], s[2:3]
	s_mov_b32 s2, 0xd7f4df2e
	s_mov_b32 s3, 0x3fc7474d
	v_mul_f64 v[12:13], v[4:5], v[6:7]
	s_delay_alu instid0(VALU_DEP_2)
	v_fma_f64 v[10:11], v[6:7], v[10:11], s[2:3]
	s_mov_b32 s2, 0x16291751
	s_mov_b32 s3, 0x3fcc71c0
	s_delay_alu instid0(VALU_DEP_1) | instid1(SALU_CYCLE_1)
	v_fma_f64 v[10:11], v[6:7], v[10:11], s[2:3]
	s_mov_b32 s2, 0x9b27acf1
	s_mov_b32 s3, 0x3fd24924
	s_delay_alu instid0(VALU_DEP_1) | instid1(SALU_CYCLE_1)
	;; [unrolled: 4-line block ×3, first 2 shown]
	v_fma_f64 v[10:11], v[6:7], v[10:11], s[2:3]
	s_delay_alu instid0(VALU_DEP_1) | instskip(SKIP_4) | instid1(VALU_DEP_3)
	v_fma_f64 v[6:7], v[6:7], v[10:11], s[0:1]
	v_ldexp_f64 v[10:11], v[4:5], 1
	v_add_f64 v[4:5], v[4:5], -v[8:9]
	s_mov_b32 s0, 0xfefa39ef
	s_mov_b32 s1, 0x3fe62e42
	v_mul_f64 v[6:7], v[12:13], v[6:7]
	v_subrev_co_ci_u32_e32 v12, vcc_lo, 0, v14, vcc_lo
	s_delay_alu instid0(VALU_DEP_3) | instskip(NEXT) | instid1(VALU_DEP_2)
	v_add_f64 v[2:3], v[2:3], -v[4:5]
	v_cvt_f64_i32_e32 v[12:13], v12
	s_delay_alu instid0(VALU_DEP_4) | instskip(NEXT) | instid1(VALU_DEP_3)
	v_add_f64 v[8:9], v[10:11], v[6:7]
	v_ldexp_f64 v[2:3], v[2:3], 1
	s_delay_alu instid0(VALU_DEP_3) | instskip(NEXT) | instid1(VALU_DEP_3)
	v_mul_f64 v[14:15], v[12:13], s[0:1]
	v_add_f64 v[4:5], v[8:9], -v[10:11]
	s_delay_alu instid0(VALU_DEP_2) | instskip(SKIP_2) | instid1(VALU_DEP_2)
	v_fma_f64 v[10:11], v[12:13], s[0:1], -v[14:15]
	s_mov_b32 s0, 0x3b39803f
	s_mov_b32 s1, 0x3c7abc9e
	v_add_f64 v[4:5], v[6:7], -v[4:5]
	s_delay_alu instid0(VALU_DEP_2) | instskip(SKIP_2) | instid1(VALU_DEP_2)
	v_fma_f64 v[6:7], v[12:13], s[0:1], v[10:11]
	s_mov_b32 s0, 0x6dc9c883
	s_mov_b32 s1, 0x3fe45f30
	v_add_f64 v[2:3], v[2:3], v[4:5]
	s_delay_alu instid0(VALU_DEP_2) | instskip(NEXT) | instid1(VALU_DEP_2)
	v_add_f64 v[4:5], v[14:15], v[6:7]
	v_add_f64 v[10:11], v[8:9], v[2:3]
	s_delay_alu instid0(VALU_DEP_2) | instskip(NEXT) | instid1(VALU_DEP_2)
	v_add_f64 v[14:15], v[4:5], -v[14:15]
	v_add_f64 v[12:13], v[4:5], v[10:11]
	v_add_f64 v[8:9], v[10:11], -v[8:9]
	s_delay_alu instid0(VALU_DEP_3) | instskip(NEXT) | instid1(VALU_DEP_3)
	v_add_f64 v[6:7], v[6:7], -v[14:15]
	v_add_f64 v[16:17], v[12:13], -v[4:5]
	s_delay_alu instid0(VALU_DEP_3) | instskip(NEXT) | instid1(VALU_DEP_2)
	v_add_f64 v[2:3], v[2:3], -v[8:9]
	v_add_f64 v[20:21], v[12:13], -v[16:17]
	;; [unrolled: 1-line block ×3, first 2 shown]
	v_fma_f64 v[10:11], -v[18:19], v[22:23], 1.0
	s_delay_alu instid0(VALU_DEP_4) | instskip(NEXT) | instid1(VALU_DEP_4)
	v_add_f64 v[14:15], v[6:7], v[2:3]
	v_add_f64 v[4:5], v[4:5], -v[20:21]
	s_delay_alu instid0(VALU_DEP_1) | instskip(NEXT) | instid1(VALU_DEP_4)
	v_add_f64 v[4:5], v[8:9], v[4:5]
	v_fma_f64 v[8:9], v[22:23], v[10:11], v[22:23]
	s_delay_alu instid0(VALU_DEP_4) | instskip(SKIP_1) | instid1(VALU_DEP_4)
	v_add_f64 v[10:11], v[14:15], -v[6:7]
	v_div_scale_f64 v[22:23], vcc_lo, -1.0, v[41:42], -1.0
	v_add_f64 v[4:5], v[14:15], v[4:5]
	s_delay_alu instid0(VALU_DEP_4) | instskip(NEXT) | instid1(VALU_DEP_4)
	v_fma_f64 v[16:17], -v[18:19], v[8:9], 1.0
	v_add_f64 v[14:15], v[14:15], -v[10:11]
	v_add_f64 v[2:3], v[2:3], -v[10:11]
	s_delay_alu instid0(VALU_DEP_4) | instskip(NEXT) | instid1(VALU_DEP_4)
	v_add_f64 v[20:21], v[12:13], v[4:5]
	v_fma_f64 v[8:9], v[8:9], v[16:17], v[8:9]
	s_delay_alu instid0(VALU_DEP_4) | instskip(NEXT) | instid1(VALU_DEP_3)
	v_add_f64 v[6:7], v[6:7], -v[14:15]
	v_add_f64 v[10:11], v[20:21], -v[12:13]
	s_delay_alu instid0(VALU_DEP_3) | instskip(NEXT) | instid1(VALU_DEP_3)
	v_mul_f64 v[12:13], v[22:23], v[8:9]
	v_add_f64 v[2:3], v[2:3], v[6:7]
	s_delay_alu instid0(VALU_DEP_3) | instskip(NEXT) | instid1(VALU_DEP_3)
	v_add_f64 v[4:5], v[4:5], -v[10:11]
	v_fma_f64 v[6:7], -v[18:19], v[12:13], v[22:23]
	s_delay_alu instid0(VALU_DEP_2) | instskip(NEXT) | instid1(VALU_DEP_2)
	v_add_f64 v[2:3], v[2:3], v[4:5]
	v_div_fmas_f64 v[4:5], v[6:7], v[8:9], v[12:13]
	s_delay_alu instid0(VALU_DEP_2) | instskip(NEXT) | instid1(VALU_DEP_2)
	v_add_f64 v[2:3], v[20:21], v[2:3]
	v_div_fixup_f64 v[4:5], v[4:5], v[41:42], -1.0
	s_delay_alu instid0(VALU_DEP_1) | instskip(NEXT) | instid1(VALU_DEP_1)
	v_fma_f64 v[0:1], v[2:3], v[0:1], v[4:5]
	v_mul_f64 v[0:1], v[0:1], s[0:1]
	s_delay_alu instid0(VALU_DEP_1)
	v_fma_f64 v[62:63], v[41:42], v[62:63], v[0:1]
.LBB8_104:
	s_or_b32 exec_lo, exec_lo, s41
.LBB8_105:
	s_delay_alu instid0(SALU_CYCLE_1)
	s_or_b32 exec_lo, exec_lo, s40
                                        ; implicit-def: $vgpr41_vgpr42
.LBB8_106:
	s_and_not1_saveexec_b32 s3, s35
	s_cbranch_execz .LBB8_116
; %bb.107:
	s_mov_b32 s0, 0x7f3321d2
	s_mov_b32 s1, 0xc002d97c
                                        ; implicit-def: $vgpr18
                                        ; implicit-def: $vgpr2_vgpr3
                                        ; implicit-def: $vgpr4_vgpr5
	s_delay_alu instid0(SALU_CYCLE_1) | instskip(NEXT) | instid1(VALU_DEP_1)
	v_add_f64 v[0:1], v[41:42], s[0:1]
	v_cmp_ngt_f64_e64 s1, 0x41d00000, |v[0:1]|
	v_trig_preop_f64 v[14:15], |v[0:1]|, 0
	v_trig_preop_f64 v[12:13], |v[0:1]|, 1
	v_ldexp_f64 v[16:17], |v[0:1]|, 0xffffff80
	v_trig_preop_f64 v[10:11], |v[0:1]|, 2
	v_and_b32_e32 v20, 0x7fffffff, v1
	s_and_saveexec_b32 s0, s1
	s_delay_alu instid0(SALU_CYCLE_1)
	s_xor_b32 s2, exec_lo, s0
	s_cbranch_execz .LBB8_109
; %bb.108:
	v_cmp_le_f64_e64 vcc_lo, 0x7b000000, |v[0:1]|
	v_mov_b32_e32 v31, 0
	s_mov_b32 s4, 0x54442d18
	s_mov_b32 s5, 0x3ff921fb
	;; [unrolled: 1-line block ×4, first 2 shown]
	v_cndmask_b32_e32 v3, v20, v17, vcc_lo
	v_cndmask_b32_e32 v2, v0, v16, vcc_lo
	s_delay_alu instid0(VALU_DEP_1) | instskip(SKIP_1) | instid1(VALU_DEP_2)
	v_mul_f64 v[4:5], v[14:15], v[2:3]
	v_mul_f64 v[6:7], v[12:13], v[2:3]
	v_fma_f64 v[8:9], v[14:15], v[2:3], -v[4:5]
	s_delay_alu instid0(VALU_DEP_2) | instskip(NEXT) | instid1(VALU_DEP_2)
	v_fma_f64 v[29:30], v[12:13], v[2:3], -v[6:7]
	v_add_f64 v[18:19], v[6:7], v[8:9]
	s_delay_alu instid0(VALU_DEP_1) | instskip(SKIP_1) | instid1(VALU_DEP_2)
	v_add_f64 v[21:22], v[18:19], -v[6:7]
	v_add_f64 v[25:26], v[4:5], v[18:19]
	v_add_f64 v[23:24], v[18:19], -v[21:22]
	v_add_f64 v[8:9], v[8:9], -v[21:22]
	s_delay_alu instid0(VALU_DEP_3) | instskip(SKIP_1) | instid1(VALU_DEP_4)
	v_ldexp_f64 v[21:22], v[25:26], -2
	v_add_f64 v[4:5], v[25:26], -v[4:5]
	v_add_f64 v[6:7], v[6:7], -v[23:24]
	s_delay_alu instid0(VALU_DEP_3) | instskip(NEXT) | instid1(VALU_DEP_3)
	v_cmp_neq_f64_e64 vcc_lo, 0x7ff00000, |v[21:22]|
	v_add_f64 v[4:5], v[18:19], -v[4:5]
	s_delay_alu instid0(VALU_DEP_3) | instskip(SKIP_1) | instid1(VALU_DEP_1)
	v_add_f64 v[6:7], v[8:9], v[6:7]
	v_fract_f64_e32 v[8:9], v[21:22]
	v_dual_cndmask_b32 v9, 0, v9 :: v_dual_cndmask_b32 v8, 0, v8
	v_mul_f64 v[27:28], v[10:11], v[2:3]
	s_delay_alu instid0(VALU_DEP_2) | instskip(NEXT) | instid1(VALU_DEP_2)
	v_ldexp_f64 v[8:9], v[8:9], 2
	v_add_f64 v[23:24], v[27:28], v[29:30]
	v_fma_f64 v[2:3], v[10:11], v[2:3], -v[27:28]
	s_delay_alu instid0(VALU_DEP_2) | instskip(NEXT) | instid1(VALU_DEP_1)
	v_add_f64 v[18:19], v[23:24], v[6:7]
	v_add_f64 v[21:22], v[4:5], v[18:19]
	s_delay_alu instid0(VALU_DEP_1) | instskip(SKIP_1) | instid1(VALU_DEP_2)
	v_add_f64 v[25:26], v[21:22], v[8:9]
	v_add_f64 v[4:5], v[21:22], -v[4:5]
	v_cmp_gt_f64_e32 vcc_lo, 0, v[25:26]
	v_add_f64 v[25:26], v[23:24], -v[27:28]
	s_delay_alu instid0(VALU_DEP_3) | instskip(SKIP_1) | instid1(VALU_DEP_3)
	v_add_f64 v[4:5], v[18:19], -v[4:5]
	v_cndmask_b32_e64 v32, 0, 0x40100000, vcc_lo
	v_add_f64 v[36:37], v[23:24], -v[25:26]
	v_add_f64 v[25:26], v[29:30], -v[25:26]
	s_delay_alu instid0(VALU_DEP_3) | instskip(SKIP_1) | instid1(VALU_DEP_4)
	v_add_f64 v[8:9], v[8:9], v[31:32]
	v_add_f64 v[32:33], v[18:19], -v[23:24]
	v_add_f64 v[29:30], v[27:28], -v[36:37]
	s_delay_alu instid0(VALU_DEP_3) | instskip(NEXT) | instid1(VALU_DEP_3)
	v_add_f64 v[34:35], v[21:22], v[8:9]
	v_add_f64 v[38:39], v[18:19], -v[32:33]
	v_add_f64 v[6:7], v[6:7], -v[32:33]
	s_delay_alu instid0(VALU_DEP_4) | instskip(NEXT) | instid1(VALU_DEP_4)
	v_add_f64 v[25:26], v[25:26], v[29:30]
	v_cvt_i32_f64_e32 v34, v[34:35]
	s_delay_alu instid0(VALU_DEP_4) | instskip(NEXT) | instid1(VALU_DEP_2)
	v_add_f64 v[23:24], v[23:24], -v[38:39]
	v_cvt_f64_i32_e32 v[32:33], v34
	s_delay_alu instid0(VALU_DEP_2) | instskip(NEXT) | instid1(VALU_DEP_2)
	v_add_f64 v[6:7], v[6:7], v[23:24]
	v_add_f64 v[8:9], v[8:9], -v[32:33]
	s_delay_alu instid0(VALU_DEP_2) | instskip(NEXT) | instid1(VALU_DEP_2)
	v_add_f64 v[6:7], v[25:26], v[6:7]
	v_add_f64 v[23:24], v[21:22], v[8:9]
	s_delay_alu instid0(VALU_DEP_2) | instskip(NEXT) | instid1(VALU_DEP_2)
	v_add_f64 v[2:3], v[2:3], v[6:7]
	v_add_f64 v[6:7], v[23:24], -v[8:9]
	v_cmp_le_f64_e32 vcc_lo, 0.5, v[23:24]
	s_delay_alu instid0(VALU_DEP_3) | instskip(NEXT) | instid1(VALU_DEP_3)
	v_add_f64 v[2:3], v[4:5], v[2:3]
	v_add_f64 v[4:5], v[21:22], -v[6:7]
	v_cndmask_b32_e64 v32, 0, 0x3ff00000, vcc_lo
	v_add_co_ci_u32_e64 v18, s0, 0, v34, vcc_lo
	s_delay_alu instid0(VALU_DEP_3) | instskip(NEXT) | instid1(VALU_DEP_3)
	v_add_f64 v[2:3], v[2:3], v[4:5]
	v_add_f64 v[4:5], v[23:24], -v[31:32]
	s_delay_alu instid0(VALU_DEP_1) | instskip(NEXT) | instid1(VALU_DEP_1)
	v_add_f64 v[6:7], v[4:5], v[2:3]
	v_mul_f64 v[8:9], v[6:7], s[4:5]
	v_add_f64 v[4:5], v[6:7], -v[4:5]
	s_delay_alu instid0(VALU_DEP_2) | instskip(NEXT) | instid1(VALU_DEP_2)
	v_fma_f64 v[21:22], v[6:7], s[4:5], -v[8:9]
	v_add_f64 v[2:3], v[2:3], -v[4:5]
	s_delay_alu instid0(VALU_DEP_2) | instskip(NEXT) | instid1(VALU_DEP_1)
	v_fma_f64 v[4:5], v[6:7], s[6:7], v[21:22]
	v_fma_f64 v[4:5], v[2:3], s[4:5], v[4:5]
	s_delay_alu instid0(VALU_DEP_1) | instskip(NEXT) | instid1(VALU_DEP_1)
	v_add_f64 v[2:3], v[8:9], v[4:5]
	v_add_f64 v[6:7], v[2:3], -v[8:9]
	s_delay_alu instid0(VALU_DEP_1)
	v_add_f64 v[4:5], v[4:5], -v[6:7]
	s_and_not1_saveexec_b32 s0, s2
	s_cbranch_execz .LBB8_111
	s_branch .LBB8_110
.LBB8_109:
	s_and_not1_saveexec_b32 s0, s2
	s_cbranch_execz .LBB8_111
.LBB8_110:
	s_mov_b32 s4, 0x6dc9c883
	s_mov_b32 s5, 0x3fe45f30
	;; [unrolled: 1-line block ×3, first 2 shown]
	v_mul_f64 v[2:3], |v[0:1]|, s[4:5]
	s_mov_b32 s4, 0x54442d18
	s_mov_b32 s5, 0xbff921fb
	;; [unrolled: 1-line block ×3, first 2 shown]
	s_delay_alu instid0(VALU_DEP_1) | instskip(NEXT) | instid1(VALU_DEP_1)
	v_rndne_f64_e32 v[6:7], v[2:3]
	v_fma_f64 v[2:3], v[6:7], s[4:5], |v[0:1]|
	v_mul_f64 v[4:5], v[6:7], s[6:7]
	s_mov_b32 s4, 0x252049c0
	s_mov_b32 s5, 0xb97b839a
	s_delay_alu instid0(VALU_DEP_2) | instskip(NEXT) | instid1(VALU_DEP_2)
	v_fma_f64 v[18:19], v[6:7], s[6:7], v[2:3]
	v_add_f64 v[8:9], v[2:3], v[4:5]
	s_mov_b32 s7, 0x3c91a626
	s_delay_alu instid0(VALU_DEP_1) | instskip(NEXT) | instid1(VALU_DEP_3)
	v_add_f64 v[2:3], v[2:3], -v[8:9]
	v_add_f64 v[8:9], v[8:9], -v[18:19]
	s_delay_alu instid0(VALU_DEP_2) | instskip(SKIP_1) | instid1(VALU_DEP_2)
	v_add_f64 v[2:3], v[2:3], v[4:5]
	v_fma_f64 v[4:5], v[6:7], s[6:7], v[4:5]
	v_add_f64 v[2:3], v[8:9], v[2:3]
	s_delay_alu instid0(VALU_DEP_1) | instskip(NEXT) | instid1(VALU_DEP_1)
	v_add_f64 v[2:3], v[2:3], -v[4:5]
	v_fma_f64 v[4:5], v[6:7], s[4:5], v[2:3]
	s_delay_alu instid0(VALU_DEP_1) | instskip(NEXT) | instid1(VALU_DEP_1)
	v_add_f64 v[2:3], v[18:19], v[4:5]
	v_add_f64 v[8:9], v[2:3], -v[18:19]
	v_cvt_i32_f64_e32 v18, v[6:7]
	s_delay_alu instid0(VALU_DEP_2)
	v_add_f64 v[4:5], v[4:5], -v[8:9]
.LBB8_111:
	s_or_b32 exec_lo, exec_lo, s0
                                        ; implicit-def: $vgpr19
                                        ; implicit-def: $vgpr6_vgpr7
                                        ; implicit-def: $vgpr8_vgpr9
	s_and_saveexec_b32 s0, s1
	s_delay_alu instid0(SALU_CYCLE_1)
	s_xor_b32 s1, exec_lo, s0
	s_cbranch_execz .LBB8_113
; %bb.112:
	v_cmp_le_f64_e64 vcc_lo, 0x7b000000, |v[0:1]|
	v_mov_b32_e32 v29, 0
	s_mov_b32 s4, 0x54442d18
	s_mov_b32 s5, 0x3ff921fb
	;; [unrolled: 1-line block ×4, first 2 shown]
	v_cndmask_b32_e32 v7, v20, v17, vcc_lo
	v_cndmask_b32_e32 v6, v0, v16, vcc_lo
	s_delay_alu instid0(VALU_DEP_1) | instskip(SKIP_1) | instid1(VALU_DEP_2)
	v_mul_f64 v[8:9], v[14:15], v[6:7]
	v_mul_f64 v[16:17], v[12:13], v[6:7]
	v_fma_f64 v[14:15], v[14:15], v[6:7], -v[8:9]
	s_delay_alu instid0(VALU_DEP_2) | instskip(NEXT) | instid1(VALU_DEP_2)
	v_fma_f64 v[12:13], v[12:13], v[6:7], -v[16:17]
	v_add_f64 v[19:20], v[16:17], v[14:15]
	s_delay_alu instid0(VALU_DEP_1) | instskip(SKIP_1) | instid1(VALU_DEP_2)
	v_add_f64 v[21:22], v[19:20], -v[16:17]
	v_add_f64 v[25:26], v[8:9], v[19:20]
	v_add_f64 v[23:24], v[19:20], -v[21:22]
	v_add_f64 v[14:15], v[14:15], -v[21:22]
	s_delay_alu instid0(VALU_DEP_3) | instskip(SKIP_1) | instid1(VALU_DEP_4)
	v_ldexp_f64 v[21:22], v[25:26], -2
	v_add_f64 v[8:9], v[25:26], -v[8:9]
	v_add_f64 v[16:17], v[16:17], -v[23:24]
	s_delay_alu instid0(VALU_DEP_3) | instskip(NEXT) | instid1(VALU_DEP_3)
	v_cmp_neq_f64_e64 vcc_lo, 0x7ff00000, |v[21:22]|
	v_add_f64 v[8:9], v[19:20], -v[8:9]
	s_delay_alu instid0(VALU_DEP_3) | instskip(SKIP_1) | instid1(VALU_DEP_1)
	v_add_f64 v[14:15], v[14:15], v[16:17]
	v_fract_f64_e32 v[16:17], v[21:22]
	v_dual_cndmask_b32 v17, 0, v17 :: v_dual_cndmask_b32 v16, 0, v16
	v_mul_f64 v[27:28], v[10:11], v[6:7]
	s_delay_alu instid0(VALU_DEP_2) | instskip(NEXT) | instid1(VALU_DEP_2)
	v_ldexp_f64 v[16:17], v[16:17], 2
	v_add_f64 v[23:24], v[27:28], v[12:13]
	v_fma_f64 v[6:7], v[10:11], v[6:7], -v[27:28]
	s_delay_alu instid0(VALU_DEP_2) | instskip(NEXT) | instid1(VALU_DEP_1)
	v_add_f64 v[19:20], v[23:24], v[14:15]
	v_add_f64 v[21:22], v[8:9], v[19:20]
	s_delay_alu instid0(VALU_DEP_1) | instskip(SKIP_1) | instid1(VALU_DEP_2)
	v_add_f64 v[25:26], v[21:22], v[16:17]
	v_add_f64 v[8:9], v[21:22], -v[8:9]
	v_cmp_gt_f64_e32 vcc_lo, 0, v[25:26]
	v_add_f64 v[25:26], v[23:24], -v[27:28]
	s_delay_alu instid0(VALU_DEP_3) | instskip(SKIP_1) | instid1(VALU_DEP_3)
	v_add_f64 v[8:9], v[19:20], -v[8:9]
	v_cndmask_b32_e64 v30, 0, 0x40100000, vcc_lo
	v_add_f64 v[34:35], v[23:24], -v[25:26]
	v_add_f64 v[12:13], v[12:13], -v[25:26]
	s_delay_alu instid0(VALU_DEP_3) | instskip(SKIP_1) | instid1(VALU_DEP_4)
	v_add_f64 v[16:17], v[16:17], v[29:30]
	v_add_f64 v[30:31], v[19:20], -v[23:24]
	v_add_f64 v[25:26], v[27:28], -v[34:35]
	s_delay_alu instid0(VALU_DEP_3) | instskip(NEXT) | instid1(VALU_DEP_3)
	v_add_f64 v[32:33], v[21:22], v[16:17]
	v_add_f64 v[36:37], v[19:20], -v[30:31]
	v_add_f64 v[14:15], v[14:15], -v[30:31]
	s_delay_alu instid0(VALU_DEP_4) | instskip(NEXT) | instid1(VALU_DEP_4)
	v_add_f64 v[12:13], v[12:13], v[25:26]
	v_cvt_i32_f64_e32 v32, v[32:33]
	s_delay_alu instid0(VALU_DEP_4) | instskip(NEXT) | instid1(VALU_DEP_2)
	v_add_f64 v[23:24], v[23:24], -v[36:37]
	v_cvt_f64_i32_e32 v[30:31], v32
	s_delay_alu instid0(VALU_DEP_2) | instskip(NEXT) | instid1(VALU_DEP_2)
	v_add_f64 v[14:15], v[14:15], v[23:24]
	v_add_f64 v[16:17], v[16:17], -v[30:31]
	s_delay_alu instid0(VALU_DEP_2) | instskip(NEXT) | instid1(VALU_DEP_2)
	v_add_f64 v[10:11], v[12:13], v[14:15]
	v_add_f64 v[12:13], v[21:22], v[16:17]
	s_delay_alu instid0(VALU_DEP_2) | instskip(NEXT) | instid1(VALU_DEP_2)
	v_add_f64 v[6:7], v[6:7], v[10:11]
	v_add_f64 v[10:11], v[12:13], -v[16:17]
	v_cmp_le_f64_e32 vcc_lo, 0.5, v[12:13]
	s_delay_alu instid0(VALU_DEP_3) | instskip(NEXT) | instid1(VALU_DEP_3)
	v_add_f64 v[6:7], v[8:9], v[6:7]
	v_add_f64 v[8:9], v[21:22], -v[10:11]
	v_cndmask_b32_e64 v30, 0, 0x3ff00000, vcc_lo
	v_add_co_ci_u32_e64 v19, s0, 0, v32, vcc_lo
	s_delay_alu instid0(VALU_DEP_3) | instskip(NEXT) | instid1(VALU_DEP_3)
	v_add_f64 v[6:7], v[6:7], v[8:9]
	v_add_f64 v[8:9], v[12:13], -v[29:30]
	s_delay_alu instid0(VALU_DEP_1) | instskip(NEXT) | instid1(VALU_DEP_1)
	v_add_f64 v[10:11], v[8:9], v[6:7]
	v_mul_f64 v[12:13], v[10:11], s[4:5]
	v_add_f64 v[8:9], v[10:11], -v[8:9]
	s_delay_alu instid0(VALU_DEP_2) | instskip(NEXT) | instid1(VALU_DEP_2)
	v_fma_f64 v[14:15], v[10:11], s[4:5], -v[12:13]
	v_add_f64 v[6:7], v[6:7], -v[8:9]
	s_delay_alu instid0(VALU_DEP_2) | instskip(NEXT) | instid1(VALU_DEP_1)
	v_fma_f64 v[8:9], v[10:11], s[6:7], v[14:15]
	v_fma_f64 v[8:9], v[6:7], s[4:5], v[8:9]
	s_delay_alu instid0(VALU_DEP_1) | instskip(NEXT) | instid1(VALU_DEP_1)
	v_add_f64 v[6:7], v[12:13], v[8:9]
	v_add_f64 v[10:11], v[6:7], -v[12:13]
	s_delay_alu instid0(VALU_DEP_1)
	v_add_f64 v[8:9], v[8:9], -v[10:11]
	s_and_not1_saveexec_b32 s0, s1
	s_cbranch_execnz .LBB8_114
	s_branch .LBB8_115
.LBB8_113:
	s_and_not1_saveexec_b32 s0, s1
	s_cbranch_execz .LBB8_115
.LBB8_114:
	s_mov_b32 s4, 0x6dc9c883
	s_mov_b32 s5, 0x3fe45f30
	s_mov_b32 s7, 0xbc91a626
	v_mul_f64 v[6:7], |v[0:1]|, s[4:5]
	s_mov_b32 s4, 0x54442d18
	s_mov_b32 s5, 0xbff921fb
	;; [unrolled: 1-line block ×3, first 2 shown]
	s_delay_alu instid0(VALU_DEP_1) | instskip(NEXT) | instid1(VALU_DEP_1)
	v_rndne_f64_e32 v[10:11], v[6:7]
	v_fma_f64 v[6:7], v[10:11], s[4:5], |v[0:1]|
	v_mul_f64 v[8:9], v[10:11], s[6:7]
	s_mov_b32 s4, 0x252049c0
	s_mov_b32 s5, 0xb97b839a
	v_cvt_i32_f64_e32 v19, v[10:11]
	s_delay_alu instid0(VALU_DEP_3) | instskip(NEXT) | instid1(VALU_DEP_3)
	v_fma_f64 v[14:15], v[10:11], s[6:7], v[6:7]
	v_add_f64 v[12:13], v[6:7], v[8:9]
	s_mov_b32 s7, 0x3c91a626
	s_delay_alu instid0(VALU_DEP_1) | instskip(NEXT) | instid1(VALU_DEP_3)
	v_add_f64 v[6:7], v[6:7], -v[12:13]
	v_add_f64 v[12:13], v[12:13], -v[14:15]
	s_delay_alu instid0(VALU_DEP_2) | instskip(SKIP_1) | instid1(VALU_DEP_2)
	v_add_f64 v[6:7], v[6:7], v[8:9]
	v_fma_f64 v[8:9], v[10:11], s[6:7], v[8:9]
	v_add_f64 v[6:7], v[12:13], v[6:7]
	s_delay_alu instid0(VALU_DEP_1) | instskip(NEXT) | instid1(VALU_DEP_1)
	v_add_f64 v[6:7], v[6:7], -v[8:9]
	v_fma_f64 v[8:9], v[10:11], s[4:5], v[6:7]
	s_delay_alu instid0(VALU_DEP_1) | instskip(NEXT) | instid1(VALU_DEP_1)
	v_add_f64 v[6:7], v[14:15], v[8:9]
	v_add_f64 v[12:13], v[6:7], -v[14:15]
	s_delay_alu instid0(VALU_DEP_1)
	v_add_f64 v[8:9], v[8:9], -v[12:13]
.LBB8_115:
	s_or_b32 exec_lo, exec_lo, s0
	v_div_scale_f64 v[10:11], null, v[41:42], v[41:42], 0x40140000
	v_div_scale_f64 v[16:17], vcc_lo, 0x40140000, v[41:42], 0x40140000
	s_mov_b32 s0, 0x6b70ba40
	s_mov_b32 s1, 0x3faa27fa
	;; [unrolled: 1-line block ×6, first 2 shown]
	v_mul_f64 v[26:27], v[2:3], v[2:3]
	v_mul_f64 v[32:33], v[6:7], v[6:7]
	s_mov_b32 s8, 0x796cde01
	s_mov_b32 s9, 0x3ec71de3
	v_mul_f64 v[70:71], v[4:5], 0.5
	v_rcp_f64_e32 v[12:13], v[10:11]
	s_delay_alu instid0(VALU_DEP_3) | instskip(SKIP_1) | instid1(VALU_DEP_4)
	v_mul_f64 v[51:52], v[26:27], 0.5
	v_mul_f64 v[72:73], v[2:3], -v[26:27]
	v_mul_f64 v[78:79], v[6:7], -v[32:33]
	s_waitcnt_depctr 0xfff
	v_fma_f64 v[14:15], -v[10:11], v[12:13], 1.0
	v_add_f64 v[53:54], -v[51:52], 1.0
	s_delay_alu instid0(VALU_DEP_2) | instskip(NEXT) | instid1(VALU_DEP_2)
	v_fma_f64 v[12:13], v[12:13], v[14:15], v[12:13]
	v_add_f64 v[74:75], -v[53:54], 1.0
	s_delay_alu instid0(VALU_DEP_2) | instskip(NEXT) | instid1(VALU_DEP_2)
	v_fma_f64 v[14:15], -v[10:11], v[12:13], 1.0
	v_add_f64 v[51:52], v[74:75], -v[51:52]
	s_delay_alu instid0(VALU_DEP_2) | instskip(NEXT) | instid1(VALU_DEP_2)
	v_fma_f64 v[12:13], v[12:13], v[14:15], v[12:13]
	v_fma_f64 v[51:52], v[2:3], -v[4:5], v[51:52]
	s_delay_alu instid0(VALU_DEP_2) | instskip(NEXT) | instid1(VALU_DEP_1)
	v_mul_f64 v[14:15], v[16:17], v[12:13]
	v_fma_f64 v[10:11], -v[10:11], v[14:15], v[16:17]
	s_delay_alu instid0(VALU_DEP_1) | instskip(NEXT) | instid1(VALU_DEP_1)
	v_div_fmas_f64 v[10:11], v[10:11], v[12:13], v[14:15]
	v_div_fixup_f64 v[10:11], v[10:11], v[41:42], 0x40140000
	s_delay_alu instid0(VALU_DEP_1) | instskip(NEXT) | instid1(VALU_DEP_1)
	v_mul_f64 v[12:13], v[10:11], v[10:11]
	v_fma_f64 v[14:15], v[12:13], 0, s[0:1]
	s_mov_b32 s0, 0x4c6c651b
	s_mov_b32 s1, 0x3f48f92c
	v_fma_f64 v[16:17], v[12:13], 0, s[4:5]
	v_fma_f64 v[20:21], v[12:13], 0, s[0:1]
	s_mov_b32 s0, 0xc66d8fd6
	s_mov_b32 s1, 0x4013edb5
	v_fma_f64 v[22:23], v[12:13], 0, s[6:7]
	s_mov_b32 s4, 0x5948aa83
	s_mov_b32 s5, 0x3fb19fdd
	s_mov_b32 s6, 0xa20e5f6f
	s_mov_b32 s7, 0x409081cb
	s_delay_alu instid0(VALU_DEP_4) | instskip(SKIP_2) | instid1(VALU_DEP_4)
	v_fma_f64 v[14:15], v[12:13], v[14:15], s[0:1]
	s_mov_b32 s0, 0xa3fec4b6
	s_mov_b32 s1, 0x3fb2b948
	v_fma_f64 v[16:17], v[12:13], v[16:17], s[4:5]
	s_delay_alu instid0(VALU_DEP_4) | instskip(SKIP_2) | instid1(VALU_DEP_4)
	v_fma_f64 v[20:21], v[12:13], v[20:21], s[0:1]
	s_mov_b32 s0, 0x9acf1c67
	s_mov_b32 s1, 0x4052f4b9
	v_fma_f64 v[22:23], v[12:13], v[22:23], s[6:7]
	s_mov_b32 s4, 0xb850eed6
	s_mov_b32 s5, 0x3ff1aea9
	s_mov_b32 s6, 0x1bfdfe81
	s_mov_b32 s7, 0x40b37a69
	s_delay_alu instid0(VALU_DEP_4) | instskip(SKIP_2) | instid1(VALU_DEP_4)
	v_fma_f64 v[14:15], v[12:13], v[14:15], s[0:1]
	s_mov_b32 s0, 0xc21596d6
	s_mov_b32 s1, 0x3ff208fe
	v_fma_f64 v[16:17], v[12:13], v[16:17], s[4:5]
	s_delay_alu instid0(VALU_DEP_4) | instskip(SKIP_2) | instid1(VALU_DEP_4)
	;; [unrolled: 14-line block ×5, first 2 shown]
	v_fma_f64 v[20:21], v[12:13], v[20:21], s[0:1]
	s_mov_b32 s0, 0x4c54bb0b
	s_mov_b32 s1, 0x406a760a
	v_fma_f64 v[22:23], v[12:13], v[22:23], s[6:7]
	s_mov_b32 s4, 0x4d159eb5
	s_mov_b32 s5, 0x403934ff
	;; [unrolled: 1-line block ×4, first 2 shown]
	s_delay_alu instid0(VALU_DEP_4) | instskip(SKIP_2) | instid1(VALU_DEP_4)
	v_fma_f64 v[14:15], v[12:13], v[14:15], s[0:1]
	s_mov_b32 s0, 0x6ae75997
	s_mov_b32 s1, 0x4075017f
	v_fma_f64 v[16:17], v[12:13], v[16:17], 1.0
	s_delay_alu instid0(VALU_DEP_4) | instskip(NEXT) | instid1(VALU_DEP_4)
	v_fma_f64 v[20:21], v[12:13], v[20:21], 1.0
	v_fma_f64 v[22:23], v[12:13], v[22:23], s[0:1]
	s_mov_b32 s0, 0xb42fdfa7
	s_mov_b32 s1, 0xbe5ae600
	s_delay_alu instid0(VALU_DEP_4) | instskip(SKIP_2) | instid1(VALU_DEP_3)
	v_fma_f64 v[12:13], v[12:13], v[14:15], s[4:5]
	s_mov_b32 s4, 0xf9a43bb8
	s_mov_b32 s5, 0x3de5e0b2
	v_div_scale_f64 v[14:15], null, v[16:17], v[16:17], v[20:21]
	v_fma_f64 v[34:35], v[26:27], s[4:5], s[0:1]
	v_fma_f64 v[47:48], v[32:33], s[4:5], s[0:1]
	v_cmp_gt_f64_e64 s0, 0x10000000, v[41:42]
	s_mov_b32 s4, 0x9037ab78
	s_mov_b32 s5, 0x3e21eeb6
	v_div_scale_f64 v[76:77], vcc_lo, v[20:21], v[16:17], v[20:21]
	v_fma_f64 v[49:50], v[26:27], s[6:7], s[4:5]
	v_div_scale_f64 v[24:25], null, v[22:23], v[22:23], v[12:13]
	v_rcp_f64_e32 v[28:29], v[14:15]
	v_fma_f64 v[34:35], v[26:27], v[34:35], s[8:9]
	s_delay_alu instid0(VALU_DEP_2) | instskip(SKIP_3) | instid1(VALU_DEP_2)
	v_rcp_f64_e32 v[30:31], v[24:25]
	s_waitcnt_depctr 0xfff
	v_fma_f64 v[36:37], -v[14:15], v[28:29], 1.0
	v_fma_f64 v[38:39], -v[24:25], v[30:31], 1.0
	v_fma_f64 v[28:29], v[28:29], v[36:37], v[28:29]
	v_fma_f64 v[36:37], v[32:33], v[47:48], s[8:9]
	;; [unrolled: 1-line block ×3, first 2 shown]
	s_mov_b32 s6, 0x19e83e5c
	s_mov_b32 s7, 0xbf2a01a0
	;; [unrolled: 1-line block ×3, first 2 shown]
	v_fma_f64 v[34:35], v[26:27], v[34:35], s[6:7]
	s_mov_b32 s5, 0xbe927e4f
	s_delay_alu instid0(SALU_CYCLE_1) | instskip(SKIP_4) | instid1(VALU_DEP_3)
	v_fma_f64 v[49:50], v[26:27], v[49:50], s[4:5]
	v_fma_f64 v[30:31], v[30:31], v[38:39], v[30:31]
	v_cndmask_b32_e64 v38, 0, 1, s0
	v_fma_f64 v[62:63], -v[14:15], v[28:29], 1.0
	v_fma_f64 v[36:37], v[32:33], v[36:37], s[6:7]
	v_lshlrev_b32_e32 v40, 8, v38
	v_mul_f64 v[38:39], v[32:33], 0.5
	v_fma_f64 v[47:48], v[32:33], v[47:48], s[4:5]
	s_mov_b32 s6, 0x11110bb3
	s_mov_b32 s7, 0x3f811111
	v_ldexp_f64 v[40:41], v[41:42], v40
	v_fma_f64 v[34:35], v[26:27], v[34:35], s[6:7]
	s_mov_b32 s4, 0x19f4ec90
	s_mov_b32 s5, 0x3efa01a0
	s_delay_alu instid0(SALU_CYCLE_1)
	v_fma_f64 v[49:50], v[26:27], v[49:50], s[4:5]
	v_fma_f64 v[64:65], -v[24:25], v[30:31], 1.0
	v_fma_f64 v[28:29], v[28:29], v[62:63], v[28:29]
	v_div_scale_f64 v[62:63], s1, v[12:13], v[22:23], v[12:13]
	v_add_f64 v[66:67], -v[38:39], 1.0
	v_fma_f64 v[36:37], v[32:33], v[36:37], s[6:7]
	v_fma_f64 v[47:48], v[32:33], v[47:48], s[4:5]
	s_mov_b32 s4, 0x16c16967
	v_rsq_f64_e32 v[68:69], v[40:41]
	v_fma_f64 v[34:35], v[72:73], v[34:35], v[70:71]
	s_mov_b32 s5, 0xbf56c16c
	s_delay_alu instid0(SALU_CYCLE_1)
	v_fma_f64 v[49:50], v[26:27], v[49:50], s[4:5]
	v_fma_f64 v[30:31], v[30:31], v[64:65], v[30:31]
	v_mul_f64 v[64:65], v[8:9], 0.5
	v_mul_f64 v[70:71], v[76:77], v[28:29]
	v_add_f64 v[80:81], -v[66:67], 1.0
	v_fma_f64 v[47:48], v[32:33], v[47:48], s[4:5]
	s_mov_b32 s4, 0x55555555
	s_mov_b32 s5, 0x3fa55555
	v_fma_f64 v[4:5], v[26:27], v[34:35], -v[4:5]
	s_delay_alu instid0(TRANS32_DEP_1)
	v_mul_f64 v[82:83], v[40:41], v[68:69]
	v_mul_f64 v[68:69], v[68:69], 0.5
	v_mul_f64 v[34:35], v[32:33], v[32:33]
	v_fma_f64 v[49:50], v[26:27], v[49:50], s[4:5]
	v_mul_f64 v[74:75], v[62:63], v[30:31]
	v_fma_f64 v[36:37], v[78:79], v[36:37], v[64:65]
	v_mul_f64 v[64:65], v[26:27], v[26:27]
	v_fma_f64 v[14:15], -v[14:15], v[70:71], v[76:77]
	v_add_f64 v[38:39], v[80:81], -v[38:39]
	v_fma_f64 v[80:81], -v[68:69], v[82:83], 0.5
	v_fma_f64 v[24:25], -v[24:25], v[74:75], v[62:63]
	v_fma_f64 v[26:27], v[32:33], v[36:37], -v[8:9]
	v_fma_f64 v[32:33], v[32:33], v[47:48], s[4:5]
	s_mov_b32 s5, 0xbfc55555
	v_div_fmas_f64 v[14:15], v[14:15], v[28:29], v[70:71]
	s_mov_b32 vcc_lo, s1
	v_fma_f64 v[4:5], v[72:73], s[4:5], v[4:5]
	v_fma_f64 v[8:9], v[6:7], -v[8:9], v[38:39]
	v_fma_f64 v[38:39], v[64:65], v[49:50], v[51:52]
	v_cmp_class_f64_e64 s1, v[0:1], 0x1f8
	v_and_b32_e32 v0, 1, v19
	v_fma_f64 v[36:37], v[82:83], v[80:81], v[82:83]
	v_fma_f64 v[28:29], v[68:69], v[80:81], v[68:69]
	s_delay_alu instid0(VALU_DEP_3)
	v_cmp_eq_u32_e64 s2, 0, v0
	v_div_fmas_f64 v[24:25], v[24:25], v[30:31], v[74:75]
	v_fma_f64 v[26:27], v[78:79], s[4:5], v[26:27]
	v_add_f64 v[2:3], v[2:3], -v[4:5]
	v_fma_f64 v[8:9], v[34:35], v[32:33], v[8:9]
	v_add_f64 v[32:33], v[53:54], v[38:39]
	v_fma_f64 v[30:31], -v[36:37], v[36:37], v[40:41]
	v_div_fixup_f64 v[4:5], v[24:25], v[22:23], v[12:13]
	v_add_f64 v[6:7], v[6:7], -v[26:27]
	v_and_b32_e32 v22, 1, v18
	v_add_f64 v[8:9], v[66:67], v[8:9]
	s_delay_alu instid0(VALU_DEP_2)
	v_cmp_eq_u32_e32 vcc_lo, 0, v22
	v_cndmask_b32_e32 v2, v32, v2, vcc_lo
	v_fma_f64 v[12:13], v[30:31], v[28:29], v[36:37]
	v_mul_f64 v[4:5], v[10:11], v[4:5]
	v_lshlrev_b32_e32 v10, 30, v19
	v_xor_b32_e32 v7, 0x80000000, v7
	s_delay_alu instid0(VALU_DEP_2) | instskip(SKIP_1) | instid1(VALU_DEP_3)
	v_and_b32_e32 v0, 0x80000000, v10
	v_cndmask_b32_e64 v8, v6, v8, s2
	v_cndmask_b32_e64 v6, v7, v9, s2
	v_div_fixup_f64 v[10:11], v[14:15], v[16:17], v[20:21]
	s_delay_alu instid0(VALU_DEP_3) | instskip(NEXT) | instid1(VALU_DEP_3)
	v_cndmask_b32_e64 v8, 0, v8, s1
	v_xor_b32_e32 v9, v6, v0
	v_fma_f64 v[6:7], -v[12:13], v[12:13], v[40:41]
	v_cndmask_b32_e64 v0, 0, v2, s1
	v_lshlrev_b32_e32 v2, 30, v18
	s_delay_alu instid0(VALU_DEP_4) | instskip(NEXT) | instid1(VALU_DEP_2)
	v_cndmask_b32_e64 v9, 0x7ff80000, v9, s1
	v_xor_b32_e32 v1, v2, v1
	v_cndmask_b32_e32 v2, v33, v3, vcc_lo
	v_cmp_class_f64_e64 vcc_lo, v[40:41], 0x260
	s_delay_alu instid0(VALU_DEP_3) | instskip(NEXT) | instid1(VALU_DEP_1)
	v_and_b32_e32 v1, 0x80000000, v1
	v_xor_b32_e32 v1, v2, v1
	s_delay_alu instid0(VALU_DEP_1) | instskip(SKIP_2) | instid1(VALU_DEP_2)
	v_cndmask_b32_e64 v1, 0x7ff80000, v1, s1
	v_mul_f64 v[4:5], v[4:5], v[8:9]
	v_fma_f64 v[2:3], v[6:7], v[28:29], v[12:13]
	v_fma_f64 v[0:1], v[10:11], v[0:1], v[4:5]
	v_cndmask_b32_e64 v4, 0, 0xffffff80, s0
	s_mov_b32 s0, 0x33d43651
	s_mov_b32 s1, 0x3fe98845
	s_delay_alu instid0(VALU_DEP_1) | instskip(NEXT) | instid1(VALU_DEP_3)
	v_ldexp_f64 v[2:3], v[2:3], v4
	v_mul_f64 v[0:1], v[0:1], s[0:1]
	s_delay_alu instid0(VALU_DEP_2) | instskip(NEXT) | instid1(VALU_DEP_1)
	v_dual_cndmask_b32 v3, v3, v41 :: v_dual_cndmask_b32 v2, v2, v40
	v_div_scale_f64 v[4:5], null, v[2:3], v[2:3], v[0:1]
	s_delay_alu instid0(VALU_DEP_1) | instskip(SKIP_2) | instid1(VALU_DEP_1)
	v_rcp_f64_e32 v[6:7], v[4:5]
	s_waitcnt_depctr 0xfff
	v_fma_f64 v[8:9], -v[4:5], v[6:7], 1.0
	v_fma_f64 v[6:7], v[6:7], v[8:9], v[6:7]
	s_delay_alu instid0(VALU_DEP_1) | instskip(NEXT) | instid1(VALU_DEP_1)
	v_fma_f64 v[8:9], -v[4:5], v[6:7], 1.0
	v_fma_f64 v[6:7], v[6:7], v[8:9], v[6:7]
	v_div_scale_f64 v[8:9], vcc_lo, v[0:1], v[2:3], v[0:1]
	s_delay_alu instid0(VALU_DEP_1) | instskip(NEXT) | instid1(VALU_DEP_1)
	v_mul_f64 v[10:11], v[8:9], v[6:7]
	v_fma_f64 v[4:5], -v[4:5], v[10:11], v[8:9]
	s_delay_alu instid0(VALU_DEP_1) | instskip(NEXT) | instid1(VALU_DEP_1)
	v_div_fmas_f64 v[4:5], v[4:5], v[6:7], v[10:11]
	v_div_fixup_f64 v[62:63], v[4:5], v[2:3], v[0:1]
.LBB8_116:
	s_or_b32 exec_lo, exec_lo, s3
	global_load_b64 v[41:42], v56, s[38:39]
                                        ; implicit-def: $vgpr0_vgpr1
	s_mov_b32 s0, exec_lo
	s_waitcnt vmcnt(0)
	v_cmpx_ge_f64_e32 0x40140000, v[41:42]
	s_xor_b32 s35, exec_lo, s0
	s_cbranch_execz .LBB8_122
; %bb.117:
	v_mov_b32_e32 v0, 0
	v_mov_b32_e32 v1, 0xfff00000
	s_mov_b32 s38, exec_lo
	v_cmpx_neq_f64_e32 0, v[41:42]
	s_cbranch_execz .LBB8_121
; %bb.118:
	v_mov_b32_e32 v0, 0
	v_mov_b32_e32 v1, 0x7ff80000
	s_mov_b32 s39, exec_lo
	v_cmpx_nge_f64_e32 0, v[41:42]
	s_cbranch_execz .LBB8_120
; %bb.119:
	v_mul_f64 v[0:1], v[41:42], v[41:42]
	s_mov_b32 s0, 0xa93f7ac2
	s_mov_b32 s1, 0x40829269
	;; [unrolled: 1-line block ×4, first 2 shown]
	s_delay_alu instid0(VALU_DEP_1)
	v_fma_f64 v[2:3], v[0:1], 0, s[0:1]
	s_mov_b32 s0, 0xbe58ef7f
	s_mov_b32 s1, 0x410cc160
	s_delay_alu instid0(VALU_DEP_1) | instid1(SALU_CYCLE_1)
	v_fma_f64 v[2:3], v[0:1], v[2:3], s[0:1]
	s_mov_b32 s0, 0x62f9b6c5
	s_mov_b32 s1, 0x41d2d2be
	s_delay_alu instid0(SALU_CYCLE_1) | instskip(SKIP_2) | instid1(VALU_DEP_2)
	v_fma_f64 v[4:5], v[0:1], 0, s[0:1]
	s_mov_b32 s0, 0x58836521
	s_mov_b32 s1, 0xc262d72d
	v_fma_f64 v[2:3], v[0:1], v[2:3], s[2:3]
	s_mov_b32 s2, 0x906b7b83
	s_mov_b32 s3, 0x421178c3
	s_delay_alu instid0(VALU_DEP_2) | instskip(SKIP_2) | instid1(VALU_DEP_2)
	v_fma_f64 v[4:5], v[0:1], v[4:5], s[0:1]
	s_mov_b32 s0, 0xb0910fef
	s_mov_b32 s1, 0x42da0954
	v_fma_f64 v[2:3], v[0:1], v[2:3], s[2:3]
	s_mov_b32 s2, 0xfda99316
	s_mov_b32 s3, 0x428c3f5e
	s_delay_alu instid0(VALU_DEP_2) | instskip(SKIP_2) | instid1(VALU_DEP_2)
	;; [unrolled: 7-line block ×4, first 2 shown]
	v_fma_f64 v[4:5], v[0:1], v[4:5], s[0:1]
	s_mov_b32 s0, 0x5dde2b17
	s_mov_b32 s1, 0xc3a59e41
	v_fma_f64 v[2:3], v[0:1], v[2:3], s[2:3]
	s_mov_b32 s2, 0x90f6747f
	s_mov_b32 s3, 0x43cb90f1
	s_delay_alu instid0(VALU_DEP_2) | instskip(SKIP_3) | instid1(VALU_DEP_2)
	v_fma_f64 v[4:5], v[0:1], v[4:5], s[0:1]
	s_getpc_b64 s[0:1]
	s_add_u32 s0, s0, _Z17bessel_j1_forwardIdET_S0_@rel32@lo+4
	s_addc_u32 s1, s1, _Z17bessel_j1_forwardIdET_S0_@rel32@hi+12
	v_fma_f64 v[0:1], v[0:1], v[2:3], s[2:3]
	s_delay_alu instid0(VALU_DEP_1) | instskip(NEXT) | instid1(VALU_DEP_1)
	v_div_scale_f64 v[2:3], null, v[0:1], v[0:1], v[4:5]
	v_rcp_f64_e32 v[6:7], v[2:3]
	s_waitcnt_depctr 0xfff
	v_fma_f64 v[8:9], -v[2:3], v[6:7], 1.0
	s_delay_alu instid0(VALU_DEP_1) | instskip(NEXT) | instid1(VALU_DEP_1)
	v_fma_f64 v[6:7], v[6:7], v[8:9], v[6:7]
	v_fma_f64 v[8:9], -v[2:3], v[6:7], 1.0
	s_delay_alu instid0(VALU_DEP_1) | instskip(SKIP_1) | instid1(VALU_DEP_1)
	v_fma_f64 v[6:7], v[6:7], v[8:9], v[6:7]
	v_div_scale_f64 v[8:9], vcc_lo, v[4:5], v[0:1], v[4:5]
	v_mul_f64 v[10:11], v[8:9], v[6:7]
	s_delay_alu instid0(VALU_DEP_1) | instskip(NEXT) | instid1(VALU_DEP_1)
	v_fma_f64 v[2:3], -v[2:3], v[10:11], v[8:9]
	v_div_fmas_f64 v[2:3], v[2:3], v[6:7], v[10:11]
	s_delay_alu instid0(VALU_DEP_1)
	v_div_fixup_f64 v[72:73], v[2:3], v[0:1], v[4:5]
	v_dual_mov_b32 v0, v41 :: v_dual_mov_b32 v1, v42
	s_swappc_b64 s[30:31], s[0:1]
	v_frexp_mant_f64_e32 v[2:3], v[41:42]
	s_mov_b32 s1, 0x3fe55555
	s_mov_b32 s0, 0x55555555
	v_mov_b32_e32 v4, 0
	s_mov_b32 s2, 0x6b47b09a
	s_mov_b32 s4, 0xbf559e2b
	;; [unrolled: 1-line block ×4, first 2 shown]
	v_div_scale_f64 v[18:19], null, v[41:42], v[41:42], -1.0
	s_delay_alu instid0(VALU_DEP_3) | instskip(SKIP_1) | instid1(VALU_DEP_2)
	v_cmp_gt_f64_e32 vcc_lo, s[0:1], v[2:3]
	s_mov_b32 s0, 0x55555780
	v_rcp_f64_e32 v[22:23], v[18:19]
	v_cndmask_b32_e64 v5, 0x3ff00000, 2.0, vcc_lo
	s_delay_alu instid0(VALU_DEP_1) | instskip(NEXT) | instid1(VALU_DEP_1)
	v_mul_f64 v[2:3], v[2:3], v[4:5]
	v_add_f64 v[4:5], v[2:3], 1.0
	v_add_f64 v[10:11], v[2:3], -1.0
	s_delay_alu instid0(VALU_DEP_2) | instskip(SKIP_1) | instid1(VALU_DEP_1)
	v_rcp_f64_e32 v[6:7], v[4:5]
	v_add_f64 v[12:13], v[4:5], -1.0
	v_add_f64 v[2:3], v[2:3], -v[12:13]
	s_waitcnt_depctr 0xfff
	v_fma_f64 v[8:9], -v[4:5], v[6:7], 1.0
	s_delay_alu instid0(VALU_DEP_1) | instskip(NEXT) | instid1(VALU_DEP_1)
	v_fma_f64 v[6:7], v[8:9], v[6:7], v[6:7]
	v_fma_f64 v[8:9], -v[4:5], v[6:7], 1.0
	s_delay_alu instid0(VALU_DEP_1) | instskip(NEXT) | instid1(VALU_DEP_1)
	v_fma_f64 v[6:7], v[8:9], v[6:7], v[6:7]
	v_mul_f64 v[8:9], v[10:11], v[6:7]
	s_delay_alu instid0(VALU_DEP_1) | instskip(NEXT) | instid1(VALU_DEP_1)
	v_mul_f64 v[14:15], v[4:5], v[8:9]
	v_fma_f64 v[4:5], v[8:9], v[4:5], -v[14:15]
	s_delay_alu instid0(VALU_DEP_1) | instskip(NEXT) | instid1(VALU_DEP_1)
	v_fma_f64 v[2:3], v[8:9], v[2:3], v[4:5]
	v_add_f64 v[4:5], v[14:15], v[2:3]
	s_delay_alu instid0(VALU_DEP_1) | instskip(SKIP_1) | instid1(VALU_DEP_2)
	v_add_f64 v[12:13], v[10:11], -v[4:5]
	v_add_f64 v[14:15], v[4:5], -v[14:15]
	;; [unrolled: 1-line block ×3, first 2 shown]
	s_delay_alu instid0(VALU_DEP_2) | instskip(SKIP_1) | instid1(VALU_DEP_3)
	v_add_f64 v[2:3], v[14:15], -v[2:3]
	v_frexp_exp_i32_f64_e32 v14, v[41:42]
	v_add_f64 v[4:5], v[10:11], -v[4:5]
	s_delay_alu instid0(VALU_DEP_1) | instskip(NEXT) | instid1(VALU_DEP_1)
	v_add_f64 v[2:3], v[2:3], v[4:5]
	v_add_f64 v[2:3], v[12:13], v[2:3]
	s_delay_alu instid0(VALU_DEP_1) | instskip(NEXT) | instid1(VALU_DEP_1)
	v_mul_f64 v[2:3], v[6:7], v[2:3]
	v_add_f64 v[4:5], v[8:9], v[2:3]
	s_delay_alu instid0(VALU_DEP_1) | instskip(NEXT) | instid1(VALU_DEP_1)
	v_mul_f64 v[6:7], v[4:5], v[4:5]
	v_fma_f64 v[10:11], v[6:7], s[4:5], s[2:3]
	s_mov_b32 s2, 0xd7f4df2e
	s_mov_b32 s3, 0x3fc7474d
	v_mul_f64 v[12:13], v[4:5], v[6:7]
	s_delay_alu instid0(VALU_DEP_2)
	v_fma_f64 v[10:11], v[6:7], v[10:11], s[2:3]
	s_mov_b32 s2, 0x16291751
	s_mov_b32 s3, 0x3fcc71c0
	s_delay_alu instid0(VALU_DEP_1) | instid1(SALU_CYCLE_1)
	v_fma_f64 v[10:11], v[6:7], v[10:11], s[2:3]
	s_mov_b32 s2, 0x9b27acf1
	s_mov_b32 s3, 0x3fd24924
	s_delay_alu instid0(VALU_DEP_1) | instid1(SALU_CYCLE_1)
	;; [unrolled: 4-line block ×3, first 2 shown]
	v_fma_f64 v[10:11], v[6:7], v[10:11], s[2:3]
	s_delay_alu instid0(VALU_DEP_1) | instskip(SKIP_4) | instid1(VALU_DEP_3)
	v_fma_f64 v[6:7], v[6:7], v[10:11], s[0:1]
	v_ldexp_f64 v[10:11], v[4:5], 1
	v_add_f64 v[4:5], v[4:5], -v[8:9]
	s_mov_b32 s0, 0xfefa39ef
	s_mov_b32 s1, 0x3fe62e42
	v_mul_f64 v[6:7], v[12:13], v[6:7]
	v_subrev_co_ci_u32_e32 v12, vcc_lo, 0, v14, vcc_lo
	s_delay_alu instid0(VALU_DEP_3) | instskip(NEXT) | instid1(VALU_DEP_2)
	v_add_f64 v[2:3], v[2:3], -v[4:5]
	v_cvt_f64_i32_e32 v[12:13], v12
	s_delay_alu instid0(VALU_DEP_4) | instskip(NEXT) | instid1(VALU_DEP_3)
	v_add_f64 v[8:9], v[10:11], v[6:7]
	v_ldexp_f64 v[2:3], v[2:3], 1
	s_delay_alu instid0(VALU_DEP_3) | instskip(NEXT) | instid1(VALU_DEP_3)
	v_mul_f64 v[14:15], v[12:13], s[0:1]
	v_add_f64 v[4:5], v[8:9], -v[10:11]
	s_delay_alu instid0(VALU_DEP_2) | instskip(SKIP_2) | instid1(VALU_DEP_2)
	v_fma_f64 v[10:11], v[12:13], s[0:1], -v[14:15]
	s_mov_b32 s0, 0x3b39803f
	s_mov_b32 s1, 0x3c7abc9e
	v_add_f64 v[4:5], v[6:7], -v[4:5]
	s_delay_alu instid0(VALU_DEP_2) | instskip(SKIP_2) | instid1(VALU_DEP_2)
	v_fma_f64 v[6:7], v[12:13], s[0:1], v[10:11]
	s_mov_b32 s0, 0x6dc9c883
	s_mov_b32 s1, 0x3fe45f30
	v_add_f64 v[2:3], v[2:3], v[4:5]
	s_delay_alu instid0(VALU_DEP_2) | instskip(NEXT) | instid1(VALU_DEP_2)
	v_add_f64 v[4:5], v[14:15], v[6:7]
	v_add_f64 v[10:11], v[8:9], v[2:3]
	s_delay_alu instid0(VALU_DEP_2) | instskip(NEXT) | instid1(VALU_DEP_2)
	v_add_f64 v[14:15], v[4:5], -v[14:15]
	v_add_f64 v[12:13], v[4:5], v[10:11]
	v_add_f64 v[8:9], v[10:11], -v[8:9]
	s_delay_alu instid0(VALU_DEP_3) | instskip(NEXT) | instid1(VALU_DEP_3)
	v_add_f64 v[6:7], v[6:7], -v[14:15]
	v_add_f64 v[16:17], v[12:13], -v[4:5]
	s_delay_alu instid0(VALU_DEP_3) | instskip(NEXT) | instid1(VALU_DEP_2)
	v_add_f64 v[2:3], v[2:3], -v[8:9]
	v_add_f64 v[20:21], v[12:13], -v[16:17]
	;; [unrolled: 1-line block ×3, first 2 shown]
	v_fma_f64 v[10:11], -v[18:19], v[22:23], 1.0
	s_delay_alu instid0(VALU_DEP_4) | instskip(NEXT) | instid1(VALU_DEP_4)
	v_add_f64 v[14:15], v[6:7], v[2:3]
	v_add_f64 v[4:5], v[4:5], -v[20:21]
	s_delay_alu instid0(VALU_DEP_1) | instskip(NEXT) | instid1(VALU_DEP_4)
	v_add_f64 v[4:5], v[8:9], v[4:5]
	v_fma_f64 v[8:9], v[22:23], v[10:11], v[22:23]
	s_delay_alu instid0(VALU_DEP_4) | instskip(SKIP_1) | instid1(VALU_DEP_4)
	v_add_f64 v[10:11], v[14:15], -v[6:7]
	v_div_scale_f64 v[22:23], vcc_lo, -1.0, v[41:42], -1.0
	v_add_f64 v[4:5], v[14:15], v[4:5]
	s_delay_alu instid0(VALU_DEP_4) | instskip(NEXT) | instid1(VALU_DEP_4)
	v_fma_f64 v[16:17], -v[18:19], v[8:9], 1.0
	v_add_f64 v[14:15], v[14:15], -v[10:11]
	v_add_f64 v[2:3], v[2:3], -v[10:11]
	s_delay_alu instid0(VALU_DEP_4) | instskip(NEXT) | instid1(VALU_DEP_4)
	v_add_f64 v[20:21], v[12:13], v[4:5]
	v_fma_f64 v[8:9], v[8:9], v[16:17], v[8:9]
	s_delay_alu instid0(VALU_DEP_4) | instskip(NEXT) | instid1(VALU_DEP_3)
	v_add_f64 v[6:7], v[6:7], -v[14:15]
	v_add_f64 v[10:11], v[20:21], -v[12:13]
	s_delay_alu instid0(VALU_DEP_3) | instskip(NEXT) | instid1(VALU_DEP_3)
	v_mul_f64 v[12:13], v[22:23], v[8:9]
	v_add_f64 v[2:3], v[2:3], v[6:7]
	s_delay_alu instid0(VALU_DEP_3) | instskip(NEXT) | instid1(VALU_DEP_3)
	v_add_f64 v[4:5], v[4:5], -v[10:11]
	v_fma_f64 v[6:7], -v[18:19], v[12:13], v[22:23]
	s_delay_alu instid0(VALU_DEP_2) | instskip(NEXT) | instid1(VALU_DEP_2)
	v_add_f64 v[2:3], v[2:3], v[4:5]
	v_div_fmas_f64 v[4:5], v[6:7], v[8:9], v[12:13]
	s_delay_alu instid0(VALU_DEP_2) | instskip(NEXT) | instid1(VALU_DEP_2)
	v_add_f64 v[2:3], v[20:21], v[2:3]
	v_div_fixup_f64 v[4:5], v[4:5], v[41:42], -1.0
	s_delay_alu instid0(VALU_DEP_1) | instskip(NEXT) | instid1(VALU_DEP_1)
	v_fma_f64 v[0:1], v[2:3], v[0:1], v[4:5]
	v_mul_f64 v[0:1], v[0:1], s[0:1]
	s_delay_alu instid0(VALU_DEP_1)
	v_fma_f64 v[0:1], v[41:42], v[72:73], v[0:1]
.LBB8_120:
	s_or_b32 exec_lo, exec_lo, s39
.LBB8_121:
	s_delay_alu instid0(SALU_CYCLE_1)
	s_or_b32 exec_lo, exec_lo, s38
                                        ; implicit-def: $vgpr41_vgpr42
.LBB8_122:
	s_and_not1_saveexec_b32 s3, s35
	s_cbranch_execz .LBB8_132
; %bb.123:
	s_mov_b32 s0, 0x7f3321d2
	s_mov_b32 s1, 0xc002d97c
                                        ; implicit-def: $vgpr18
                                        ; implicit-def: $vgpr2_vgpr3
                                        ; implicit-def: $vgpr4_vgpr5
	s_delay_alu instid0(SALU_CYCLE_1) | instskip(NEXT) | instid1(VALU_DEP_1)
	v_add_f64 v[0:1], v[41:42], s[0:1]
	v_cmp_ngt_f64_e64 s1, 0x41d00000, |v[0:1]|
	v_trig_preop_f64 v[14:15], |v[0:1]|, 0
	v_trig_preop_f64 v[12:13], |v[0:1]|, 1
	v_ldexp_f64 v[16:17], |v[0:1]|, 0xffffff80
	v_trig_preop_f64 v[10:11], |v[0:1]|, 2
	v_and_b32_e32 v20, 0x7fffffff, v1
	s_and_saveexec_b32 s0, s1
	s_delay_alu instid0(SALU_CYCLE_1)
	s_xor_b32 s2, exec_lo, s0
	s_cbranch_execz .LBB8_125
; %bb.124:
	v_cmp_le_f64_e64 vcc_lo, 0x7b000000, |v[0:1]|
	v_mov_b32_e32 v31, 0
	s_mov_b32 s4, 0x54442d18
	s_mov_b32 s5, 0x3ff921fb
	;; [unrolled: 1-line block ×4, first 2 shown]
	v_cndmask_b32_e32 v3, v20, v17, vcc_lo
	v_cndmask_b32_e32 v2, v0, v16, vcc_lo
	s_delay_alu instid0(VALU_DEP_1) | instskip(SKIP_1) | instid1(VALU_DEP_2)
	v_mul_f64 v[4:5], v[14:15], v[2:3]
	v_mul_f64 v[6:7], v[12:13], v[2:3]
	v_fma_f64 v[8:9], v[14:15], v[2:3], -v[4:5]
	s_delay_alu instid0(VALU_DEP_2) | instskip(NEXT) | instid1(VALU_DEP_2)
	v_fma_f64 v[29:30], v[12:13], v[2:3], -v[6:7]
	v_add_f64 v[18:19], v[6:7], v[8:9]
	s_delay_alu instid0(VALU_DEP_1) | instskip(SKIP_1) | instid1(VALU_DEP_2)
	v_add_f64 v[21:22], v[18:19], -v[6:7]
	v_add_f64 v[25:26], v[4:5], v[18:19]
	v_add_f64 v[23:24], v[18:19], -v[21:22]
	v_add_f64 v[8:9], v[8:9], -v[21:22]
	s_delay_alu instid0(VALU_DEP_3) | instskip(SKIP_1) | instid1(VALU_DEP_4)
	v_ldexp_f64 v[21:22], v[25:26], -2
	v_add_f64 v[4:5], v[25:26], -v[4:5]
	v_add_f64 v[6:7], v[6:7], -v[23:24]
	s_delay_alu instid0(VALU_DEP_3) | instskip(NEXT) | instid1(VALU_DEP_3)
	v_cmp_neq_f64_e64 vcc_lo, 0x7ff00000, |v[21:22]|
	v_add_f64 v[4:5], v[18:19], -v[4:5]
	s_delay_alu instid0(VALU_DEP_3) | instskip(SKIP_1) | instid1(VALU_DEP_1)
	v_add_f64 v[6:7], v[8:9], v[6:7]
	v_fract_f64_e32 v[8:9], v[21:22]
	v_dual_cndmask_b32 v9, 0, v9 :: v_dual_cndmask_b32 v8, 0, v8
	v_mul_f64 v[27:28], v[10:11], v[2:3]
	s_delay_alu instid0(VALU_DEP_2) | instskip(NEXT) | instid1(VALU_DEP_2)
	v_ldexp_f64 v[8:9], v[8:9], 2
	v_add_f64 v[23:24], v[27:28], v[29:30]
	v_fma_f64 v[2:3], v[10:11], v[2:3], -v[27:28]
	s_delay_alu instid0(VALU_DEP_2) | instskip(NEXT) | instid1(VALU_DEP_1)
	v_add_f64 v[18:19], v[23:24], v[6:7]
	v_add_f64 v[21:22], v[4:5], v[18:19]
	s_delay_alu instid0(VALU_DEP_1) | instskip(SKIP_1) | instid1(VALU_DEP_2)
	v_add_f64 v[25:26], v[21:22], v[8:9]
	v_add_f64 v[4:5], v[21:22], -v[4:5]
	v_cmp_gt_f64_e32 vcc_lo, 0, v[25:26]
	v_add_f64 v[25:26], v[23:24], -v[27:28]
	s_delay_alu instid0(VALU_DEP_3) | instskip(SKIP_1) | instid1(VALU_DEP_3)
	v_add_f64 v[4:5], v[18:19], -v[4:5]
	v_cndmask_b32_e64 v32, 0, 0x40100000, vcc_lo
	v_add_f64 v[36:37], v[23:24], -v[25:26]
	v_add_f64 v[25:26], v[29:30], -v[25:26]
	s_delay_alu instid0(VALU_DEP_3) | instskip(SKIP_1) | instid1(VALU_DEP_4)
	v_add_f64 v[8:9], v[8:9], v[31:32]
	v_add_f64 v[32:33], v[18:19], -v[23:24]
	v_add_f64 v[29:30], v[27:28], -v[36:37]
	s_delay_alu instid0(VALU_DEP_3) | instskip(NEXT) | instid1(VALU_DEP_3)
	v_add_f64 v[34:35], v[21:22], v[8:9]
	v_add_f64 v[38:39], v[18:19], -v[32:33]
	v_add_f64 v[6:7], v[6:7], -v[32:33]
	s_delay_alu instid0(VALU_DEP_4) | instskip(NEXT) | instid1(VALU_DEP_4)
	v_add_f64 v[25:26], v[25:26], v[29:30]
	v_cvt_i32_f64_e32 v34, v[34:35]
	s_delay_alu instid0(VALU_DEP_4) | instskip(NEXT) | instid1(VALU_DEP_2)
	v_add_f64 v[23:24], v[23:24], -v[38:39]
	v_cvt_f64_i32_e32 v[32:33], v34
	s_delay_alu instid0(VALU_DEP_2) | instskip(NEXT) | instid1(VALU_DEP_2)
	v_add_f64 v[6:7], v[6:7], v[23:24]
	v_add_f64 v[8:9], v[8:9], -v[32:33]
	s_delay_alu instid0(VALU_DEP_2) | instskip(NEXT) | instid1(VALU_DEP_2)
	v_add_f64 v[6:7], v[25:26], v[6:7]
	v_add_f64 v[23:24], v[21:22], v[8:9]
	s_delay_alu instid0(VALU_DEP_2) | instskip(NEXT) | instid1(VALU_DEP_2)
	v_add_f64 v[2:3], v[2:3], v[6:7]
	v_add_f64 v[6:7], v[23:24], -v[8:9]
	v_cmp_le_f64_e32 vcc_lo, 0.5, v[23:24]
	s_delay_alu instid0(VALU_DEP_3) | instskip(NEXT) | instid1(VALU_DEP_3)
	v_add_f64 v[2:3], v[4:5], v[2:3]
	v_add_f64 v[4:5], v[21:22], -v[6:7]
	v_cndmask_b32_e64 v32, 0, 0x3ff00000, vcc_lo
	v_add_co_ci_u32_e64 v18, s0, 0, v34, vcc_lo
	s_delay_alu instid0(VALU_DEP_3) | instskip(NEXT) | instid1(VALU_DEP_3)
	v_add_f64 v[2:3], v[2:3], v[4:5]
	v_add_f64 v[4:5], v[23:24], -v[31:32]
	s_delay_alu instid0(VALU_DEP_1) | instskip(NEXT) | instid1(VALU_DEP_1)
	v_add_f64 v[6:7], v[4:5], v[2:3]
	v_mul_f64 v[8:9], v[6:7], s[4:5]
	v_add_f64 v[4:5], v[6:7], -v[4:5]
	s_delay_alu instid0(VALU_DEP_2) | instskip(NEXT) | instid1(VALU_DEP_2)
	v_fma_f64 v[21:22], v[6:7], s[4:5], -v[8:9]
	v_add_f64 v[2:3], v[2:3], -v[4:5]
	s_delay_alu instid0(VALU_DEP_2) | instskip(NEXT) | instid1(VALU_DEP_1)
	v_fma_f64 v[4:5], v[6:7], s[6:7], v[21:22]
	v_fma_f64 v[4:5], v[2:3], s[4:5], v[4:5]
	s_delay_alu instid0(VALU_DEP_1) | instskip(NEXT) | instid1(VALU_DEP_1)
	v_add_f64 v[2:3], v[8:9], v[4:5]
	v_add_f64 v[6:7], v[2:3], -v[8:9]
	s_delay_alu instid0(VALU_DEP_1)
	v_add_f64 v[4:5], v[4:5], -v[6:7]
	s_and_not1_saveexec_b32 s0, s2
	s_cbranch_execz .LBB8_127
	s_branch .LBB8_126
.LBB8_125:
	s_and_not1_saveexec_b32 s0, s2
	s_cbranch_execz .LBB8_127
.LBB8_126:
	s_mov_b32 s4, 0x6dc9c883
	s_mov_b32 s5, 0x3fe45f30
	s_mov_b32 s7, 0xbc91a626
	v_mul_f64 v[2:3], |v[0:1]|, s[4:5]
	s_mov_b32 s4, 0x54442d18
	s_mov_b32 s5, 0xbff921fb
	;; [unrolled: 1-line block ×3, first 2 shown]
	s_delay_alu instid0(VALU_DEP_1) | instskip(NEXT) | instid1(VALU_DEP_1)
	v_rndne_f64_e32 v[6:7], v[2:3]
	v_fma_f64 v[2:3], v[6:7], s[4:5], |v[0:1]|
	v_mul_f64 v[4:5], v[6:7], s[6:7]
	s_mov_b32 s4, 0x252049c0
	s_mov_b32 s5, 0xb97b839a
	s_delay_alu instid0(VALU_DEP_2) | instskip(NEXT) | instid1(VALU_DEP_2)
	v_fma_f64 v[18:19], v[6:7], s[6:7], v[2:3]
	v_add_f64 v[8:9], v[2:3], v[4:5]
	s_mov_b32 s7, 0x3c91a626
	s_delay_alu instid0(VALU_DEP_1) | instskip(NEXT) | instid1(VALU_DEP_3)
	v_add_f64 v[2:3], v[2:3], -v[8:9]
	v_add_f64 v[8:9], v[8:9], -v[18:19]
	s_delay_alu instid0(VALU_DEP_2) | instskip(SKIP_1) | instid1(VALU_DEP_2)
	v_add_f64 v[2:3], v[2:3], v[4:5]
	v_fma_f64 v[4:5], v[6:7], s[6:7], v[4:5]
	v_add_f64 v[2:3], v[8:9], v[2:3]
	s_delay_alu instid0(VALU_DEP_1) | instskip(NEXT) | instid1(VALU_DEP_1)
	v_add_f64 v[2:3], v[2:3], -v[4:5]
	v_fma_f64 v[4:5], v[6:7], s[4:5], v[2:3]
	s_delay_alu instid0(VALU_DEP_1) | instskip(NEXT) | instid1(VALU_DEP_1)
	v_add_f64 v[2:3], v[18:19], v[4:5]
	v_add_f64 v[8:9], v[2:3], -v[18:19]
	v_cvt_i32_f64_e32 v18, v[6:7]
	s_delay_alu instid0(VALU_DEP_2)
	v_add_f64 v[4:5], v[4:5], -v[8:9]
.LBB8_127:
	s_or_b32 exec_lo, exec_lo, s0
                                        ; implicit-def: $vgpr19
                                        ; implicit-def: $vgpr6_vgpr7
                                        ; implicit-def: $vgpr8_vgpr9
	s_and_saveexec_b32 s0, s1
	s_delay_alu instid0(SALU_CYCLE_1)
	s_xor_b32 s1, exec_lo, s0
	s_cbranch_execz .LBB8_129
; %bb.128:
	v_cmp_le_f64_e64 vcc_lo, 0x7b000000, |v[0:1]|
	v_mov_b32_e32 v29, 0
	s_mov_b32 s4, 0x54442d18
	s_mov_b32 s5, 0x3ff921fb
	;; [unrolled: 1-line block ×4, first 2 shown]
	v_cndmask_b32_e32 v7, v20, v17, vcc_lo
	v_cndmask_b32_e32 v6, v0, v16, vcc_lo
	s_delay_alu instid0(VALU_DEP_1) | instskip(SKIP_1) | instid1(VALU_DEP_2)
	v_mul_f64 v[8:9], v[14:15], v[6:7]
	v_mul_f64 v[16:17], v[12:13], v[6:7]
	v_fma_f64 v[14:15], v[14:15], v[6:7], -v[8:9]
	s_delay_alu instid0(VALU_DEP_2) | instskip(NEXT) | instid1(VALU_DEP_2)
	v_fma_f64 v[12:13], v[12:13], v[6:7], -v[16:17]
	v_add_f64 v[19:20], v[16:17], v[14:15]
	s_delay_alu instid0(VALU_DEP_1) | instskip(SKIP_1) | instid1(VALU_DEP_2)
	v_add_f64 v[21:22], v[19:20], -v[16:17]
	v_add_f64 v[25:26], v[8:9], v[19:20]
	v_add_f64 v[23:24], v[19:20], -v[21:22]
	v_add_f64 v[14:15], v[14:15], -v[21:22]
	s_delay_alu instid0(VALU_DEP_3) | instskip(SKIP_1) | instid1(VALU_DEP_4)
	v_ldexp_f64 v[21:22], v[25:26], -2
	v_add_f64 v[8:9], v[25:26], -v[8:9]
	v_add_f64 v[16:17], v[16:17], -v[23:24]
	s_delay_alu instid0(VALU_DEP_3) | instskip(NEXT) | instid1(VALU_DEP_3)
	v_cmp_neq_f64_e64 vcc_lo, 0x7ff00000, |v[21:22]|
	v_add_f64 v[8:9], v[19:20], -v[8:9]
	s_delay_alu instid0(VALU_DEP_3) | instskip(SKIP_1) | instid1(VALU_DEP_1)
	v_add_f64 v[14:15], v[14:15], v[16:17]
	v_fract_f64_e32 v[16:17], v[21:22]
	v_dual_cndmask_b32 v17, 0, v17 :: v_dual_cndmask_b32 v16, 0, v16
	v_mul_f64 v[27:28], v[10:11], v[6:7]
	s_delay_alu instid0(VALU_DEP_2) | instskip(NEXT) | instid1(VALU_DEP_2)
	v_ldexp_f64 v[16:17], v[16:17], 2
	v_add_f64 v[23:24], v[27:28], v[12:13]
	v_fma_f64 v[6:7], v[10:11], v[6:7], -v[27:28]
	s_delay_alu instid0(VALU_DEP_2) | instskip(NEXT) | instid1(VALU_DEP_1)
	v_add_f64 v[19:20], v[23:24], v[14:15]
	v_add_f64 v[21:22], v[8:9], v[19:20]
	s_delay_alu instid0(VALU_DEP_1) | instskip(SKIP_1) | instid1(VALU_DEP_2)
	v_add_f64 v[25:26], v[21:22], v[16:17]
	v_add_f64 v[8:9], v[21:22], -v[8:9]
	v_cmp_gt_f64_e32 vcc_lo, 0, v[25:26]
	v_add_f64 v[25:26], v[23:24], -v[27:28]
	s_delay_alu instid0(VALU_DEP_3) | instskip(SKIP_1) | instid1(VALU_DEP_3)
	v_add_f64 v[8:9], v[19:20], -v[8:9]
	v_cndmask_b32_e64 v30, 0, 0x40100000, vcc_lo
	v_add_f64 v[34:35], v[23:24], -v[25:26]
	v_add_f64 v[12:13], v[12:13], -v[25:26]
	s_delay_alu instid0(VALU_DEP_3) | instskip(SKIP_1) | instid1(VALU_DEP_4)
	v_add_f64 v[16:17], v[16:17], v[29:30]
	v_add_f64 v[30:31], v[19:20], -v[23:24]
	v_add_f64 v[25:26], v[27:28], -v[34:35]
	s_delay_alu instid0(VALU_DEP_3) | instskip(NEXT) | instid1(VALU_DEP_3)
	v_add_f64 v[32:33], v[21:22], v[16:17]
	v_add_f64 v[36:37], v[19:20], -v[30:31]
	v_add_f64 v[14:15], v[14:15], -v[30:31]
	s_delay_alu instid0(VALU_DEP_4) | instskip(NEXT) | instid1(VALU_DEP_4)
	v_add_f64 v[12:13], v[12:13], v[25:26]
	v_cvt_i32_f64_e32 v32, v[32:33]
	s_delay_alu instid0(VALU_DEP_4) | instskip(NEXT) | instid1(VALU_DEP_2)
	v_add_f64 v[23:24], v[23:24], -v[36:37]
	v_cvt_f64_i32_e32 v[30:31], v32
	s_delay_alu instid0(VALU_DEP_2) | instskip(NEXT) | instid1(VALU_DEP_2)
	v_add_f64 v[14:15], v[14:15], v[23:24]
	v_add_f64 v[16:17], v[16:17], -v[30:31]
	s_delay_alu instid0(VALU_DEP_2) | instskip(NEXT) | instid1(VALU_DEP_2)
	v_add_f64 v[10:11], v[12:13], v[14:15]
	v_add_f64 v[12:13], v[21:22], v[16:17]
	s_delay_alu instid0(VALU_DEP_2) | instskip(NEXT) | instid1(VALU_DEP_2)
	v_add_f64 v[6:7], v[6:7], v[10:11]
	v_add_f64 v[10:11], v[12:13], -v[16:17]
	v_cmp_le_f64_e32 vcc_lo, 0.5, v[12:13]
	s_delay_alu instid0(VALU_DEP_3) | instskip(NEXT) | instid1(VALU_DEP_3)
	v_add_f64 v[6:7], v[8:9], v[6:7]
	v_add_f64 v[8:9], v[21:22], -v[10:11]
	v_cndmask_b32_e64 v30, 0, 0x3ff00000, vcc_lo
	v_add_co_ci_u32_e64 v19, s0, 0, v32, vcc_lo
	s_delay_alu instid0(VALU_DEP_3) | instskip(NEXT) | instid1(VALU_DEP_3)
	v_add_f64 v[6:7], v[6:7], v[8:9]
	v_add_f64 v[8:9], v[12:13], -v[29:30]
	s_delay_alu instid0(VALU_DEP_1) | instskip(NEXT) | instid1(VALU_DEP_1)
	v_add_f64 v[10:11], v[8:9], v[6:7]
	v_mul_f64 v[12:13], v[10:11], s[4:5]
	v_add_f64 v[8:9], v[10:11], -v[8:9]
	s_delay_alu instid0(VALU_DEP_2) | instskip(NEXT) | instid1(VALU_DEP_2)
	v_fma_f64 v[14:15], v[10:11], s[4:5], -v[12:13]
	v_add_f64 v[6:7], v[6:7], -v[8:9]
	s_delay_alu instid0(VALU_DEP_2) | instskip(NEXT) | instid1(VALU_DEP_1)
	v_fma_f64 v[8:9], v[10:11], s[6:7], v[14:15]
	v_fma_f64 v[8:9], v[6:7], s[4:5], v[8:9]
	s_delay_alu instid0(VALU_DEP_1) | instskip(NEXT) | instid1(VALU_DEP_1)
	v_add_f64 v[6:7], v[12:13], v[8:9]
	v_add_f64 v[10:11], v[6:7], -v[12:13]
	s_delay_alu instid0(VALU_DEP_1)
	v_add_f64 v[8:9], v[8:9], -v[10:11]
	s_and_not1_saveexec_b32 s0, s1
	s_cbranch_execnz .LBB8_130
	s_branch .LBB8_131
.LBB8_129:
	s_and_not1_saveexec_b32 s0, s1
	s_cbranch_execz .LBB8_131
.LBB8_130:
	s_mov_b32 s4, 0x6dc9c883
	s_mov_b32 s5, 0x3fe45f30
	;; [unrolled: 1-line block ×3, first 2 shown]
	v_mul_f64 v[6:7], |v[0:1]|, s[4:5]
	s_mov_b32 s4, 0x54442d18
	s_mov_b32 s5, 0xbff921fb
	;; [unrolled: 1-line block ×3, first 2 shown]
	s_delay_alu instid0(VALU_DEP_1) | instskip(NEXT) | instid1(VALU_DEP_1)
	v_rndne_f64_e32 v[10:11], v[6:7]
	v_fma_f64 v[6:7], v[10:11], s[4:5], |v[0:1]|
	v_mul_f64 v[8:9], v[10:11], s[6:7]
	s_mov_b32 s4, 0x252049c0
	s_mov_b32 s5, 0xb97b839a
	v_cvt_i32_f64_e32 v19, v[10:11]
	s_delay_alu instid0(VALU_DEP_3) | instskip(NEXT) | instid1(VALU_DEP_3)
	v_fma_f64 v[14:15], v[10:11], s[6:7], v[6:7]
	v_add_f64 v[12:13], v[6:7], v[8:9]
	s_mov_b32 s7, 0x3c91a626
	s_delay_alu instid0(VALU_DEP_1) | instskip(NEXT) | instid1(VALU_DEP_3)
	v_add_f64 v[6:7], v[6:7], -v[12:13]
	v_add_f64 v[12:13], v[12:13], -v[14:15]
	s_delay_alu instid0(VALU_DEP_2) | instskip(SKIP_1) | instid1(VALU_DEP_2)
	v_add_f64 v[6:7], v[6:7], v[8:9]
	v_fma_f64 v[8:9], v[10:11], s[6:7], v[8:9]
	v_add_f64 v[6:7], v[12:13], v[6:7]
	s_delay_alu instid0(VALU_DEP_1) | instskip(NEXT) | instid1(VALU_DEP_1)
	v_add_f64 v[6:7], v[6:7], -v[8:9]
	v_fma_f64 v[8:9], v[10:11], s[4:5], v[6:7]
	s_delay_alu instid0(VALU_DEP_1) | instskip(NEXT) | instid1(VALU_DEP_1)
	v_add_f64 v[6:7], v[14:15], v[8:9]
	v_add_f64 v[12:13], v[6:7], -v[14:15]
	s_delay_alu instid0(VALU_DEP_1)
	v_add_f64 v[8:9], v[8:9], -v[12:13]
.LBB8_131:
	s_or_b32 exec_lo, exec_lo, s0
	v_div_scale_f64 v[10:11], null, v[41:42], v[41:42], 0x40140000
	v_div_scale_f64 v[16:17], vcc_lo, 0x40140000, v[41:42], 0x40140000
	s_mov_b32 s0, 0x6b70ba40
	s_mov_b32 s1, 0x3faa27fa
	s_mov_b32 s4, 0x13443d69
	s_mov_b32 s5, 0x3f42b89b
	s_mov_b32 s6, 0x60895077
	s_mov_b32 s7, 0x40528f30
	v_mul_f64 v[26:27], v[2:3], v[2:3]
	v_mul_f64 v[32:33], v[6:7], v[6:7]
	s_mov_b32 s8, 0x796cde01
	s_mov_b32 s9, 0x3ec71de3
	v_mul_f64 v[70:71], v[4:5], 0.5
	v_rcp_f64_e32 v[12:13], v[10:11]
	s_delay_alu instid0(VALU_DEP_3) | instskip(SKIP_1) | instid1(VALU_DEP_4)
	v_mul_f64 v[51:52], v[26:27], 0.5
	v_mul_f64 v[72:73], v[2:3], -v[26:27]
	v_mul_f64 v[78:79], v[6:7], -v[32:33]
	s_waitcnt_depctr 0xfff
	v_fma_f64 v[14:15], -v[10:11], v[12:13], 1.0
	v_add_f64 v[53:54], -v[51:52], 1.0
	s_delay_alu instid0(VALU_DEP_2) | instskip(NEXT) | instid1(VALU_DEP_2)
	v_fma_f64 v[12:13], v[12:13], v[14:15], v[12:13]
	v_add_f64 v[74:75], -v[53:54], 1.0
	s_delay_alu instid0(VALU_DEP_2) | instskip(NEXT) | instid1(VALU_DEP_2)
	v_fma_f64 v[14:15], -v[10:11], v[12:13], 1.0
	v_add_f64 v[51:52], v[74:75], -v[51:52]
	s_delay_alu instid0(VALU_DEP_2) | instskip(NEXT) | instid1(VALU_DEP_2)
	v_fma_f64 v[12:13], v[12:13], v[14:15], v[12:13]
	v_fma_f64 v[51:52], v[2:3], -v[4:5], v[51:52]
	s_delay_alu instid0(VALU_DEP_2) | instskip(NEXT) | instid1(VALU_DEP_1)
	v_mul_f64 v[14:15], v[16:17], v[12:13]
	v_fma_f64 v[10:11], -v[10:11], v[14:15], v[16:17]
	s_delay_alu instid0(VALU_DEP_1) | instskip(NEXT) | instid1(VALU_DEP_1)
	v_div_fmas_f64 v[10:11], v[10:11], v[12:13], v[14:15]
	v_div_fixup_f64 v[10:11], v[10:11], v[41:42], 0x40140000
	s_delay_alu instid0(VALU_DEP_1) | instskip(NEXT) | instid1(VALU_DEP_1)
	v_mul_f64 v[12:13], v[10:11], v[10:11]
	v_fma_f64 v[14:15], v[12:13], 0, s[0:1]
	s_mov_b32 s0, 0x4c6c651b
	s_mov_b32 s1, 0x3f48f92c
	v_fma_f64 v[16:17], v[12:13], 0, s[4:5]
	v_fma_f64 v[20:21], v[12:13], 0, s[0:1]
	s_mov_b32 s0, 0xc66d8fd6
	s_mov_b32 s1, 0x4013edb5
	v_fma_f64 v[22:23], v[12:13], 0, s[6:7]
	s_mov_b32 s4, 0x5948aa83
	s_mov_b32 s5, 0x3fb19fdd
	s_mov_b32 s6, 0xa20e5f6f
	s_mov_b32 s7, 0x409081cb
	s_delay_alu instid0(VALU_DEP_4) | instskip(SKIP_2) | instid1(VALU_DEP_4)
	v_fma_f64 v[14:15], v[12:13], v[14:15], s[0:1]
	s_mov_b32 s0, 0xa3fec4b6
	s_mov_b32 s1, 0x3fb2b948
	v_fma_f64 v[16:17], v[12:13], v[16:17], s[4:5]
	s_delay_alu instid0(VALU_DEP_4) | instskip(SKIP_2) | instid1(VALU_DEP_4)
	v_fma_f64 v[20:21], v[12:13], v[20:21], s[0:1]
	s_mov_b32 s0, 0x9acf1c67
	s_mov_b32 s1, 0x4052f4b9
	v_fma_f64 v[22:23], v[12:13], v[22:23], s[6:7]
	s_mov_b32 s4, 0xb850eed6
	s_mov_b32 s5, 0x3ff1aea9
	s_mov_b32 s6, 0x1bfdfe81
	s_mov_b32 s7, 0x40b37a69
	s_delay_alu instid0(VALU_DEP_4) | instskip(SKIP_2) | instid1(VALU_DEP_4)
	v_fma_f64 v[14:15], v[12:13], v[14:15], s[0:1]
	s_mov_b32 s0, 0xc21596d6
	s_mov_b32 s1, 0x3ff208fe
	v_fma_f64 v[16:17], v[12:13], v[16:17], s[4:5]
	s_delay_alu instid0(VALU_DEP_4) | instskip(SKIP_2) | instid1(VALU_DEP_4)
	;; [unrolled: 14-line block ×5, first 2 shown]
	v_fma_f64 v[20:21], v[12:13], v[20:21], s[0:1]
	s_mov_b32 s0, 0x4c54bb0b
	s_mov_b32 s1, 0x406a760a
	v_fma_f64 v[22:23], v[12:13], v[22:23], s[6:7]
	s_mov_b32 s4, 0x4d159eb5
	s_mov_b32 s5, 0x403934ff
	s_mov_b32 s6, 0x46cc5e42
	s_mov_b32 s7, 0xbda907db
	s_delay_alu instid0(VALU_DEP_4) | instskip(SKIP_2) | instid1(VALU_DEP_4)
	v_fma_f64 v[14:15], v[12:13], v[14:15], s[0:1]
	s_mov_b32 s0, 0x6ae75997
	s_mov_b32 s1, 0x4075017f
	v_fma_f64 v[16:17], v[12:13], v[16:17], 1.0
	s_delay_alu instid0(VALU_DEP_4) | instskip(NEXT) | instid1(VALU_DEP_4)
	v_fma_f64 v[20:21], v[12:13], v[20:21], 1.0
	v_fma_f64 v[22:23], v[12:13], v[22:23], s[0:1]
	s_mov_b32 s0, 0xb42fdfa7
	s_mov_b32 s1, 0xbe5ae600
	s_delay_alu instid0(VALU_DEP_4) | instskip(SKIP_2) | instid1(VALU_DEP_3)
	v_fma_f64 v[12:13], v[12:13], v[14:15], s[4:5]
	s_mov_b32 s4, 0xf9a43bb8
	s_mov_b32 s5, 0x3de5e0b2
	v_div_scale_f64 v[14:15], null, v[16:17], v[16:17], v[20:21]
	v_fma_f64 v[34:35], v[26:27], s[4:5], s[0:1]
	v_fma_f64 v[47:48], v[32:33], s[4:5], s[0:1]
	v_cmp_gt_f64_e64 s0, 0x10000000, v[41:42]
	s_mov_b32 s4, 0x9037ab78
	s_mov_b32 s5, 0x3e21eeb6
	v_div_scale_f64 v[76:77], vcc_lo, v[20:21], v[16:17], v[20:21]
	v_fma_f64 v[49:50], v[26:27], s[6:7], s[4:5]
	v_div_scale_f64 v[24:25], null, v[22:23], v[22:23], v[12:13]
	v_rcp_f64_e32 v[28:29], v[14:15]
	v_fma_f64 v[34:35], v[26:27], v[34:35], s[8:9]
	s_delay_alu instid0(VALU_DEP_2) | instskip(SKIP_3) | instid1(VALU_DEP_2)
	v_rcp_f64_e32 v[30:31], v[24:25]
	s_waitcnt_depctr 0xfff
	v_fma_f64 v[36:37], -v[14:15], v[28:29], 1.0
	v_fma_f64 v[38:39], -v[24:25], v[30:31], 1.0
	v_fma_f64 v[28:29], v[28:29], v[36:37], v[28:29]
	v_fma_f64 v[36:37], v[32:33], v[47:48], s[8:9]
	;; [unrolled: 1-line block ×3, first 2 shown]
	s_mov_b32 s6, 0x19e83e5c
	s_mov_b32 s7, 0xbf2a01a0
	;; [unrolled: 1-line block ×3, first 2 shown]
	v_fma_f64 v[34:35], v[26:27], v[34:35], s[6:7]
	s_mov_b32 s5, 0xbe927e4f
	s_delay_alu instid0(SALU_CYCLE_1) | instskip(SKIP_4) | instid1(VALU_DEP_3)
	v_fma_f64 v[49:50], v[26:27], v[49:50], s[4:5]
	v_fma_f64 v[30:31], v[30:31], v[38:39], v[30:31]
	v_cndmask_b32_e64 v38, 0, 1, s0
	v_fma_f64 v[55:56], -v[14:15], v[28:29], 1.0
	v_fma_f64 v[36:37], v[32:33], v[36:37], s[6:7]
	v_lshlrev_b32_e32 v40, 8, v38
	v_mul_f64 v[38:39], v[32:33], 0.5
	v_fma_f64 v[47:48], v[32:33], v[47:48], s[4:5]
	s_mov_b32 s6, 0x11110bb3
	s_mov_b32 s7, 0x3f811111
	v_ldexp_f64 v[40:41], v[41:42], v40
	v_fma_f64 v[34:35], v[26:27], v[34:35], s[6:7]
	s_mov_b32 s4, 0x19f4ec90
	s_mov_b32 s5, 0x3efa01a0
	s_delay_alu instid0(SALU_CYCLE_1)
	v_fma_f64 v[49:50], v[26:27], v[49:50], s[4:5]
	v_fma_f64 v[64:65], -v[24:25], v[30:31], 1.0
	v_fma_f64 v[28:29], v[28:29], v[55:56], v[28:29]
	v_div_scale_f64 v[55:56], s1, v[12:13], v[22:23], v[12:13]
	v_add_f64 v[66:67], -v[38:39], 1.0
	v_fma_f64 v[36:37], v[32:33], v[36:37], s[6:7]
	v_fma_f64 v[47:48], v[32:33], v[47:48], s[4:5]
	s_mov_b32 s4, 0x16c16967
	v_rsq_f64_e32 v[68:69], v[40:41]
	v_fma_f64 v[34:35], v[72:73], v[34:35], v[70:71]
	s_mov_b32 s5, 0xbf56c16c
	s_delay_alu instid0(SALU_CYCLE_1)
	v_fma_f64 v[49:50], v[26:27], v[49:50], s[4:5]
	v_fma_f64 v[30:31], v[30:31], v[64:65], v[30:31]
	v_mul_f64 v[64:65], v[8:9], 0.5
	v_mul_f64 v[70:71], v[76:77], v[28:29]
	v_add_f64 v[80:81], -v[66:67], 1.0
	v_fma_f64 v[47:48], v[32:33], v[47:48], s[4:5]
	s_mov_b32 s4, 0x55555555
	s_mov_b32 s5, 0x3fa55555
	v_fma_f64 v[4:5], v[26:27], v[34:35], -v[4:5]
	s_delay_alu instid0(TRANS32_DEP_1)
	v_mul_f64 v[82:83], v[40:41], v[68:69]
	v_mul_f64 v[68:69], v[68:69], 0.5
	v_mul_f64 v[34:35], v[32:33], v[32:33]
	v_fma_f64 v[49:50], v[26:27], v[49:50], s[4:5]
	v_mul_f64 v[74:75], v[55:56], v[30:31]
	v_fma_f64 v[36:37], v[78:79], v[36:37], v[64:65]
	v_mul_f64 v[64:65], v[26:27], v[26:27]
	v_fma_f64 v[14:15], -v[14:15], v[70:71], v[76:77]
	v_add_f64 v[38:39], v[80:81], -v[38:39]
	v_fma_f64 v[80:81], -v[68:69], v[82:83], 0.5
	v_fma_f64 v[24:25], -v[24:25], v[74:75], v[55:56]
	v_fma_f64 v[26:27], v[32:33], v[36:37], -v[8:9]
	v_fma_f64 v[32:33], v[32:33], v[47:48], s[4:5]
	s_mov_b32 s5, 0xbfc55555
	v_div_fmas_f64 v[14:15], v[14:15], v[28:29], v[70:71]
	s_mov_b32 vcc_lo, s1
	v_fma_f64 v[4:5], v[72:73], s[4:5], v[4:5]
	v_fma_f64 v[8:9], v[6:7], -v[8:9], v[38:39]
	v_fma_f64 v[38:39], v[64:65], v[49:50], v[51:52]
	v_cmp_class_f64_e64 s1, v[0:1], 0x1f8
	v_and_b32_e32 v0, 1, v19
	v_fma_f64 v[36:37], v[82:83], v[80:81], v[82:83]
	v_fma_f64 v[28:29], v[68:69], v[80:81], v[68:69]
	s_delay_alu instid0(VALU_DEP_3)
	v_cmp_eq_u32_e64 s2, 0, v0
	v_div_fmas_f64 v[24:25], v[24:25], v[30:31], v[74:75]
	v_fma_f64 v[26:27], v[78:79], s[4:5], v[26:27]
	v_add_f64 v[2:3], v[2:3], -v[4:5]
	v_fma_f64 v[8:9], v[34:35], v[32:33], v[8:9]
	v_add_f64 v[32:33], v[53:54], v[38:39]
	v_fma_f64 v[30:31], -v[36:37], v[36:37], v[40:41]
	v_div_fixup_f64 v[4:5], v[24:25], v[22:23], v[12:13]
	v_add_f64 v[6:7], v[6:7], -v[26:27]
	v_and_b32_e32 v22, 1, v18
	v_add_f64 v[8:9], v[66:67], v[8:9]
	s_delay_alu instid0(VALU_DEP_2)
	v_cmp_eq_u32_e32 vcc_lo, 0, v22
	v_cndmask_b32_e32 v2, v32, v2, vcc_lo
	v_fma_f64 v[12:13], v[30:31], v[28:29], v[36:37]
	v_mul_f64 v[4:5], v[10:11], v[4:5]
	v_lshlrev_b32_e32 v10, 30, v19
	v_xor_b32_e32 v7, 0x80000000, v7
	s_delay_alu instid0(VALU_DEP_2) | instskip(SKIP_1) | instid1(VALU_DEP_3)
	v_and_b32_e32 v0, 0x80000000, v10
	v_cndmask_b32_e64 v8, v6, v8, s2
	v_cndmask_b32_e64 v6, v7, v9, s2
	v_div_fixup_f64 v[10:11], v[14:15], v[16:17], v[20:21]
	s_delay_alu instid0(VALU_DEP_3) | instskip(NEXT) | instid1(VALU_DEP_3)
	v_cndmask_b32_e64 v8, 0, v8, s1
	v_xor_b32_e32 v9, v6, v0
	v_fma_f64 v[6:7], -v[12:13], v[12:13], v[40:41]
	v_cndmask_b32_e64 v0, 0, v2, s1
	v_lshlrev_b32_e32 v2, 30, v18
	s_delay_alu instid0(VALU_DEP_4) | instskip(NEXT) | instid1(VALU_DEP_2)
	v_cndmask_b32_e64 v9, 0x7ff80000, v9, s1
	v_xor_b32_e32 v1, v2, v1
	v_cndmask_b32_e32 v2, v33, v3, vcc_lo
	v_cmp_class_f64_e64 vcc_lo, v[40:41], 0x260
	s_delay_alu instid0(VALU_DEP_3) | instskip(NEXT) | instid1(VALU_DEP_1)
	v_and_b32_e32 v1, 0x80000000, v1
	v_xor_b32_e32 v1, v2, v1
	s_delay_alu instid0(VALU_DEP_1) | instskip(SKIP_2) | instid1(VALU_DEP_2)
	v_cndmask_b32_e64 v1, 0x7ff80000, v1, s1
	v_mul_f64 v[4:5], v[4:5], v[8:9]
	v_fma_f64 v[2:3], v[6:7], v[28:29], v[12:13]
	v_fma_f64 v[0:1], v[10:11], v[0:1], v[4:5]
	v_cndmask_b32_e64 v4, 0, 0xffffff80, s0
	s_mov_b32 s0, 0x33d43651
	s_mov_b32 s1, 0x3fe98845
	s_delay_alu instid0(VALU_DEP_1) | instskip(NEXT) | instid1(VALU_DEP_3)
	v_ldexp_f64 v[2:3], v[2:3], v4
	v_mul_f64 v[0:1], v[0:1], s[0:1]
	s_delay_alu instid0(VALU_DEP_2) | instskip(NEXT) | instid1(VALU_DEP_1)
	v_dual_cndmask_b32 v3, v3, v41 :: v_dual_cndmask_b32 v2, v2, v40
	v_div_scale_f64 v[4:5], null, v[2:3], v[2:3], v[0:1]
	s_delay_alu instid0(VALU_DEP_1) | instskip(SKIP_2) | instid1(VALU_DEP_1)
	v_rcp_f64_e32 v[6:7], v[4:5]
	s_waitcnt_depctr 0xfff
	v_fma_f64 v[8:9], -v[4:5], v[6:7], 1.0
	v_fma_f64 v[6:7], v[6:7], v[8:9], v[6:7]
	s_delay_alu instid0(VALU_DEP_1) | instskip(NEXT) | instid1(VALU_DEP_1)
	v_fma_f64 v[8:9], -v[4:5], v[6:7], 1.0
	v_fma_f64 v[6:7], v[6:7], v[8:9], v[6:7]
	v_div_scale_f64 v[8:9], vcc_lo, v[0:1], v[2:3], v[0:1]
	s_delay_alu instid0(VALU_DEP_1) | instskip(NEXT) | instid1(VALU_DEP_1)
	v_mul_f64 v[10:11], v[8:9], v[6:7]
	v_fma_f64 v[4:5], -v[4:5], v[10:11], v[8:9]
	s_delay_alu instid0(VALU_DEP_1) | instskip(NEXT) | instid1(VALU_DEP_1)
	v_div_fmas_f64 v[4:5], v[4:5], v[6:7], v[10:11]
	v_div_fixup_f64 v[0:1], v[4:5], v[2:3], v[0:1]
.LBB8_132:
	s_or_b32 exec_lo, exec_lo, s3
	s_clause 0x3
	global_store_b64 v43, v[57:58], s[36:37]
	global_store_b64 v44, v[60:61], s[36:37]
	;; [unrolled: 1-line block ×4, first 2 shown]
	s_endpgm
.LBB8_133:
	v_dual_mov_b32 v1, v45 :: v_dual_mov_b32 v0, 0
.LBB8_134:
	s_and_b32 s8, s8, 3
	s_delay_alu instid0(SALU_CYCLE_1)
	s_cmp_eq_u32 s8, 0
	s_cbranch_scc1 .LBB8_137
; %bb.135:
	s_lshl_b32 s2, s7, 3
	s_mul_i32 s4, s7, 12
	s_add_u32 s2, s2, s0
	s_addc_u32 s3, s1, 0
	s_add_u32 s2, s2, 0xc4
	s_addc_u32 s3, s3, 0
	s_add_u32 s4, s0, s4
	s_addc_u32 s5, s1, 0
	.p2align	6
.LBB8_136:                              ; =>This Inner Loop Header: Depth=1
	s_clause 0x1
	s_load_b64 s[10:11], s[4:5], 0x4
	s_load_b32 s7, s[4:5], 0xc
	s_load_b64 s[12:13], s[2:3], 0x0
	s_add_u32 s4, s4, 12
	s_addc_u32 s5, s5, 0
	s_add_u32 s2, s2, 8
	s_addc_u32 s3, s3, 0
	s_add_i32 s8, s8, -1
	s_delay_alu instid0(SALU_CYCLE_1) | instskip(SKIP_2) | instid1(VALU_DEP_1)
	s_cmp_lg_u32 s8, 0
	s_waitcnt lgkmcnt(0)
	v_mul_hi_u32 v2, s11, v1
	v_add_nc_u32_e32 v2, v1, v2
	s_delay_alu instid0(VALU_DEP_1) | instskip(NEXT) | instid1(VALU_DEP_1)
	v_lshrrev_b32_e32 v5, s7, v2
	v_mul_lo_u32 v2, v5, s10
	s_delay_alu instid0(VALU_DEP_1) | instskip(NEXT) | instid1(VALU_DEP_1)
	v_sub_nc_u32_e32 v1, v1, v2
	v_mad_u64_u32 v[2:3], null, v1, s12, v[43:44]
	v_mad_u64_u32 v[3:4], null, v1, s13, v[0:1]
	v_mov_b32_e32 v1, v5
	s_delay_alu instid0(VALU_DEP_2)
	v_dual_mov_b32 v43, v2 :: v_dual_mov_b32 v0, v3
	s_cbranch_scc1 .LBB8_136
.LBB8_137:
	s_and_not1_b32 vcc_lo, exec_lo, s6
	s_cbranch_vccnz .LBB8_140
; %bb.138:
	s_waitcnt lgkmcnt(0)
	v_mul_hi_u32 v0, s45, v45
	s_and_not1_b32 vcc_lo, exec_lo, s57
	s_delay_alu instid0(VALU_DEP_1) | instskip(NEXT) | instid1(VALU_DEP_1)
	v_add_nc_u32_e32 v0, v45, v0
	v_lshrrev_b32_e32 v1, s46, v0
	s_delay_alu instid0(VALU_DEP_1) | instskip(NEXT) | instid1(VALU_DEP_1)
	v_mul_lo_u32 v0, v1, s44
	v_sub_nc_u32_e32 v0, v45, v0
	s_delay_alu instid0(VALU_DEP_1)
	v_mul_lo_u32 v43, v0, s40
	v_mul_lo_u32 v0, v0, s41
	s_cbranch_vccnz .LBB8_140
; %bb.139:
	v_mul_hi_u32 v2, s48, v1
	s_delay_alu instid0(VALU_DEP_1) | instskip(NEXT) | instid1(VALU_DEP_1)
	v_add_nc_u32_e32 v2, v1, v2
	v_lshrrev_b32_e32 v2, s49, v2
	s_delay_alu instid0(VALU_DEP_1) | instskip(NEXT) | instid1(VALU_DEP_1)
	v_mul_lo_u32 v2, v2, s47
	v_sub_nc_u32_e32 v4, v1, v2
	s_delay_alu instid0(VALU_DEP_1) | instskip(NEXT) | instid1(VALU_DEP_1)
	v_mad_u64_u32 v[1:2], null, v4, s42, v[43:44]
	v_mad_u64_u32 v[2:3], null, v4, s43, v[0:1]
	s_delay_alu instid0(VALU_DEP_1)
	v_dual_mov_b32 v43, v1 :: v_dual_mov_b32 v0, v2
.LBB8_140:
	s_waitcnt lgkmcnt(0)
	global_load_b64 v[41:42], v0, s[38:39]
                                        ; implicit-def: $vgpr0_vgpr1
	s_mov_b32 s2, exec_lo
	s_waitcnt vmcnt(0)
	v_cmpx_ge_f64_e32 0x40140000, v[41:42]
	s_xor_b32 s62, exec_lo, s2
	s_cbranch_execz .LBB8_146
; %bb.141:
	v_mov_b32_e32 v0, 0
	v_mov_b32_e32 v1, 0xfff00000
	s_mov_b32 s63, exec_lo
	v_cmpx_neq_f64_e32 0, v[41:42]
	s_cbranch_execz .LBB8_145
; %bb.142:
	v_mov_b32_e32 v0, 0
	v_mov_b32_e32 v1, 0x7ff80000
	s_mov_b32 s64, exec_lo
	v_cmpx_nge_f64_e32 0, v[41:42]
	s_cbranch_execz .LBB8_144
; %bb.143:
	v_mul_f64 v[0:1], v[41:42], v[41:42]
	s_mov_b32 s2, 0xa93f7ac2
	s_mov_b32 s3, 0x40829269
	;; [unrolled: 1-line block ×4, first 2 shown]
	s_mov_b64 s[52:53], s[0:1]
	s_delay_alu instid0(VALU_DEP_1)
	v_fma_f64 v[2:3], v[0:1], 0, s[2:3]
	s_mov_b32 s2, 0xbe58ef7f
	s_mov_b32 s3, 0x410cc160
	s_delay_alu instid0(VALU_DEP_1) | instid1(SALU_CYCLE_1)
	v_fma_f64 v[2:3], v[0:1], v[2:3], s[2:3]
	s_mov_b32 s2, 0x62f9b6c5
	s_mov_b32 s3, 0x41d2d2be
	s_delay_alu instid0(SALU_CYCLE_1) | instskip(SKIP_2) | instid1(VALU_DEP_2)
	v_fma_f64 v[4:5], v[0:1], 0, s[2:3]
	s_mov_b32 s2, 0x58836521
	s_mov_b32 s3, 0xc262d72d
	v_fma_f64 v[2:3], v[0:1], v[2:3], s[4:5]
	s_mov_b32 s4, 0x906b7b83
	s_mov_b32 s5, 0x421178c3
	s_delay_alu instid0(VALU_DEP_2) | instskip(SKIP_2) | instid1(VALU_DEP_2)
	v_fma_f64 v[4:5], v[0:1], v[4:5], s[2:3]
	s_mov_b32 s2, 0xb0910fef
	s_mov_b32 s3, 0x42da0954
	v_fma_f64 v[2:3], v[0:1], v[2:3], s[4:5]
	s_mov_b32 s4, 0xfda99316
	s_mov_b32 s5, 0x428c3f5e
	s_delay_alu instid0(VALU_DEP_2) | instskip(SKIP_2) | instid1(VALU_DEP_2)
	;; [unrolled: 7-line block ×4, first 2 shown]
	v_fma_f64 v[4:5], v[0:1], v[4:5], s[2:3]
	s_mov_b32 s2, 0x5dde2b17
	s_mov_b32 s3, 0xc3a59e41
	v_fma_f64 v[2:3], v[0:1], v[2:3], s[4:5]
	s_mov_b32 s4, 0x90f6747f
	s_mov_b32 s5, 0x43cb90f1
	s_delay_alu instid0(VALU_DEP_2) | instskip(SKIP_3) | instid1(VALU_DEP_2)
	v_fma_f64 v[4:5], v[0:1], v[4:5], s[2:3]
	s_getpc_b64 s[2:3]
	s_add_u32 s2, s2, _Z17bessel_j1_forwardIdET_S0_@rel32@lo+4
	s_addc_u32 s3, s3, _Z17bessel_j1_forwardIdET_S0_@rel32@hi+12
	v_fma_f64 v[0:1], v[0:1], v[2:3], s[4:5]
	s_delay_alu instid0(VALU_DEP_1) | instskip(NEXT) | instid1(VALU_DEP_1)
	v_div_scale_f64 v[2:3], null, v[0:1], v[0:1], v[4:5]
	v_rcp_f64_e32 v[6:7], v[2:3]
	s_waitcnt_depctr 0xfff
	v_fma_f64 v[8:9], -v[2:3], v[6:7], 1.0
	s_delay_alu instid0(VALU_DEP_1) | instskip(NEXT) | instid1(VALU_DEP_1)
	v_fma_f64 v[6:7], v[6:7], v[8:9], v[6:7]
	v_fma_f64 v[8:9], -v[2:3], v[6:7], 1.0
	s_delay_alu instid0(VALU_DEP_1) | instskip(SKIP_1) | instid1(VALU_DEP_1)
	v_fma_f64 v[6:7], v[6:7], v[8:9], v[6:7]
	v_div_scale_f64 v[8:9], vcc_lo, v[4:5], v[0:1], v[4:5]
	v_mul_f64 v[10:11], v[8:9], v[6:7]
	s_delay_alu instid0(VALU_DEP_1) | instskip(NEXT) | instid1(VALU_DEP_1)
	v_fma_f64 v[2:3], -v[2:3], v[10:11], v[8:9]
	v_div_fmas_f64 v[2:3], v[2:3], v[6:7], v[10:11]
	s_delay_alu instid0(VALU_DEP_1)
	v_div_fixup_f64 v[46:47], v[2:3], v[0:1], v[4:5]
	v_dual_mov_b32 v0, v41 :: v_dual_mov_b32 v1, v42
	s_swappc_b64 s[30:31], s[2:3]
	v_frexp_mant_f64_e32 v[2:3], v[41:42]
	s_mov_b32 s3, 0x3fe55555
	s_mov_b32 s2, 0x55555555
	v_mov_b32_e32 v4, 0
	s_mov_b32 s4, 0x6b47b09a
	s_mov_b32 s6, 0xbf559e2b
	;; [unrolled: 1-line block ×4, first 2 shown]
	v_div_scale_f64 v[18:19], null, v[41:42], v[41:42], -1.0
	s_mov_b64 s[0:1], s[52:53]
	s_delay_alu instid0(VALU_DEP_3) | instskip(SKIP_1) | instid1(VALU_DEP_2)
	v_cmp_gt_f64_e32 vcc_lo, s[2:3], v[2:3]
	s_mov_b32 s2, 0x55555780
	v_rcp_f64_e32 v[22:23], v[18:19]
	v_cndmask_b32_e64 v5, 0x3ff00000, 2.0, vcc_lo
	s_delay_alu instid0(VALU_DEP_1) | instskip(NEXT) | instid1(VALU_DEP_1)
	v_mul_f64 v[2:3], v[2:3], v[4:5]
	v_add_f64 v[4:5], v[2:3], 1.0
	v_add_f64 v[10:11], v[2:3], -1.0
	s_delay_alu instid0(VALU_DEP_2) | instskip(SKIP_1) | instid1(VALU_DEP_1)
	v_rcp_f64_e32 v[6:7], v[4:5]
	v_add_f64 v[12:13], v[4:5], -1.0
	v_add_f64 v[2:3], v[2:3], -v[12:13]
	s_waitcnt_depctr 0xfff
	v_fma_f64 v[8:9], -v[4:5], v[6:7], 1.0
	s_delay_alu instid0(VALU_DEP_1) | instskip(NEXT) | instid1(VALU_DEP_1)
	v_fma_f64 v[6:7], v[8:9], v[6:7], v[6:7]
	v_fma_f64 v[8:9], -v[4:5], v[6:7], 1.0
	s_delay_alu instid0(VALU_DEP_1) | instskip(NEXT) | instid1(VALU_DEP_1)
	v_fma_f64 v[6:7], v[8:9], v[6:7], v[6:7]
	v_mul_f64 v[8:9], v[10:11], v[6:7]
	s_delay_alu instid0(VALU_DEP_1) | instskip(NEXT) | instid1(VALU_DEP_1)
	v_mul_f64 v[14:15], v[4:5], v[8:9]
	v_fma_f64 v[4:5], v[8:9], v[4:5], -v[14:15]
	s_delay_alu instid0(VALU_DEP_1) | instskip(NEXT) | instid1(VALU_DEP_1)
	v_fma_f64 v[2:3], v[8:9], v[2:3], v[4:5]
	v_add_f64 v[4:5], v[14:15], v[2:3]
	s_delay_alu instid0(VALU_DEP_1) | instskip(SKIP_1) | instid1(VALU_DEP_2)
	v_add_f64 v[12:13], v[10:11], -v[4:5]
	v_add_f64 v[14:15], v[4:5], -v[14:15]
	;; [unrolled: 1-line block ×3, first 2 shown]
	s_delay_alu instid0(VALU_DEP_2) | instskip(SKIP_1) | instid1(VALU_DEP_3)
	v_add_f64 v[2:3], v[14:15], -v[2:3]
	v_frexp_exp_i32_f64_e32 v14, v[41:42]
	v_add_f64 v[4:5], v[10:11], -v[4:5]
	s_delay_alu instid0(VALU_DEP_1) | instskip(NEXT) | instid1(VALU_DEP_1)
	v_add_f64 v[2:3], v[2:3], v[4:5]
	v_add_f64 v[2:3], v[12:13], v[2:3]
	s_delay_alu instid0(VALU_DEP_1) | instskip(NEXT) | instid1(VALU_DEP_1)
	v_mul_f64 v[2:3], v[6:7], v[2:3]
	v_add_f64 v[4:5], v[8:9], v[2:3]
	s_delay_alu instid0(VALU_DEP_1) | instskip(NEXT) | instid1(VALU_DEP_1)
	v_mul_f64 v[6:7], v[4:5], v[4:5]
	v_fma_f64 v[10:11], v[6:7], s[6:7], s[4:5]
	s_mov_b32 s4, 0xd7f4df2e
	s_mov_b32 s5, 0x3fc7474d
	v_mul_f64 v[12:13], v[4:5], v[6:7]
	s_delay_alu instid0(VALU_DEP_2)
	v_fma_f64 v[10:11], v[6:7], v[10:11], s[4:5]
	s_mov_b32 s4, 0x16291751
	s_mov_b32 s5, 0x3fcc71c0
	s_delay_alu instid0(VALU_DEP_1) | instid1(SALU_CYCLE_1)
	v_fma_f64 v[10:11], v[6:7], v[10:11], s[4:5]
	s_mov_b32 s4, 0x9b27acf1
	s_mov_b32 s5, 0x3fd24924
	s_delay_alu instid0(VALU_DEP_1) | instid1(SALU_CYCLE_1)
	;; [unrolled: 4-line block ×3, first 2 shown]
	v_fma_f64 v[10:11], v[6:7], v[10:11], s[4:5]
	s_delay_alu instid0(VALU_DEP_1) | instskip(SKIP_4) | instid1(VALU_DEP_3)
	v_fma_f64 v[6:7], v[6:7], v[10:11], s[2:3]
	v_ldexp_f64 v[10:11], v[4:5], 1
	v_add_f64 v[4:5], v[4:5], -v[8:9]
	s_mov_b32 s2, 0xfefa39ef
	s_mov_b32 s3, 0x3fe62e42
	v_mul_f64 v[6:7], v[12:13], v[6:7]
	v_subrev_co_ci_u32_e32 v12, vcc_lo, 0, v14, vcc_lo
	s_delay_alu instid0(VALU_DEP_3) | instskip(NEXT) | instid1(VALU_DEP_2)
	v_add_f64 v[2:3], v[2:3], -v[4:5]
	v_cvt_f64_i32_e32 v[12:13], v12
	s_delay_alu instid0(VALU_DEP_4) | instskip(NEXT) | instid1(VALU_DEP_3)
	v_add_f64 v[8:9], v[10:11], v[6:7]
	v_ldexp_f64 v[2:3], v[2:3], 1
	s_delay_alu instid0(VALU_DEP_3) | instskip(NEXT) | instid1(VALU_DEP_3)
	v_mul_f64 v[14:15], v[12:13], s[2:3]
	v_add_f64 v[4:5], v[8:9], -v[10:11]
	s_delay_alu instid0(VALU_DEP_2) | instskip(SKIP_2) | instid1(VALU_DEP_2)
	v_fma_f64 v[10:11], v[12:13], s[2:3], -v[14:15]
	s_mov_b32 s2, 0x3b39803f
	s_mov_b32 s3, 0x3c7abc9e
	v_add_f64 v[4:5], v[6:7], -v[4:5]
	s_delay_alu instid0(VALU_DEP_2) | instskip(SKIP_2) | instid1(VALU_DEP_2)
	v_fma_f64 v[6:7], v[12:13], s[2:3], v[10:11]
	s_mov_b32 s2, 0x6dc9c883
	s_mov_b32 s3, 0x3fe45f30
	v_add_f64 v[2:3], v[2:3], v[4:5]
	s_delay_alu instid0(VALU_DEP_2) | instskip(NEXT) | instid1(VALU_DEP_2)
	v_add_f64 v[4:5], v[14:15], v[6:7]
	v_add_f64 v[10:11], v[8:9], v[2:3]
	s_delay_alu instid0(VALU_DEP_2) | instskip(NEXT) | instid1(VALU_DEP_2)
	v_add_f64 v[14:15], v[4:5], -v[14:15]
	v_add_f64 v[12:13], v[4:5], v[10:11]
	v_add_f64 v[8:9], v[10:11], -v[8:9]
	s_delay_alu instid0(VALU_DEP_3) | instskip(NEXT) | instid1(VALU_DEP_3)
	v_add_f64 v[6:7], v[6:7], -v[14:15]
	v_add_f64 v[16:17], v[12:13], -v[4:5]
	s_delay_alu instid0(VALU_DEP_3) | instskip(NEXT) | instid1(VALU_DEP_2)
	v_add_f64 v[2:3], v[2:3], -v[8:9]
	v_add_f64 v[20:21], v[12:13], -v[16:17]
	;; [unrolled: 1-line block ×3, first 2 shown]
	v_fma_f64 v[10:11], -v[18:19], v[22:23], 1.0
	s_delay_alu instid0(VALU_DEP_4) | instskip(NEXT) | instid1(VALU_DEP_4)
	v_add_f64 v[14:15], v[6:7], v[2:3]
	v_add_f64 v[4:5], v[4:5], -v[20:21]
	s_delay_alu instid0(VALU_DEP_1) | instskip(NEXT) | instid1(VALU_DEP_4)
	v_add_f64 v[4:5], v[8:9], v[4:5]
	v_fma_f64 v[8:9], v[22:23], v[10:11], v[22:23]
	s_delay_alu instid0(VALU_DEP_4) | instskip(SKIP_1) | instid1(VALU_DEP_4)
	v_add_f64 v[10:11], v[14:15], -v[6:7]
	v_div_scale_f64 v[22:23], vcc_lo, -1.0, v[41:42], -1.0
	v_add_f64 v[4:5], v[14:15], v[4:5]
	s_delay_alu instid0(VALU_DEP_4) | instskip(NEXT) | instid1(VALU_DEP_4)
	v_fma_f64 v[16:17], -v[18:19], v[8:9], 1.0
	v_add_f64 v[14:15], v[14:15], -v[10:11]
	v_add_f64 v[2:3], v[2:3], -v[10:11]
	s_delay_alu instid0(VALU_DEP_4) | instskip(NEXT) | instid1(VALU_DEP_4)
	v_add_f64 v[20:21], v[12:13], v[4:5]
	v_fma_f64 v[8:9], v[8:9], v[16:17], v[8:9]
	s_delay_alu instid0(VALU_DEP_4) | instskip(NEXT) | instid1(VALU_DEP_3)
	v_add_f64 v[6:7], v[6:7], -v[14:15]
	v_add_f64 v[10:11], v[20:21], -v[12:13]
	s_delay_alu instid0(VALU_DEP_3) | instskip(NEXT) | instid1(VALU_DEP_3)
	v_mul_f64 v[12:13], v[22:23], v[8:9]
	v_add_f64 v[2:3], v[2:3], v[6:7]
	s_delay_alu instid0(VALU_DEP_3) | instskip(NEXT) | instid1(VALU_DEP_3)
	v_add_f64 v[4:5], v[4:5], -v[10:11]
	v_fma_f64 v[6:7], -v[18:19], v[12:13], v[22:23]
	s_delay_alu instid0(VALU_DEP_2) | instskip(NEXT) | instid1(VALU_DEP_2)
	v_add_f64 v[2:3], v[2:3], v[4:5]
	v_div_fmas_f64 v[4:5], v[6:7], v[8:9], v[12:13]
	s_delay_alu instid0(VALU_DEP_2) | instskip(NEXT) | instid1(VALU_DEP_2)
	v_add_f64 v[2:3], v[20:21], v[2:3]
	v_div_fixup_f64 v[4:5], v[4:5], v[41:42], -1.0
	s_delay_alu instid0(VALU_DEP_1) | instskip(NEXT) | instid1(VALU_DEP_1)
	v_fma_f64 v[0:1], v[2:3], v[0:1], v[4:5]
	v_mul_f64 v[0:1], v[0:1], s[2:3]
	s_delay_alu instid0(VALU_DEP_1)
	v_fma_f64 v[0:1], v[41:42], v[46:47], v[0:1]
.LBB8_144:
	s_or_b32 exec_lo, exec_lo, s64
.LBB8_145:
	s_delay_alu instid0(SALU_CYCLE_1)
	s_or_b32 exec_lo, exec_lo, s63
                                        ; implicit-def: $vgpr41_vgpr42
.LBB8_146:
	s_and_not1_saveexec_b32 s5, s62
	s_cbranch_execz .LBB8_156
; %bb.147:
	s_mov_b32 s2, 0x7f3321d2
	s_mov_b32 s3, 0xc002d97c
                                        ; implicit-def: $vgpr10
                                        ; implicit-def: $vgpr2_vgpr3
                                        ; implicit-def: $vgpr4_vgpr5
	s_delay_alu instid0(SALU_CYCLE_1) | instskip(NEXT) | instid1(VALU_DEP_1)
	v_add_f64 v[0:1], v[41:42], s[2:3]
	v_cmp_ngt_f64_e64 s3, 0x41d00000, |v[0:1]|
	s_delay_alu instid0(VALU_DEP_1) | instskip(NEXT) | instid1(SALU_CYCLE_1)
	s_and_saveexec_b32 s2, s3
	s_xor_b32 s4, exec_lo, s2
	s_cbranch_execz .LBB8_149
; %bb.148:
	v_ldexp_f64 v[2:3], |v[0:1]|, 0xffffff80
	v_cmp_le_f64_e64 vcc_lo, 0x7b000000, |v[0:1]|
	v_trig_preop_f64 v[4:5], |v[0:1]|, 0
	v_and_b32_e32 v6, 0x7fffffff, v1
	v_trig_preop_f64 v[16:17], |v[0:1]|, 2
	v_mov_b32_e32 v24, 0
	s_mov_b32 s6, 0x54442d18
	s_mov_b32 s7, 0x3ff921fb
	;; [unrolled: 1-line block ×4, first 2 shown]
	v_dual_cndmask_b32 v3, v6, v3 :: v_dual_cndmask_b32 v2, v0, v2
	v_trig_preop_f64 v[6:7], |v[0:1]|, 1
	s_delay_alu instid0(VALU_DEP_2) | instskip(SKIP_1) | instid1(VALU_DEP_3)
	v_mul_f64 v[8:9], v[4:5], v[2:3]
	v_mul_f64 v[22:23], v[16:17], v[2:3]
	;; [unrolled: 1-line block ×3, first 2 shown]
	s_delay_alu instid0(VALU_DEP_3) | instskip(NEXT) | instid1(VALU_DEP_2)
	v_fma_f64 v[4:5], v[4:5], v[2:3], -v[8:9]
	v_fma_f64 v[6:7], v[6:7], v[2:3], -v[10:11]
	s_delay_alu instid0(VALU_DEP_4) | instskip(NEXT) | instid1(VALU_DEP_3)
	v_fma_f64 v[2:3], v[16:17], v[2:3], -v[22:23]
	v_add_f64 v[12:13], v[10:11], v[4:5]
	s_delay_alu instid0(VALU_DEP_1) | instskip(SKIP_1) | instid1(VALU_DEP_2)
	v_add_f64 v[14:15], v[12:13], -v[10:11]
	v_add_f64 v[20:21], v[8:9], v[12:13]
	v_add_f64 v[18:19], v[12:13], -v[14:15]
	v_add_f64 v[4:5], v[4:5], -v[14:15]
	s_delay_alu instid0(VALU_DEP_3) | instskip(SKIP_1) | instid1(VALU_DEP_4)
	v_ldexp_f64 v[14:15], v[20:21], -2
	v_add_f64 v[8:9], v[20:21], -v[8:9]
	v_add_f64 v[10:11], v[10:11], -v[18:19]
	v_add_f64 v[18:19], v[22:23], v[6:7]
	s_delay_alu instid0(VALU_DEP_4) | instskip(NEXT) | instid1(VALU_DEP_4)
	v_cmp_neq_f64_e64 vcc_lo, 0x7ff00000, |v[14:15]|
	v_add_f64 v[8:9], v[12:13], -v[8:9]
	s_delay_alu instid0(VALU_DEP_4) | instskip(SKIP_1) | instid1(VALU_DEP_2)
	v_add_f64 v[4:5], v[4:5], v[10:11]
	v_fract_f64_e32 v[10:11], v[14:15]
	v_add_f64 v[12:13], v[18:19], v[4:5]
	s_delay_alu instid0(VALU_DEP_2) | instskip(NEXT) | instid1(VALU_DEP_1)
	v_dual_cndmask_b32 v11, 0, v11 :: v_dual_cndmask_b32 v10, 0, v10
	v_ldexp_f64 v[10:11], v[10:11], 2
	s_delay_alu instid0(VALU_DEP_3) | instskip(NEXT) | instid1(VALU_DEP_1)
	v_add_f64 v[14:15], v[8:9], v[12:13]
	v_add_f64 v[20:21], v[14:15], v[10:11]
	v_add_f64 v[8:9], v[14:15], -v[8:9]
	s_delay_alu instid0(VALU_DEP_2) | instskip(SKIP_1) | instid1(VALU_DEP_3)
	v_cmp_gt_f64_e32 vcc_lo, 0, v[20:21]
	v_add_f64 v[20:21], v[18:19], -v[22:23]
	v_add_f64 v[8:9], v[12:13], -v[8:9]
	v_cndmask_b32_e64 v25, 0, 0x40100000, vcc_lo
	s_delay_alu instid0(VALU_DEP_3) | instskip(SKIP_1) | instid1(VALU_DEP_3)
	v_add_f64 v[29:30], v[18:19], -v[20:21]
	v_add_f64 v[6:7], v[6:7], -v[20:21]
	v_add_f64 v[10:11], v[10:11], v[24:25]
	v_add_f64 v[25:26], v[12:13], -v[18:19]
	s_delay_alu instid0(VALU_DEP_4) | instskip(NEXT) | instid1(VALU_DEP_3)
	v_add_f64 v[20:21], v[22:23], -v[29:30]
	v_add_f64 v[27:28], v[14:15], v[10:11]
	s_delay_alu instid0(VALU_DEP_3) | instskip(SKIP_1) | instid1(VALU_DEP_4)
	v_add_f64 v[31:32], v[12:13], -v[25:26]
	v_add_f64 v[4:5], v[4:5], -v[25:26]
	v_add_f64 v[6:7], v[6:7], v[20:21]
	s_delay_alu instid0(VALU_DEP_4) | instskip(NEXT) | instid1(VALU_DEP_4)
	v_cvt_i32_f64_e32 v27, v[27:28]
	v_add_f64 v[18:19], v[18:19], -v[31:32]
	s_delay_alu instid0(VALU_DEP_2) | instskip(NEXT) | instid1(VALU_DEP_2)
	v_cvt_f64_i32_e32 v[25:26], v27
	v_add_f64 v[4:5], v[4:5], v[18:19]
	s_delay_alu instid0(VALU_DEP_2) | instskip(NEXT) | instid1(VALU_DEP_2)
	v_add_f64 v[10:11], v[10:11], -v[25:26]
	v_add_f64 v[4:5], v[6:7], v[4:5]
	s_delay_alu instid0(VALU_DEP_2) | instskip(NEXT) | instid1(VALU_DEP_2)
	v_add_f64 v[6:7], v[14:15], v[10:11]
	v_add_f64 v[2:3], v[2:3], v[4:5]
	s_delay_alu instid0(VALU_DEP_2) | instskip(SKIP_1) | instid1(VALU_DEP_3)
	v_add_f64 v[4:5], v[6:7], -v[10:11]
	v_cmp_le_f64_e32 vcc_lo, 0.5, v[6:7]
	v_add_f64 v[2:3], v[8:9], v[2:3]
	s_delay_alu instid0(VALU_DEP_3) | instskip(SKIP_2) | instid1(VALU_DEP_3)
	v_add_f64 v[4:5], v[14:15], -v[4:5]
	v_cndmask_b32_e64 v25, 0, 0x3ff00000, vcc_lo
	v_add_co_ci_u32_e64 v10, s2, 0, v27, vcc_lo
	v_add_f64 v[2:3], v[2:3], v[4:5]
	s_delay_alu instid0(VALU_DEP_3) | instskip(NEXT) | instid1(VALU_DEP_1)
	v_add_f64 v[4:5], v[6:7], -v[24:25]
	v_add_f64 v[6:7], v[4:5], v[2:3]
	s_delay_alu instid0(VALU_DEP_1) | instskip(SKIP_1) | instid1(VALU_DEP_2)
	v_mul_f64 v[8:9], v[6:7], s[6:7]
	v_add_f64 v[4:5], v[6:7], -v[4:5]
	v_fma_f64 v[11:12], v[6:7], s[6:7], -v[8:9]
	s_delay_alu instid0(VALU_DEP_2) | instskip(NEXT) | instid1(VALU_DEP_2)
	v_add_f64 v[2:3], v[2:3], -v[4:5]
	v_fma_f64 v[4:5], v[6:7], s[8:9], v[11:12]
	s_delay_alu instid0(VALU_DEP_1) | instskip(NEXT) | instid1(VALU_DEP_1)
	v_fma_f64 v[4:5], v[2:3], s[6:7], v[4:5]
	v_add_f64 v[2:3], v[8:9], v[4:5]
	s_delay_alu instid0(VALU_DEP_1) | instskip(NEXT) | instid1(VALU_DEP_1)
	v_add_f64 v[6:7], v[2:3], -v[8:9]
	v_add_f64 v[4:5], v[4:5], -v[6:7]
	s_and_not1_saveexec_b32 s2, s4
	s_cbranch_execz .LBB8_151
	s_branch .LBB8_150
.LBB8_149:
	s_and_not1_saveexec_b32 s2, s4
	s_cbranch_execz .LBB8_151
.LBB8_150:
	s_mov_b32 s6, 0x6dc9c883
	s_mov_b32 s7, 0x3fe45f30
	;; [unrolled: 1-line block ×3, first 2 shown]
	v_mul_f64 v[2:3], |v[0:1]|, s[6:7]
	s_mov_b32 s6, 0x54442d18
	s_mov_b32 s7, 0xbff921fb
	;; [unrolled: 1-line block ×3, first 2 shown]
	s_delay_alu instid0(VALU_DEP_1) | instskip(NEXT) | instid1(VALU_DEP_1)
	v_rndne_f64_e32 v[6:7], v[2:3]
	v_fma_f64 v[2:3], v[6:7], s[6:7], |v[0:1]|
	v_mul_f64 v[4:5], v[6:7], s[8:9]
	s_mov_b32 s6, 0x252049c0
	s_mov_b32 s7, 0xb97b839a
	s_delay_alu instid0(VALU_DEP_2) | instskip(NEXT) | instid1(VALU_DEP_2)
	v_fma_f64 v[10:11], v[6:7], s[8:9], v[2:3]
	v_add_f64 v[8:9], v[2:3], v[4:5]
	s_mov_b32 s9, 0x3c91a626
	s_delay_alu instid0(VALU_DEP_1) | instskip(NEXT) | instid1(VALU_DEP_3)
	v_add_f64 v[2:3], v[2:3], -v[8:9]
	v_add_f64 v[8:9], v[8:9], -v[10:11]
	s_delay_alu instid0(VALU_DEP_2) | instskip(SKIP_1) | instid1(VALU_DEP_2)
	v_add_f64 v[2:3], v[2:3], v[4:5]
	v_fma_f64 v[4:5], v[6:7], s[8:9], v[4:5]
	v_add_f64 v[2:3], v[8:9], v[2:3]
	s_delay_alu instid0(VALU_DEP_1) | instskip(NEXT) | instid1(VALU_DEP_1)
	v_add_f64 v[2:3], v[2:3], -v[4:5]
	v_fma_f64 v[4:5], v[6:7], s[6:7], v[2:3]
	s_delay_alu instid0(VALU_DEP_1) | instskip(NEXT) | instid1(VALU_DEP_1)
	v_add_f64 v[2:3], v[10:11], v[4:5]
	v_add_f64 v[8:9], v[2:3], -v[10:11]
	v_cvt_i32_f64_e32 v10, v[6:7]
	s_delay_alu instid0(VALU_DEP_2)
	v_add_f64 v[4:5], v[4:5], -v[8:9]
.LBB8_151:
	s_or_b32 exec_lo, exec_lo, s2
                                        ; implicit-def: $vgpr11
                                        ; implicit-def: $vgpr6_vgpr7
                                        ; implicit-def: $vgpr8_vgpr9
	s_and_saveexec_b32 s2, s3
	s_delay_alu instid0(SALU_CYCLE_1)
	s_xor_b32 s3, exec_lo, s2
	s_cbranch_execz .LBB8_153
; %bb.152:
	v_ldexp_f64 v[6:7], |v[0:1]|, 0xffffff80
	v_cmp_le_f64_e64 vcc_lo, 0x7b000000, |v[0:1]|
	v_trig_preop_f64 v[8:9], |v[0:1]|, 0
	v_and_b32_e32 v11, 0x7fffffff, v1
	v_trig_preop_f64 v[21:22], |v[0:1]|, 2
	v_mov_b32_e32 v29, 0
	s_mov_b32 s6, 0x54442d18
	s_mov_b32 s7, 0x3ff921fb
	;; [unrolled: 1-line block ×4, first 2 shown]
	v_dual_cndmask_b32 v6, v0, v6 :: v_dual_cndmask_b32 v7, v11, v7
	v_trig_preop_f64 v[11:12], |v[0:1]|, 1
	s_delay_alu instid0(VALU_DEP_2) | instskip(NEXT) | instid1(VALU_DEP_2)
	v_mul_f64 v[13:14], v[8:9], v[6:7]
	v_mul_f64 v[15:16], v[11:12], v[6:7]
	s_delay_alu instid0(VALU_DEP_2) | instskip(NEXT) | instid1(VALU_DEP_2)
	v_fma_f64 v[8:9], v[8:9], v[6:7], -v[13:14]
	v_fma_f64 v[11:12], v[11:12], v[6:7], -v[15:16]
	s_delay_alu instid0(VALU_DEP_2) | instskip(NEXT) | instid1(VALU_DEP_1)
	v_add_f64 v[17:18], v[15:16], v[8:9]
	v_add_f64 v[19:20], v[17:18], -v[15:16]
	v_add_f64 v[25:26], v[13:14], v[17:18]
	s_delay_alu instid0(VALU_DEP_2) | instskip(SKIP_1) | instid1(VALU_DEP_3)
	v_add_f64 v[23:24], v[17:18], -v[19:20]
	v_add_f64 v[8:9], v[8:9], -v[19:20]
	v_ldexp_f64 v[19:20], v[25:26], -2
	v_add_f64 v[13:14], v[25:26], -v[13:14]
	s_delay_alu instid0(VALU_DEP_4) | instskip(NEXT) | instid1(VALU_DEP_3)
	v_add_f64 v[15:16], v[15:16], -v[23:24]
	v_cmp_neq_f64_e64 vcc_lo, 0x7ff00000, |v[19:20]|
	s_delay_alu instid0(VALU_DEP_3) | instskip(NEXT) | instid1(VALU_DEP_3)
	v_add_f64 v[13:14], v[17:18], -v[13:14]
	v_add_f64 v[8:9], v[8:9], v[15:16]
	v_fract_f64_e32 v[15:16], v[19:20]
	s_delay_alu instid0(VALU_DEP_1) | instskip(SKIP_1) | instid1(VALU_DEP_3)
	v_cndmask_b32_e32 v16, 0, v16, vcc_lo
	v_mul_f64 v[27:28], v[21:22], v[6:7]
	v_cndmask_b32_e32 v15, 0, v15, vcc_lo
	s_delay_alu instid0(VALU_DEP_1) | instskip(NEXT) | instid1(VALU_DEP_3)
	v_ldexp_f64 v[15:16], v[15:16], 2
	v_add_f64 v[23:24], v[27:28], v[11:12]
	v_fma_f64 v[6:7], v[21:22], v[6:7], -v[27:28]
	s_delay_alu instid0(VALU_DEP_2) | instskip(NEXT) | instid1(VALU_DEP_1)
	v_add_f64 v[17:18], v[23:24], v[8:9]
	v_add_f64 v[19:20], v[13:14], v[17:18]
	s_delay_alu instid0(VALU_DEP_1) | instskip(SKIP_1) | instid1(VALU_DEP_2)
	v_add_f64 v[25:26], v[19:20], v[15:16]
	v_add_f64 v[13:14], v[19:20], -v[13:14]
	v_cmp_gt_f64_e32 vcc_lo, 0, v[25:26]
	v_add_f64 v[25:26], v[23:24], -v[27:28]
	v_cndmask_b32_e64 v30, 0, 0x40100000, vcc_lo
	s_delay_alu instid0(VALU_DEP_2) | instskip(SKIP_1) | instid1(VALU_DEP_3)
	v_add_f64 v[34:35], v[23:24], -v[25:26]
	v_add_f64 v[11:12], v[11:12], -v[25:26]
	v_add_f64 v[15:16], v[15:16], v[29:30]
	v_add_f64 v[30:31], v[17:18], -v[23:24]
	s_delay_alu instid0(VALU_DEP_4) | instskip(NEXT) | instid1(VALU_DEP_3)
	v_add_f64 v[25:26], v[27:28], -v[34:35]
	v_add_f64 v[32:33], v[19:20], v[15:16]
	s_delay_alu instid0(VALU_DEP_3) | instskip(SKIP_1) | instid1(VALU_DEP_4)
	v_add_f64 v[36:37], v[17:18], -v[30:31]
	v_add_f64 v[8:9], v[8:9], -v[30:31]
	v_add_f64 v[11:12], v[11:12], v[25:26]
	s_delay_alu instid0(VALU_DEP_4) | instskip(NEXT) | instid1(VALU_DEP_4)
	v_cvt_i32_f64_e32 v32, v[32:33]
	v_add_f64 v[23:24], v[23:24], -v[36:37]
	s_delay_alu instid0(VALU_DEP_2) | instskip(NEXT) | instid1(VALU_DEP_2)
	v_cvt_f64_i32_e32 v[30:31], v32
	v_add_f64 v[8:9], v[8:9], v[23:24]
	s_delay_alu instid0(VALU_DEP_2) | instskip(NEXT) | instid1(VALU_DEP_2)
	v_add_f64 v[15:16], v[15:16], -v[30:31]
	v_add_f64 v[8:9], v[11:12], v[8:9]
	v_add_f64 v[11:12], v[17:18], -v[13:14]
	s_delay_alu instid0(VALU_DEP_3) | instskip(NEXT) | instid1(VALU_DEP_3)
	v_add_f64 v[21:22], v[19:20], v[15:16]
	v_add_f64 v[6:7], v[6:7], v[8:9]
	s_delay_alu instid0(VALU_DEP_2) | instskip(SKIP_1) | instid1(VALU_DEP_3)
	v_add_f64 v[8:9], v[21:22], -v[15:16]
	v_cmp_le_f64_e32 vcc_lo, 0.5, v[21:22]
	v_add_f64 v[6:7], v[11:12], v[6:7]
	s_delay_alu instid0(VALU_DEP_3) | instskip(SKIP_2) | instid1(VALU_DEP_3)
	v_add_f64 v[8:9], v[19:20], -v[8:9]
	v_cndmask_b32_e64 v30, 0, 0x3ff00000, vcc_lo
	v_add_co_ci_u32_e64 v11, s2, 0, v32, vcc_lo
	v_add_f64 v[6:7], v[6:7], v[8:9]
	s_delay_alu instid0(VALU_DEP_3) | instskip(NEXT) | instid1(VALU_DEP_1)
	v_add_f64 v[8:9], v[21:22], -v[29:30]
	v_add_f64 v[12:13], v[8:9], v[6:7]
	s_delay_alu instid0(VALU_DEP_1) | instskip(SKIP_1) | instid1(VALU_DEP_2)
	v_mul_f64 v[14:15], v[12:13], s[6:7]
	v_add_f64 v[8:9], v[12:13], -v[8:9]
	v_fma_f64 v[16:17], v[12:13], s[6:7], -v[14:15]
	s_delay_alu instid0(VALU_DEP_2) | instskip(NEXT) | instid1(VALU_DEP_2)
	v_add_f64 v[6:7], v[6:7], -v[8:9]
	v_fma_f64 v[8:9], v[12:13], s[8:9], v[16:17]
	s_delay_alu instid0(VALU_DEP_1) | instskip(NEXT) | instid1(VALU_DEP_1)
	v_fma_f64 v[8:9], v[6:7], s[6:7], v[8:9]
	v_add_f64 v[6:7], v[14:15], v[8:9]
	s_delay_alu instid0(VALU_DEP_1) | instskip(NEXT) | instid1(VALU_DEP_1)
	v_add_f64 v[12:13], v[6:7], -v[14:15]
	v_add_f64 v[8:9], v[8:9], -v[12:13]
	s_and_not1_saveexec_b32 s2, s3
	s_cbranch_execnz .LBB8_154
	s_branch .LBB8_155
.LBB8_153:
	s_and_not1_saveexec_b32 s2, s3
	s_cbranch_execz .LBB8_155
.LBB8_154:
	s_mov_b32 s6, 0x6dc9c883
	s_mov_b32 s7, 0x3fe45f30
	s_mov_b32 s9, 0xbc91a626
	v_mul_f64 v[6:7], |v[0:1]|, s[6:7]
	s_mov_b32 s6, 0x54442d18
	s_mov_b32 s7, 0xbff921fb
	;; [unrolled: 1-line block ×3, first 2 shown]
	s_delay_alu instid0(VALU_DEP_1) | instskip(NEXT) | instid1(VALU_DEP_1)
	v_rndne_f64_e32 v[11:12], v[6:7]
	v_fma_f64 v[6:7], v[11:12], s[6:7], |v[0:1]|
	v_mul_f64 v[8:9], v[11:12], s[8:9]
	s_mov_b32 s6, 0x252049c0
	s_mov_b32 s7, 0xb97b839a
	s_delay_alu instid0(VALU_DEP_2) | instskip(NEXT) | instid1(VALU_DEP_2)
	v_fma_f64 v[15:16], v[11:12], s[8:9], v[6:7]
	v_add_f64 v[13:14], v[6:7], v[8:9]
	s_mov_b32 s9, 0x3c91a626
	s_delay_alu instid0(VALU_DEP_1) | instskip(NEXT) | instid1(VALU_DEP_3)
	v_add_f64 v[6:7], v[6:7], -v[13:14]
	v_add_f64 v[13:14], v[13:14], -v[15:16]
	s_delay_alu instid0(VALU_DEP_2) | instskip(SKIP_1) | instid1(VALU_DEP_2)
	v_add_f64 v[6:7], v[6:7], v[8:9]
	v_fma_f64 v[8:9], v[11:12], s[8:9], v[8:9]
	v_add_f64 v[6:7], v[13:14], v[6:7]
	s_delay_alu instid0(VALU_DEP_1) | instskip(NEXT) | instid1(VALU_DEP_1)
	v_add_f64 v[6:7], v[6:7], -v[8:9]
	v_fma_f64 v[8:9], v[11:12], s[6:7], v[6:7]
	v_cvt_i32_f64_e32 v11, v[11:12]
	s_delay_alu instid0(VALU_DEP_2) | instskip(NEXT) | instid1(VALU_DEP_1)
	v_add_f64 v[6:7], v[15:16], v[8:9]
	v_add_f64 v[13:14], v[6:7], -v[15:16]
	s_delay_alu instid0(VALU_DEP_1)
	v_add_f64 v[8:9], v[8:9], -v[13:14]
.LBB8_155:
	s_or_b32 exec_lo, exec_lo, s2
	v_div_scale_f64 v[12:13], null, v[41:42], v[41:42], 0x40140000
	v_div_scale_f64 v[18:19], vcc_lo, 0x40140000, v[41:42], 0x40140000
	s_mov_b32 s2, 0x6b70ba40
	s_mov_b32 s3, 0x3faa27fa
	;; [unrolled: 1-line block ×6, first 2 shown]
	v_mul_f64 v[26:27], v[2:3], v[2:3]
	v_mul_f64 v[32:33], v[6:7], v[6:7]
	s_mov_b32 s10, 0x796cde01
	s_mov_b32 s11, 0x3ec71de3
	v_mul_f64 v[62:63], v[4:5], 0.5
	v_rcp_f64_e32 v[14:15], v[12:13]
	s_delay_alu instid0(VALU_DEP_3) | instskip(SKIP_1) | instid1(VALU_DEP_4)
	v_mul_f64 v[50:51], v[26:27], 0.5
	v_mul_f64 v[64:65], v[2:3], -v[26:27]
	v_mul_f64 v[70:71], v[6:7], -v[32:33]
	s_waitcnt_depctr 0xfff
	v_fma_f64 v[16:17], -v[12:13], v[14:15], 1.0
	v_add_f64 v[52:53], -v[50:51], 1.0
	s_delay_alu instid0(VALU_DEP_2) | instskip(NEXT) | instid1(VALU_DEP_2)
	v_fma_f64 v[14:15], v[14:15], v[16:17], v[14:15]
	v_add_f64 v[66:67], -v[52:53], 1.0
	s_delay_alu instid0(VALU_DEP_2) | instskip(NEXT) | instid1(VALU_DEP_2)
	v_fma_f64 v[16:17], -v[12:13], v[14:15], 1.0
	v_add_f64 v[50:51], v[66:67], -v[50:51]
	s_delay_alu instid0(VALU_DEP_2) | instskip(NEXT) | instid1(VALU_DEP_2)
	v_fma_f64 v[14:15], v[14:15], v[16:17], v[14:15]
	v_fma_f64 v[50:51], v[2:3], -v[4:5], v[50:51]
	s_delay_alu instid0(VALU_DEP_2) | instskip(NEXT) | instid1(VALU_DEP_1)
	v_mul_f64 v[16:17], v[18:19], v[14:15]
	v_fma_f64 v[12:13], -v[12:13], v[16:17], v[18:19]
	s_delay_alu instid0(VALU_DEP_1) | instskip(NEXT) | instid1(VALU_DEP_1)
	v_div_fmas_f64 v[12:13], v[12:13], v[14:15], v[16:17]
	v_div_fixup_f64 v[12:13], v[12:13], v[41:42], 0x40140000
	s_delay_alu instid0(VALU_DEP_1) | instskip(NEXT) | instid1(VALU_DEP_1)
	v_mul_f64 v[14:15], v[12:13], v[12:13]
	v_fma_f64 v[16:17], v[14:15], 0, s[2:3]
	s_mov_b32 s2, 0x4c6c651b
	s_mov_b32 s3, 0x3f48f92c
	v_fma_f64 v[18:19], v[14:15], 0, s[6:7]
	v_fma_f64 v[20:21], v[14:15], 0, s[2:3]
	s_mov_b32 s2, 0xc66d8fd6
	s_mov_b32 s3, 0x4013edb5
	v_fma_f64 v[22:23], v[14:15], 0, s[8:9]
	s_mov_b32 s6, 0x5948aa83
	s_mov_b32 s7, 0x3fb19fdd
	s_mov_b32 s8, 0xa20e5f6f
	s_mov_b32 s9, 0x409081cb
	s_delay_alu instid0(VALU_DEP_4) | instskip(SKIP_2) | instid1(VALU_DEP_4)
	v_fma_f64 v[16:17], v[14:15], v[16:17], s[2:3]
	s_mov_b32 s2, 0xa3fec4b6
	s_mov_b32 s3, 0x3fb2b948
	v_fma_f64 v[18:19], v[14:15], v[18:19], s[6:7]
	s_delay_alu instid0(VALU_DEP_4) | instskip(SKIP_2) | instid1(VALU_DEP_4)
	v_fma_f64 v[20:21], v[14:15], v[20:21], s[2:3]
	s_mov_b32 s2, 0x9acf1c67
	s_mov_b32 s3, 0x4052f4b9
	v_fma_f64 v[22:23], v[14:15], v[22:23], s[8:9]
	s_mov_b32 s6, 0xb850eed6
	s_mov_b32 s7, 0x3ff1aea9
	s_mov_b32 s8, 0x1bfdfe81
	s_mov_b32 s9, 0x40b37a69
	s_delay_alu instid0(VALU_DEP_4) | instskip(SKIP_2) | instid1(VALU_DEP_4)
	v_fma_f64 v[16:17], v[14:15], v[16:17], s[2:3]
	s_mov_b32 s2, 0xc21596d6
	s_mov_b32 s3, 0x3ff208fe
	v_fma_f64 v[18:19], v[14:15], v[18:19], s[6:7]
	s_delay_alu instid0(VALU_DEP_4) | instskip(SKIP_2) | instid1(VALU_DEP_4)
	v_fma_f64 v[20:21], v[14:15], v[20:21], s[2:3]
	s_mov_b32 s2, 0x47aa180d
	s_mov_b32 s3, 0x4076ec79
	v_fma_f64 v[22:23], v[14:15], v[22:23], s[8:9]
	s_mov_b32 s6, 0xf7d251a1
	s_mov_b32 s7, 0x40144ba2
	s_mov_b32 s8, 0xd280d118
	s_mov_b32 s9, 0x40c2ad28
	s_delay_alu instid0(VALU_DEP_4) | instskip(SKIP_2) | instid1(VALU_DEP_4)
	v_fma_f64 v[16:17], v[14:15], v[16:17], s[2:3]
	s_mov_b32 s2, 0xf8b13a6a
	s_mov_b32 s3, 0x401472c4
	v_fma_f64 v[18:19], v[14:15], v[18:19], s[6:7]
	s_delay_alu instid0(VALU_DEP_4) | instskip(SKIP_2) | instid1(VALU_DEP_4)
	v_fma_f64 v[20:21], v[14:15], v[20:21], s[2:3]
	s_mov_b32 s2, 0xb66f6e50
	s_mov_b32 s3, 0x408636d9
	v_fma_f64 v[22:23], v[14:15], v[22:23], s[8:9]
	s_mov_b32 s6, 0xdda2fd65
	s_mov_b32 s7, 0x4020ccb9
	s_mov_b32 s8, 0xa6973d14
	s_mov_b32 s9, 0x40bf3d0a
	s_delay_alu instid0(VALU_DEP_4) | instskip(SKIP_2) | instid1(VALU_DEP_4)
	v_fma_f64 v[16:17], v[14:15], v[16:17], s[2:3]
	s_mov_b32 s2, 0x8b5d2f16
	s_mov_b32 s3, 0x4020d91c
	v_fma_f64 v[18:19], v[14:15], v[18:19], s[6:7]
	s_delay_alu instid0(VALU_DEP_4) | instskip(SKIP_2) | instid1(VALU_DEP_4)
	v_fma_f64 v[20:21], v[14:15], v[20:21], s[2:3]
	s_mov_b32 s2, 0xb9e802d0
	s_mov_b32 s3, 0x4082abea
	v_fma_f64 v[22:23], v[14:15], v[22:23], s[8:9]
	s_mov_b32 s6, 0x4762b4d9
	s_mov_b32 s7, 0x4014d6dd
	s_mov_b32 s8, 0xb4bd1781
	s_mov_b32 s9, 0x40a61462
	s_delay_alu instid0(VALU_DEP_4) | instskip(SKIP_2) | instid1(VALU_DEP_4)
	v_fma_f64 v[16:17], v[14:15], v[16:17], s[2:3]
	s_mov_b32 s2, 0x142f81a2
	s_mov_b32 s3, 0x4014dbaa
	v_fma_f64 v[18:19], v[14:15], v[18:19], s[6:7]
	s_delay_alu instid0(VALU_DEP_4) | instskip(SKIP_2) | instid1(VALU_DEP_4)
	v_fma_f64 v[20:21], v[14:15], v[20:21], s[2:3]
	s_mov_b32 s2, 0x4c54bb0b
	s_mov_b32 s3, 0x406a760a
	v_fma_f64 v[22:23], v[14:15], v[22:23], s[8:9]
	s_mov_b32 s6, 0x4d159eb5
	s_mov_b32 s7, 0x403934ff
	s_mov_b32 s8, 0x46cc5e42
	s_mov_b32 s9, 0xbda907db
	s_delay_alu instid0(VALU_DEP_4) | instskip(SKIP_2) | instid1(VALU_DEP_4)
	v_fma_f64 v[16:17], v[14:15], v[16:17], s[2:3]
	s_mov_b32 s2, 0x6ae75997
	s_mov_b32 s3, 0x4075017f
	v_fma_f64 v[18:19], v[14:15], v[18:19], 1.0
	s_delay_alu instid0(VALU_DEP_4) | instskip(NEXT) | instid1(VALU_DEP_4)
	v_fma_f64 v[20:21], v[14:15], v[20:21], 1.0
	v_fma_f64 v[22:23], v[14:15], v[22:23], s[2:3]
	s_mov_b32 s2, 0xb42fdfa7
	s_mov_b32 s3, 0xbe5ae600
	s_delay_alu instid0(VALU_DEP_4) | instskip(SKIP_2) | instid1(VALU_DEP_3)
	v_fma_f64 v[14:15], v[14:15], v[16:17], s[6:7]
	s_mov_b32 s6, 0xf9a43bb8
	s_mov_b32 s7, 0x3de5e0b2
	v_div_scale_f64 v[16:17], null, v[18:19], v[18:19], v[20:21]
	v_fma_f64 v[34:35], v[26:27], s[6:7], s[2:3]
	v_fma_f64 v[46:47], v[32:33], s[6:7], s[2:3]
	v_cmp_gt_f64_e64 s2, 0x10000000, v[41:42]
	s_mov_b32 s6, 0x9037ab78
	s_mov_b32 s7, 0x3e21eeb6
	v_div_scale_f64 v[68:69], vcc_lo, v[20:21], v[18:19], v[20:21]
	v_fma_f64 v[48:49], v[26:27], s[8:9], s[6:7]
	v_div_scale_f64 v[24:25], null, v[22:23], v[22:23], v[14:15]
	v_rcp_f64_e32 v[28:29], v[16:17]
	v_fma_f64 v[34:35], v[26:27], v[34:35], s[10:11]
	s_delay_alu instid0(VALU_DEP_2) | instskip(SKIP_3) | instid1(VALU_DEP_2)
	v_rcp_f64_e32 v[30:31], v[24:25]
	s_waitcnt_depctr 0xfff
	v_fma_f64 v[36:37], -v[16:17], v[28:29], 1.0
	v_fma_f64 v[38:39], -v[24:25], v[30:31], 1.0
	v_fma_f64 v[28:29], v[28:29], v[36:37], v[28:29]
	v_fma_f64 v[36:37], v[32:33], v[46:47], s[10:11]
	;; [unrolled: 1-line block ×3, first 2 shown]
	s_mov_b32 s8, 0x19e83e5c
	s_mov_b32 s9, 0xbf2a01a0
	;; [unrolled: 1-line block ×3, first 2 shown]
	v_fma_f64 v[34:35], v[26:27], v[34:35], s[8:9]
	s_mov_b32 s7, 0xbe927e4f
	s_delay_alu instid0(SALU_CYCLE_1) | instskip(SKIP_4) | instid1(VALU_DEP_3)
	v_fma_f64 v[48:49], v[26:27], v[48:49], s[6:7]
	v_fma_f64 v[30:31], v[30:31], v[38:39], v[30:31]
	v_cndmask_b32_e64 v38, 0, 1, s2
	v_fma_f64 v[54:55], -v[16:17], v[28:29], 1.0
	v_fma_f64 v[36:37], v[32:33], v[36:37], s[8:9]
	v_lshlrev_b32_e32 v40, 8, v38
	v_mul_f64 v[38:39], v[32:33], 0.5
	v_fma_f64 v[46:47], v[32:33], v[46:47], s[6:7]
	s_mov_b32 s8, 0x11110bb3
	s_mov_b32 s9, 0x3f811111
	v_ldexp_f64 v[40:41], v[41:42], v40
	v_fma_f64 v[34:35], v[26:27], v[34:35], s[8:9]
	s_mov_b32 s6, 0x19f4ec90
	s_mov_b32 s7, 0x3efa01a0
	s_delay_alu instid0(SALU_CYCLE_1)
	v_fma_f64 v[48:49], v[26:27], v[48:49], s[6:7]
	v_fma_f64 v[56:57], -v[24:25], v[30:31], 1.0
	v_fma_f64 v[28:29], v[28:29], v[54:55], v[28:29]
	v_div_scale_f64 v[54:55], s3, v[14:15], v[22:23], v[14:15]
	v_add_f64 v[58:59], -v[38:39], 1.0
	v_fma_f64 v[36:37], v[32:33], v[36:37], s[8:9]
	v_fma_f64 v[46:47], v[32:33], v[46:47], s[6:7]
	s_mov_b32 s6, 0x16c16967
	v_rsq_f64_e32 v[60:61], v[40:41]
	v_fma_f64 v[34:35], v[64:65], v[34:35], v[62:63]
	s_mov_b32 s7, 0xbf56c16c
	s_delay_alu instid0(SALU_CYCLE_1)
	v_fma_f64 v[48:49], v[26:27], v[48:49], s[6:7]
	v_fma_f64 v[30:31], v[30:31], v[56:57], v[30:31]
	v_mul_f64 v[56:57], v[8:9], 0.5
	v_mul_f64 v[62:63], v[68:69], v[28:29]
	v_add_f64 v[72:73], -v[58:59], 1.0
	v_fma_f64 v[46:47], v[32:33], v[46:47], s[6:7]
	s_mov_b32 s6, 0x55555555
	s_mov_b32 s7, 0x3fa55555
	v_fma_f64 v[4:5], v[26:27], v[34:35], -v[4:5]
	s_delay_alu instid0(TRANS32_DEP_1)
	v_mul_f64 v[74:75], v[40:41], v[60:61]
	v_mul_f64 v[60:61], v[60:61], 0.5
	v_mul_f64 v[34:35], v[32:33], v[32:33]
	v_fma_f64 v[48:49], v[26:27], v[48:49], s[6:7]
	v_mul_f64 v[66:67], v[54:55], v[30:31]
	v_fma_f64 v[36:37], v[70:71], v[36:37], v[56:57]
	v_mul_f64 v[56:57], v[26:27], v[26:27]
	v_fma_f64 v[16:17], -v[16:17], v[62:63], v[68:69]
	v_add_f64 v[38:39], v[72:73], -v[38:39]
	v_fma_f64 v[72:73], -v[60:61], v[74:75], 0.5
	v_fma_f64 v[24:25], -v[24:25], v[66:67], v[54:55]
	v_fma_f64 v[26:27], v[32:33], v[36:37], -v[8:9]
	v_fma_f64 v[32:33], v[32:33], v[46:47], s[6:7]
	s_mov_b32 s7, 0xbfc55555
	v_div_fmas_f64 v[16:17], v[16:17], v[28:29], v[62:63]
	s_mov_b32 vcc_lo, s3
	v_fma_f64 v[4:5], v[64:65], s[6:7], v[4:5]
	v_fma_f64 v[8:9], v[6:7], -v[8:9], v[38:39]
	v_fma_f64 v[38:39], v[56:57], v[48:49], v[50:51]
	v_cmp_class_f64_e64 s3, v[0:1], 0x1f8
	v_and_b32_e32 v0, 1, v11
	v_lshlrev_b32_e32 v11, 30, v11
	v_fma_f64 v[36:37], v[74:75], v[72:73], v[74:75]
	v_fma_f64 v[28:29], v[60:61], v[72:73], v[60:61]
	s_delay_alu instid0(VALU_DEP_4) | instskip(NEXT) | instid1(VALU_DEP_4)
	v_cmp_eq_u32_e64 s4, 0, v0
	v_and_b32_e32 v0, 0x80000000, v11
	v_div_fmas_f64 v[24:25], v[24:25], v[30:31], v[66:67]
	v_fma_f64 v[26:27], v[70:71], s[6:7], v[26:27]
	v_add_f64 v[2:3], v[2:3], -v[4:5]
	v_fma_f64 v[8:9], v[34:35], v[32:33], v[8:9]
	v_add_f64 v[32:33], v[52:53], v[38:39]
	v_fma_f64 v[30:31], -v[36:37], v[36:37], v[40:41]
	v_div_fixup_f64 v[4:5], v[24:25], v[22:23], v[14:15]
	v_add_f64 v[6:7], v[6:7], -v[26:27]
	v_and_b32_e32 v22, 1, v10
	v_add_f64 v[8:9], v[58:59], v[8:9]
	s_delay_alu instid0(VALU_DEP_2)
	v_cmp_eq_u32_e32 vcc_lo, 0, v22
	v_cndmask_b32_e32 v2, v32, v2, vcc_lo
	v_fma_f64 v[14:15], v[30:31], v[28:29], v[36:37]
	v_mul_f64 v[4:5], v[12:13], v[4:5]
	v_xor_b32_e32 v7, 0x80000000, v7
	v_div_fixup_f64 v[11:12], v[16:17], v[18:19], v[20:21]
	v_cndmask_b32_e64 v8, v6, v8, s4
	s_delay_alu instid0(VALU_DEP_3) | instskip(NEXT) | instid1(VALU_DEP_2)
	v_cndmask_b32_e64 v6, v7, v9, s4
	v_cndmask_b32_e64 v8, 0, v8, s3
	s_delay_alu instid0(VALU_DEP_2) | instskip(SKIP_3) | instid1(VALU_DEP_4)
	v_xor_b32_e32 v9, v6, v0
	v_fma_f64 v[6:7], -v[14:15], v[14:15], v[40:41]
	v_cndmask_b32_e64 v0, 0, v2, s3
	v_lshlrev_b32_e32 v2, 30, v10
	v_cndmask_b32_e64 v9, 0x7ff80000, v9, s3
	s_delay_alu instid0(VALU_DEP_2) | instskip(SKIP_2) | instid1(VALU_DEP_3)
	v_xor_b32_e32 v1, v2, v1
	v_cndmask_b32_e32 v2, v33, v3, vcc_lo
	v_cmp_class_f64_e64 vcc_lo, v[40:41], 0x260
	v_and_b32_e32 v1, 0x80000000, v1
	s_delay_alu instid0(VALU_DEP_1) | instskip(NEXT) | instid1(VALU_DEP_1)
	v_xor_b32_e32 v1, v2, v1
	v_cndmask_b32_e64 v1, 0x7ff80000, v1, s3
	v_mul_f64 v[4:5], v[4:5], v[8:9]
	v_fma_f64 v[2:3], v[6:7], v[28:29], v[14:15]
	s_delay_alu instid0(VALU_DEP_2) | instskip(SKIP_3) | instid1(VALU_DEP_1)
	v_fma_f64 v[0:1], v[11:12], v[0:1], v[4:5]
	v_cndmask_b32_e64 v4, 0, 0xffffff80, s2
	s_mov_b32 s2, 0x33d43651
	s_mov_b32 s3, 0x3fe98845
	v_ldexp_f64 v[2:3], v[2:3], v4
	s_delay_alu instid0(VALU_DEP_3) | instskip(NEXT) | instid1(VALU_DEP_2)
	v_mul_f64 v[0:1], v[0:1], s[2:3]
	v_dual_cndmask_b32 v3, v3, v41 :: v_dual_cndmask_b32 v2, v2, v40
	s_delay_alu instid0(VALU_DEP_1) | instskip(NEXT) | instid1(VALU_DEP_1)
	v_div_scale_f64 v[4:5], null, v[2:3], v[2:3], v[0:1]
	v_rcp_f64_e32 v[6:7], v[4:5]
	s_waitcnt_depctr 0xfff
	v_fma_f64 v[8:9], -v[4:5], v[6:7], 1.0
	s_delay_alu instid0(VALU_DEP_1) | instskip(NEXT) | instid1(VALU_DEP_1)
	v_fma_f64 v[6:7], v[6:7], v[8:9], v[6:7]
	v_fma_f64 v[8:9], -v[4:5], v[6:7], 1.0
	s_delay_alu instid0(VALU_DEP_1) | instskip(SKIP_1) | instid1(VALU_DEP_1)
	v_fma_f64 v[6:7], v[6:7], v[8:9], v[6:7]
	v_div_scale_f64 v[8:9], vcc_lo, v[0:1], v[2:3], v[0:1]
	v_mul_f64 v[10:11], v[8:9], v[6:7]
	s_delay_alu instid0(VALU_DEP_1) | instskip(NEXT) | instid1(VALU_DEP_1)
	v_fma_f64 v[4:5], -v[4:5], v[10:11], v[8:9]
	v_div_fmas_f64 v[4:5], v[4:5], v[6:7], v[10:11]
	s_delay_alu instid0(VALU_DEP_1)
	v_div_fixup_f64 v[0:1], v[4:5], v[2:3], v[0:1]
.LBB8_156:
	s_or_b32 exec_lo, exec_lo, s5
	v_add_nc_u32_e32 v45, 0x80, v45
	global_store_b64 v43, v[0:1], s[36:37]
	s_or_b32 exec_lo, exec_lo, s61
	s_delay_alu instid0(SALU_CYCLE_1)
	s_mov_b32 s61, exec_lo
	v_cmpx_gt_i32_e64 s58, v45
	s_cbranch_execnz .LBB8_15
.LBB8_157:
	s_or_b32 exec_lo, exec_lo, s61
	s_delay_alu instid0(SALU_CYCLE_1)
	s_mov_b32 s61, exec_lo
	v_cmpx_gt_i32_e64 s58, v45
	s_cbranch_execz .LBB8_188
.LBB8_158:
	s_and_not1_b32 vcc_lo, exec_lo, s55
	s_cbranch_vccnz .LBB8_163
; %bb.159:
	v_dual_mov_b32 v43, 0 :: v_dual_mov_b32 v0, 0
	s_and_not1_b32 vcc_lo, exec_lo, s60
	s_mov_b32 s6, 0
	s_cbranch_vccnz .LBB8_195
; %bb.160:
	v_mov_b32_e32 v43, 0
	s_add_i32 s8, s59, 1
	s_cmp_eq_u32 s54, 2
	s_mov_b32 s7, 0
	s_cbranch_scc1 .LBB8_191
; %bb.161:
	v_dual_mov_b32 v0, 0 :: v_dual_mov_b32 v43, 0
	v_mov_b32_e32 v1, v45
	s_and_b32 s7, s8, 28
	s_mov_b32 s9, 0
	s_mov_b64 s[2:3], s[50:51]
	s_mov_b64 s[4:5], s[0:1]
.LBB8_162:                              ; =>This Inner Loop Header: Depth=1
	s_clause 0x1
	s_load_b256 s[12:19], s[4:5], 0x4
	s_load_b128 s[28:31], s[4:5], 0x24
	s_load_b256 s[20:27], s[2:3], 0x0
	s_add_u32 s4, s4, 48
	s_addc_u32 s5, s5, 0
	s_add_i32 s9, s9, 4
	s_add_u32 s2, s2, 32
	s_addc_u32 s3, s3, 0
	s_cmp_eq_u32 s7, s9
	s_waitcnt lgkmcnt(0)
	v_mul_hi_u32 v2, s13, v1
	s_delay_alu instid0(VALU_DEP_1) | instskip(NEXT) | instid1(VALU_DEP_1)
	v_add_nc_u32_e32 v2, v1, v2
	v_lshrrev_b32_e32 v2, s14, v2
	s_delay_alu instid0(VALU_DEP_1) | instskip(SKIP_1) | instid1(VALU_DEP_2)
	v_mul_hi_u32 v3, s16, v2
	v_mul_lo_u32 v5, v2, s12
	v_add_nc_u32_e32 v3, v2, v3
	s_delay_alu instid0(VALU_DEP_2) | instskip(NEXT) | instid1(VALU_DEP_2)
	v_sub_nc_u32_e32 v1, v1, v5
	v_lshrrev_b32_e32 v3, s17, v3
	s_delay_alu instid0(VALU_DEP_2) | instskip(SKIP_1) | instid1(VALU_DEP_3)
	v_mul_lo_u32 v5, v1, s20
	v_mul_lo_u32 v7, v1, s21
	v_mul_hi_u32 v4, s19, v3
	s_delay_alu instid0(VALU_DEP_1) | instskip(NEXT) | instid1(VALU_DEP_1)
	v_add_nc_u32_e32 v4, v3, v4
	v_lshrrev_b32_e32 v4, s28, v4
	s_delay_alu instid0(VALU_DEP_1) | instskip(SKIP_1) | instid1(VALU_DEP_2)
	v_mul_hi_u32 v6, s30, v4
	v_mul_lo_u32 v8, v4, s18
	v_add_nc_u32_e32 v1, v4, v6
	v_mul_lo_u32 v6, v3, s15
	s_delay_alu instid0(VALU_DEP_3) | instskip(NEXT) | instid1(VALU_DEP_3)
	v_sub_nc_u32_e32 v3, v3, v8
	v_lshrrev_b32_e32 v1, s31, v1
	s_delay_alu instid0(VALU_DEP_2) | instskip(SKIP_2) | instid1(VALU_DEP_4)
	v_mul_lo_u32 v8, v3, s24
	v_mul_lo_u32 v3, v3, s25
	v_sub_nc_u32_e32 v2, v2, v6
	v_mul_lo_u32 v9, v1, s29
	s_delay_alu instid0(VALU_DEP_2) | instskip(SKIP_1) | instid1(VALU_DEP_3)
	v_mul_lo_u32 v6, v2, s22
	v_mul_lo_u32 v2, v2, s23
	v_sub_nc_u32_e32 v4, v4, v9
	s_delay_alu instid0(VALU_DEP_3) | instskip(NEXT) | instid1(VALU_DEP_2)
	v_add3_u32 v5, v5, v43, v6
	v_mul_lo_u32 v9, v4, s26
	v_mul_lo_u32 v4, v4, s27
	v_add3_u32 v0, v7, v0, v2
	s_delay_alu instid0(VALU_DEP_3) | instskip(NEXT) | instid1(VALU_DEP_2)
	v_add3_u32 v43, v8, v5, v9
	v_add3_u32 v0, v3, v0, v4
	s_cbranch_scc0 .LBB8_162
	s_branch .LBB8_192
.LBB8_163:
	s_mov_b32 s6, -1
                                        ; implicit-def: $vgpr43
                                        ; implicit-def: $vgpr0
	s_branch .LBB8_195
.LBB8_164:
	v_dual_mov_b32 v1, v45 :: v_dual_mov_b32 v0, 0
.LBB8_165:
	s_and_b32 s8, s8, 3
	s_delay_alu instid0(SALU_CYCLE_1)
	s_cmp_eq_u32 s8, 0
	s_cbranch_scc1 .LBB8_168
; %bb.166:
	s_lshl_b32 s2, s7, 3
	s_mul_i32 s4, s7, 12
	s_add_u32 s2, s2, s0
	s_addc_u32 s3, s1, 0
	s_add_u32 s2, s2, 0xc4
	s_addc_u32 s3, s3, 0
	;; [unrolled: 2-line block ×3, first 2 shown]
	.p2align	6
.LBB8_167:                              ; =>This Inner Loop Header: Depth=1
	s_clause 0x1
	s_load_b64 s[10:11], s[4:5], 0x4
	s_load_b32 s7, s[4:5], 0xc
	s_load_b64 s[12:13], s[2:3], 0x0
	s_add_u32 s4, s4, 12
	s_addc_u32 s5, s5, 0
	s_add_u32 s2, s2, 8
	s_addc_u32 s3, s3, 0
	s_add_i32 s8, s8, -1
	s_delay_alu instid0(SALU_CYCLE_1) | instskip(SKIP_2) | instid1(VALU_DEP_1)
	s_cmp_lg_u32 s8, 0
	s_waitcnt lgkmcnt(0)
	v_mul_hi_u32 v2, s11, v1
	v_add_nc_u32_e32 v2, v1, v2
	s_delay_alu instid0(VALU_DEP_1) | instskip(NEXT) | instid1(VALU_DEP_1)
	v_lshrrev_b32_e32 v5, s7, v2
	v_mul_lo_u32 v2, v5, s10
	s_delay_alu instid0(VALU_DEP_1) | instskip(NEXT) | instid1(VALU_DEP_1)
	v_sub_nc_u32_e32 v1, v1, v2
	v_mad_u64_u32 v[2:3], null, v1, s12, v[43:44]
	v_mad_u64_u32 v[3:4], null, v1, s13, v[0:1]
	v_mov_b32_e32 v1, v5
	s_delay_alu instid0(VALU_DEP_2)
	v_dual_mov_b32 v43, v2 :: v_dual_mov_b32 v0, v3
	s_cbranch_scc1 .LBB8_167
.LBB8_168:
	s_and_not1_b32 vcc_lo, exec_lo, s6
	s_cbranch_vccnz .LBB8_171
; %bb.169:
	s_waitcnt lgkmcnt(0)
	v_mul_hi_u32 v0, s45, v45
	s_and_not1_b32 vcc_lo, exec_lo, s57
	s_delay_alu instid0(VALU_DEP_1) | instskip(NEXT) | instid1(VALU_DEP_1)
	v_add_nc_u32_e32 v0, v45, v0
	v_lshrrev_b32_e32 v1, s46, v0
	s_delay_alu instid0(VALU_DEP_1) | instskip(NEXT) | instid1(VALU_DEP_1)
	v_mul_lo_u32 v0, v1, s44
	v_sub_nc_u32_e32 v0, v45, v0
	s_delay_alu instid0(VALU_DEP_1)
	v_mul_lo_u32 v43, v0, s40
	v_mul_lo_u32 v0, v0, s41
	s_cbranch_vccnz .LBB8_171
; %bb.170:
	v_mul_hi_u32 v2, s48, v1
	s_delay_alu instid0(VALU_DEP_1) | instskip(NEXT) | instid1(VALU_DEP_1)
	v_add_nc_u32_e32 v2, v1, v2
	v_lshrrev_b32_e32 v2, s49, v2
	s_delay_alu instid0(VALU_DEP_1) | instskip(NEXT) | instid1(VALU_DEP_1)
	v_mul_lo_u32 v2, v2, s47
	v_sub_nc_u32_e32 v4, v1, v2
	s_delay_alu instid0(VALU_DEP_1) | instskip(NEXT) | instid1(VALU_DEP_1)
	v_mad_u64_u32 v[1:2], null, v4, s42, v[43:44]
	v_mad_u64_u32 v[2:3], null, v4, s43, v[0:1]
	s_delay_alu instid0(VALU_DEP_1)
	v_dual_mov_b32 v43, v1 :: v_dual_mov_b32 v0, v2
.LBB8_171:
	s_waitcnt lgkmcnt(0)
	global_load_b64 v[41:42], v0, s[38:39]
                                        ; implicit-def: $vgpr0_vgpr1
	s_mov_b32 s2, exec_lo
	s_waitcnt vmcnt(0)
	v_cmpx_ge_f64_e32 0x40140000, v[41:42]
	s_xor_b32 s62, exec_lo, s2
	s_cbranch_execz .LBB8_177
; %bb.172:
	v_mov_b32_e32 v0, 0
	v_mov_b32_e32 v1, 0xfff00000
	s_mov_b32 s63, exec_lo
	v_cmpx_neq_f64_e32 0, v[41:42]
	s_cbranch_execz .LBB8_176
; %bb.173:
	v_mov_b32_e32 v0, 0
	v_mov_b32_e32 v1, 0x7ff80000
	s_mov_b32 s64, exec_lo
	v_cmpx_nge_f64_e32 0, v[41:42]
	s_cbranch_execz .LBB8_175
; %bb.174:
	v_mul_f64 v[0:1], v[41:42], v[41:42]
	s_mov_b32 s2, 0xa93f7ac2
	s_mov_b32 s3, 0x40829269
	;; [unrolled: 1-line block ×4, first 2 shown]
	s_mov_b64 s[52:53], s[0:1]
	s_delay_alu instid0(VALU_DEP_1)
	v_fma_f64 v[2:3], v[0:1], 0, s[2:3]
	s_mov_b32 s2, 0xbe58ef7f
	s_mov_b32 s3, 0x410cc160
	s_delay_alu instid0(VALU_DEP_1) | instid1(SALU_CYCLE_1)
	v_fma_f64 v[2:3], v[0:1], v[2:3], s[2:3]
	s_mov_b32 s2, 0x62f9b6c5
	s_mov_b32 s3, 0x41d2d2be
	s_delay_alu instid0(SALU_CYCLE_1) | instskip(SKIP_2) | instid1(VALU_DEP_2)
	v_fma_f64 v[4:5], v[0:1], 0, s[2:3]
	s_mov_b32 s2, 0x58836521
	s_mov_b32 s3, 0xc262d72d
	v_fma_f64 v[2:3], v[0:1], v[2:3], s[4:5]
	s_mov_b32 s4, 0x906b7b83
	s_mov_b32 s5, 0x421178c3
	s_delay_alu instid0(VALU_DEP_2) | instskip(SKIP_2) | instid1(VALU_DEP_2)
	v_fma_f64 v[4:5], v[0:1], v[4:5], s[2:3]
	s_mov_b32 s2, 0xb0910fef
	s_mov_b32 s3, 0x42da0954
	v_fma_f64 v[2:3], v[0:1], v[2:3], s[4:5]
	s_mov_b32 s4, 0xfda99316
	s_mov_b32 s5, 0x428c3f5e
	s_delay_alu instid0(VALU_DEP_2) | instskip(SKIP_2) | instid1(VALU_DEP_2)
	;; [unrolled: 7-line block ×4, first 2 shown]
	v_fma_f64 v[4:5], v[0:1], v[4:5], s[2:3]
	s_mov_b32 s2, 0x5dde2b17
	s_mov_b32 s3, 0xc3a59e41
	v_fma_f64 v[2:3], v[0:1], v[2:3], s[4:5]
	s_mov_b32 s4, 0x90f6747f
	s_mov_b32 s5, 0x43cb90f1
	s_delay_alu instid0(VALU_DEP_2) | instskip(SKIP_3) | instid1(VALU_DEP_2)
	v_fma_f64 v[4:5], v[0:1], v[4:5], s[2:3]
	s_getpc_b64 s[2:3]
	s_add_u32 s2, s2, _Z17bessel_j1_forwardIdET_S0_@rel32@lo+4
	s_addc_u32 s3, s3, _Z17bessel_j1_forwardIdET_S0_@rel32@hi+12
	v_fma_f64 v[0:1], v[0:1], v[2:3], s[4:5]
	s_delay_alu instid0(VALU_DEP_1) | instskip(NEXT) | instid1(VALU_DEP_1)
	v_div_scale_f64 v[2:3], null, v[0:1], v[0:1], v[4:5]
	v_rcp_f64_e32 v[6:7], v[2:3]
	s_waitcnt_depctr 0xfff
	v_fma_f64 v[8:9], -v[2:3], v[6:7], 1.0
	s_delay_alu instid0(VALU_DEP_1) | instskip(NEXT) | instid1(VALU_DEP_1)
	v_fma_f64 v[6:7], v[6:7], v[8:9], v[6:7]
	v_fma_f64 v[8:9], -v[2:3], v[6:7], 1.0
	s_delay_alu instid0(VALU_DEP_1) | instskip(SKIP_1) | instid1(VALU_DEP_1)
	v_fma_f64 v[6:7], v[6:7], v[8:9], v[6:7]
	v_div_scale_f64 v[8:9], vcc_lo, v[4:5], v[0:1], v[4:5]
	v_mul_f64 v[10:11], v[8:9], v[6:7]
	s_delay_alu instid0(VALU_DEP_1) | instskip(NEXT) | instid1(VALU_DEP_1)
	v_fma_f64 v[2:3], -v[2:3], v[10:11], v[8:9]
	v_div_fmas_f64 v[2:3], v[2:3], v[6:7], v[10:11]
	s_delay_alu instid0(VALU_DEP_1)
	v_div_fixup_f64 v[46:47], v[2:3], v[0:1], v[4:5]
	v_dual_mov_b32 v0, v41 :: v_dual_mov_b32 v1, v42
	s_swappc_b64 s[30:31], s[2:3]
	v_frexp_mant_f64_e32 v[2:3], v[41:42]
	s_mov_b32 s3, 0x3fe55555
	s_mov_b32 s2, 0x55555555
	v_mov_b32_e32 v4, 0
	s_mov_b32 s4, 0x6b47b09a
	s_mov_b32 s6, 0xbf559e2b
	;; [unrolled: 1-line block ×4, first 2 shown]
	v_div_scale_f64 v[18:19], null, v[41:42], v[41:42], -1.0
	s_mov_b64 s[0:1], s[52:53]
	s_delay_alu instid0(VALU_DEP_3) | instskip(SKIP_1) | instid1(VALU_DEP_2)
	v_cmp_gt_f64_e32 vcc_lo, s[2:3], v[2:3]
	s_mov_b32 s2, 0x55555780
	v_rcp_f64_e32 v[22:23], v[18:19]
	v_cndmask_b32_e64 v5, 0x3ff00000, 2.0, vcc_lo
	s_delay_alu instid0(VALU_DEP_1) | instskip(NEXT) | instid1(VALU_DEP_1)
	v_mul_f64 v[2:3], v[2:3], v[4:5]
	v_add_f64 v[4:5], v[2:3], 1.0
	v_add_f64 v[10:11], v[2:3], -1.0
	s_delay_alu instid0(VALU_DEP_2) | instskip(SKIP_1) | instid1(VALU_DEP_1)
	v_rcp_f64_e32 v[6:7], v[4:5]
	v_add_f64 v[12:13], v[4:5], -1.0
	v_add_f64 v[2:3], v[2:3], -v[12:13]
	s_waitcnt_depctr 0xfff
	v_fma_f64 v[8:9], -v[4:5], v[6:7], 1.0
	s_delay_alu instid0(VALU_DEP_1) | instskip(NEXT) | instid1(VALU_DEP_1)
	v_fma_f64 v[6:7], v[8:9], v[6:7], v[6:7]
	v_fma_f64 v[8:9], -v[4:5], v[6:7], 1.0
	s_delay_alu instid0(VALU_DEP_1) | instskip(NEXT) | instid1(VALU_DEP_1)
	v_fma_f64 v[6:7], v[8:9], v[6:7], v[6:7]
	v_mul_f64 v[8:9], v[10:11], v[6:7]
	s_delay_alu instid0(VALU_DEP_1) | instskip(NEXT) | instid1(VALU_DEP_1)
	v_mul_f64 v[14:15], v[4:5], v[8:9]
	v_fma_f64 v[4:5], v[8:9], v[4:5], -v[14:15]
	s_delay_alu instid0(VALU_DEP_1) | instskip(NEXT) | instid1(VALU_DEP_1)
	v_fma_f64 v[2:3], v[8:9], v[2:3], v[4:5]
	v_add_f64 v[4:5], v[14:15], v[2:3]
	s_delay_alu instid0(VALU_DEP_1) | instskip(SKIP_1) | instid1(VALU_DEP_2)
	v_add_f64 v[12:13], v[10:11], -v[4:5]
	v_add_f64 v[14:15], v[4:5], -v[14:15]
	;; [unrolled: 1-line block ×3, first 2 shown]
	s_delay_alu instid0(VALU_DEP_2) | instskip(SKIP_1) | instid1(VALU_DEP_3)
	v_add_f64 v[2:3], v[14:15], -v[2:3]
	v_frexp_exp_i32_f64_e32 v14, v[41:42]
	v_add_f64 v[4:5], v[10:11], -v[4:5]
	s_delay_alu instid0(VALU_DEP_1) | instskip(NEXT) | instid1(VALU_DEP_1)
	v_add_f64 v[2:3], v[2:3], v[4:5]
	v_add_f64 v[2:3], v[12:13], v[2:3]
	s_delay_alu instid0(VALU_DEP_1) | instskip(NEXT) | instid1(VALU_DEP_1)
	v_mul_f64 v[2:3], v[6:7], v[2:3]
	v_add_f64 v[4:5], v[8:9], v[2:3]
	s_delay_alu instid0(VALU_DEP_1) | instskip(NEXT) | instid1(VALU_DEP_1)
	v_mul_f64 v[6:7], v[4:5], v[4:5]
	v_fma_f64 v[10:11], v[6:7], s[6:7], s[4:5]
	s_mov_b32 s4, 0xd7f4df2e
	s_mov_b32 s5, 0x3fc7474d
	v_mul_f64 v[12:13], v[4:5], v[6:7]
	s_delay_alu instid0(VALU_DEP_2)
	v_fma_f64 v[10:11], v[6:7], v[10:11], s[4:5]
	s_mov_b32 s4, 0x16291751
	s_mov_b32 s5, 0x3fcc71c0
	s_delay_alu instid0(VALU_DEP_1) | instid1(SALU_CYCLE_1)
	v_fma_f64 v[10:11], v[6:7], v[10:11], s[4:5]
	s_mov_b32 s4, 0x9b27acf1
	s_mov_b32 s5, 0x3fd24924
	s_delay_alu instid0(VALU_DEP_1) | instid1(SALU_CYCLE_1)
	;; [unrolled: 4-line block ×3, first 2 shown]
	v_fma_f64 v[10:11], v[6:7], v[10:11], s[4:5]
	s_delay_alu instid0(VALU_DEP_1) | instskip(SKIP_4) | instid1(VALU_DEP_3)
	v_fma_f64 v[6:7], v[6:7], v[10:11], s[2:3]
	v_ldexp_f64 v[10:11], v[4:5], 1
	v_add_f64 v[4:5], v[4:5], -v[8:9]
	s_mov_b32 s2, 0xfefa39ef
	s_mov_b32 s3, 0x3fe62e42
	v_mul_f64 v[6:7], v[12:13], v[6:7]
	v_subrev_co_ci_u32_e32 v12, vcc_lo, 0, v14, vcc_lo
	s_delay_alu instid0(VALU_DEP_3) | instskip(NEXT) | instid1(VALU_DEP_2)
	v_add_f64 v[2:3], v[2:3], -v[4:5]
	v_cvt_f64_i32_e32 v[12:13], v12
	s_delay_alu instid0(VALU_DEP_4) | instskip(NEXT) | instid1(VALU_DEP_3)
	v_add_f64 v[8:9], v[10:11], v[6:7]
	v_ldexp_f64 v[2:3], v[2:3], 1
	s_delay_alu instid0(VALU_DEP_3) | instskip(NEXT) | instid1(VALU_DEP_3)
	v_mul_f64 v[14:15], v[12:13], s[2:3]
	v_add_f64 v[4:5], v[8:9], -v[10:11]
	s_delay_alu instid0(VALU_DEP_2) | instskip(SKIP_2) | instid1(VALU_DEP_2)
	v_fma_f64 v[10:11], v[12:13], s[2:3], -v[14:15]
	s_mov_b32 s2, 0x3b39803f
	s_mov_b32 s3, 0x3c7abc9e
	v_add_f64 v[4:5], v[6:7], -v[4:5]
	s_delay_alu instid0(VALU_DEP_2) | instskip(SKIP_2) | instid1(VALU_DEP_2)
	v_fma_f64 v[6:7], v[12:13], s[2:3], v[10:11]
	s_mov_b32 s2, 0x6dc9c883
	s_mov_b32 s3, 0x3fe45f30
	v_add_f64 v[2:3], v[2:3], v[4:5]
	s_delay_alu instid0(VALU_DEP_2) | instskip(NEXT) | instid1(VALU_DEP_2)
	v_add_f64 v[4:5], v[14:15], v[6:7]
	v_add_f64 v[10:11], v[8:9], v[2:3]
	s_delay_alu instid0(VALU_DEP_2) | instskip(NEXT) | instid1(VALU_DEP_2)
	v_add_f64 v[14:15], v[4:5], -v[14:15]
	v_add_f64 v[12:13], v[4:5], v[10:11]
	v_add_f64 v[8:9], v[10:11], -v[8:9]
	s_delay_alu instid0(VALU_DEP_3) | instskip(NEXT) | instid1(VALU_DEP_3)
	v_add_f64 v[6:7], v[6:7], -v[14:15]
	v_add_f64 v[16:17], v[12:13], -v[4:5]
	s_delay_alu instid0(VALU_DEP_3) | instskip(NEXT) | instid1(VALU_DEP_2)
	v_add_f64 v[2:3], v[2:3], -v[8:9]
	v_add_f64 v[20:21], v[12:13], -v[16:17]
	;; [unrolled: 1-line block ×3, first 2 shown]
	v_fma_f64 v[10:11], -v[18:19], v[22:23], 1.0
	s_delay_alu instid0(VALU_DEP_4) | instskip(NEXT) | instid1(VALU_DEP_4)
	v_add_f64 v[14:15], v[6:7], v[2:3]
	v_add_f64 v[4:5], v[4:5], -v[20:21]
	s_delay_alu instid0(VALU_DEP_1) | instskip(NEXT) | instid1(VALU_DEP_4)
	v_add_f64 v[4:5], v[8:9], v[4:5]
	v_fma_f64 v[8:9], v[22:23], v[10:11], v[22:23]
	s_delay_alu instid0(VALU_DEP_4) | instskip(SKIP_1) | instid1(VALU_DEP_4)
	v_add_f64 v[10:11], v[14:15], -v[6:7]
	v_div_scale_f64 v[22:23], vcc_lo, -1.0, v[41:42], -1.0
	v_add_f64 v[4:5], v[14:15], v[4:5]
	s_delay_alu instid0(VALU_DEP_4) | instskip(NEXT) | instid1(VALU_DEP_4)
	v_fma_f64 v[16:17], -v[18:19], v[8:9], 1.0
	v_add_f64 v[14:15], v[14:15], -v[10:11]
	v_add_f64 v[2:3], v[2:3], -v[10:11]
	s_delay_alu instid0(VALU_DEP_4) | instskip(NEXT) | instid1(VALU_DEP_4)
	v_add_f64 v[20:21], v[12:13], v[4:5]
	v_fma_f64 v[8:9], v[8:9], v[16:17], v[8:9]
	s_delay_alu instid0(VALU_DEP_4) | instskip(NEXT) | instid1(VALU_DEP_3)
	v_add_f64 v[6:7], v[6:7], -v[14:15]
	v_add_f64 v[10:11], v[20:21], -v[12:13]
	s_delay_alu instid0(VALU_DEP_3) | instskip(NEXT) | instid1(VALU_DEP_3)
	v_mul_f64 v[12:13], v[22:23], v[8:9]
	v_add_f64 v[2:3], v[2:3], v[6:7]
	s_delay_alu instid0(VALU_DEP_3) | instskip(NEXT) | instid1(VALU_DEP_3)
	v_add_f64 v[4:5], v[4:5], -v[10:11]
	v_fma_f64 v[6:7], -v[18:19], v[12:13], v[22:23]
	s_delay_alu instid0(VALU_DEP_2) | instskip(NEXT) | instid1(VALU_DEP_2)
	v_add_f64 v[2:3], v[2:3], v[4:5]
	v_div_fmas_f64 v[4:5], v[6:7], v[8:9], v[12:13]
	s_delay_alu instid0(VALU_DEP_2) | instskip(NEXT) | instid1(VALU_DEP_2)
	v_add_f64 v[2:3], v[20:21], v[2:3]
	v_div_fixup_f64 v[4:5], v[4:5], v[41:42], -1.0
	s_delay_alu instid0(VALU_DEP_1) | instskip(NEXT) | instid1(VALU_DEP_1)
	v_fma_f64 v[0:1], v[2:3], v[0:1], v[4:5]
	v_mul_f64 v[0:1], v[0:1], s[2:3]
	s_delay_alu instid0(VALU_DEP_1)
	v_fma_f64 v[0:1], v[41:42], v[46:47], v[0:1]
.LBB8_175:
	s_or_b32 exec_lo, exec_lo, s64
.LBB8_176:
	s_delay_alu instid0(SALU_CYCLE_1)
	s_or_b32 exec_lo, exec_lo, s63
                                        ; implicit-def: $vgpr41_vgpr42
.LBB8_177:
	s_and_not1_saveexec_b32 s5, s62
	s_cbranch_execz .LBB8_187
; %bb.178:
	s_mov_b32 s2, 0x7f3321d2
	s_mov_b32 s3, 0xc002d97c
                                        ; implicit-def: $vgpr10
                                        ; implicit-def: $vgpr2_vgpr3
                                        ; implicit-def: $vgpr4_vgpr5
	s_delay_alu instid0(SALU_CYCLE_1) | instskip(NEXT) | instid1(VALU_DEP_1)
	v_add_f64 v[0:1], v[41:42], s[2:3]
	v_cmp_ngt_f64_e64 s3, 0x41d00000, |v[0:1]|
	s_delay_alu instid0(VALU_DEP_1) | instskip(NEXT) | instid1(SALU_CYCLE_1)
	s_and_saveexec_b32 s2, s3
	s_xor_b32 s4, exec_lo, s2
	s_cbranch_execz .LBB8_180
; %bb.179:
	v_ldexp_f64 v[2:3], |v[0:1]|, 0xffffff80
	v_cmp_le_f64_e64 vcc_lo, 0x7b000000, |v[0:1]|
	v_trig_preop_f64 v[4:5], |v[0:1]|, 0
	v_and_b32_e32 v6, 0x7fffffff, v1
	v_trig_preop_f64 v[16:17], |v[0:1]|, 2
	v_mov_b32_e32 v24, 0
	s_mov_b32 s6, 0x54442d18
	s_mov_b32 s7, 0x3ff921fb
	;; [unrolled: 1-line block ×4, first 2 shown]
	v_dual_cndmask_b32 v3, v6, v3 :: v_dual_cndmask_b32 v2, v0, v2
	v_trig_preop_f64 v[6:7], |v[0:1]|, 1
	s_delay_alu instid0(VALU_DEP_2) | instskip(SKIP_1) | instid1(VALU_DEP_3)
	v_mul_f64 v[8:9], v[4:5], v[2:3]
	v_mul_f64 v[22:23], v[16:17], v[2:3]
	;; [unrolled: 1-line block ×3, first 2 shown]
	s_delay_alu instid0(VALU_DEP_3) | instskip(NEXT) | instid1(VALU_DEP_2)
	v_fma_f64 v[4:5], v[4:5], v[2:3], -v[8:9]
	v_fma_f64 v[6:7], v[6:7], v[2:3], -v[10:11]
	s_delay_alu instid0(VALU_DEP_4) | instskip(NEXT) | instid1(VALU_DEP_3)
	v_fma_f64 v[2:3], v[16:17], v[2:3], -v[22:23]
	v_add_f64 v[12:13], v[10:11], v[4:5]
	s_delay_alu instid0(VALU_DEP_1) | instskip(SKIP_1) | instid1(VALU_DEP_2)
	v_add_f64 v[14:15], v[12:13], -v[10:11]
	v_add_f64 v[20:21], v[8:9], v[12:13]
	v_add_f64 v[18:19], v[12:13], -v[14:15]
	v_add_f64 v[4:5], v[4:5], -v[14:15]
	s_delay_alu instid0(VALU_DEP_3) | instskip(SKIP_1) | instid1(VALU_DEP_4)
	v_ldexp_f64 v[14:15], v[20:21], -2
	v_add_f64 v[8:9], v[20:21], -v[8:9]
	v_add_f64 v[10:11], v[10:11], -v[18:19]
	v_add_f64 v[18:19], v[22:23], v[6:7]
	s_delay_alu instid0(VALU_DEP_4) | instskip(NEXT) | instid1(VALU_DEP_4)
	v_cmp_neq_f64_e64 vcc_lo, 0x7ff00000, |v[14:15]|
	v_add_f64 v[8:9], v[12:13], -v[8:9]
	s_delay_alu instid0(VALU_DEP_4) | instskip(SKIP_1) | instid1(VALU_DEP_2)
	v_add_f64 v[4:5], v[4:5], v[10:11]
	v_fract_f64_e32 v[10:11], v[14:15]
	v_add_f64 v[12:13], v[18:19], v[4:5]
	s_delay_alu instid0(VALU_DEP_2) | instskip(NEXT) | instid1(VALU_DEP_1)
	v_dual_cndmask_b32 v11, 0, v11 :: v_dual_cndmask_b32 v10, 0, v10
	v_ldexp_f64 v[10:11], v[10:11], 2
	s_delay_alu instid0(VALU_DEP_3) | instskip(NEXT) | instid1(VALU_DEP_1)
	v_add_f64 v[14:15], v[8:9], v[12:13]
	v_add_f64 v[20:21], v[14:15], v[10:11]
	v_add_f64 v[8:9], v[14:15], -v[8:9]
	s_delay_alu instid0(VALU_DEP_2) | instskip(SKIP_1) | instid1(VALU_DEP_3)
	v_cmp_gt_f64_e32 vcc_lo, 0, v[20:21]
	v_add_f64 v[20:21], v[18:19], -v[22:23]
	v_add_f64 v[8:9], v[12:13], -v[8:9]
	v_cndmask_b32_e64 v25, 0, 0x40100000, vcc_lo
	s_delay_alu instid0(VALU_DEP_3) | instskip(SKIP_1) | instid1(VALU_DEP_3)
	v_add_f64 v[29:30], v[18:19], -v[20:21]
	v_add_f64 v[6:7], v[6:7], -v[20:21]
	v_add_f64 v[10:11], v[10:11], v[24:25]
	v_add_f64 v[25:26], v[12:13], -v[18:19]
	s_delay_alu instid0(VALU_DEP_4) | instskip(NEXT) | instid1(VALU_DEP_3)
	v_add_f64 v[20:21], v[22:23], -v[29:30]
	v_add_f64 v[27:28], v[14:15], v[10:11]
	s_delay_alu instid0(VALU_DEP_3) | instskip(SKIP_1) | instid1(VALU_DEP_4)
	v_add_f64 v[31:32], v[12:13], -v[25:26]
	v_add_f64 v[4:5], v[4:5], -v[25:26]
	v_add_f64 v[6:7], v[6:7], v[20:21]
	s_delay_alu instid0(VALU_DEP_4) | instskip(NEXT) | instid1(VALU_DEP_4)
	v_cvt_i32_f64_e32 v27, v[27:28]
	v_add_f64 v[18:19], v[18:19], -v[31:32]
	s_delay_alu instid0(VALU_DEP_2) | instskip(NEXT) | instid1(VALU_DEP_2)
	v_cvt_f64_i32_e32 v[25:26], v27
	v_add_f64 v[4:5], v[4:5], v[18:19]
	s_delay_alu instid0(VALU_DEP_2) | instskip(NEXT) | instid1(VALU_DEP_2)
	v_add_f64 v[10:11], v[10:11], -v[25:26]
	v_add_f64 v[4:5], v[6:7], v[4:5]
	s_delay_alu instid0(VALU_DEP_2) | instskip(NEXT) | instid1(VALU_DEP_2)
	v_add_f64 v[6:7], v[14:15], v[10:11]
	v_add_f64 v[2:3], v[2:3], v[4:5]
	s_delay_alu instid0(VALU_DEP_2) | instskip(SKIP_1) | instid1(VALU_DEP_3)
	v_add_f64 v[4:5], v[6:7], -v[10:11]
	v_cmp_le_f64_e32 vcc_lo, 0.5, v[6:7]
	v_add_f64 v[2:3], v[8:9], v[2:3]
	s_delay_alu instid0(VALU_DEP_3) | instskip(SKIP_2) | instid1(VALU_DEP_3)
	v_add_f64 v[4:5], v[14:15], -v[4:5]
	v_cndmask_b32_e64 v25, 0, 0x3ff00000, vcc_lo
	v_add_co_ci_u32_e64 v10, s2, 0, v27, vcc_lo
	v_add_f64 v[2:3], v[2:3], v[4:5]
	s_delay_alu instid0(VALU_DEP_3) | instskip(NEXT) | instid1(VALU_DEP_1)
	v_add_f64 v[4:5], v[6:7], -v[24:25]
	v_add_f64 v[6:7], v[4:5], v[2:3]
	s_delay_alu instid0(VALU_DEP_1) | instskip(SKIP_1) | instid1(VALU_DEP_2)
	v_mul_f64 v[8:9], v[6:7], s[6:7]
	v_add_f64 v[4:5], v[6:7], -v[4:5]
	v_fma_f64 v[11:12], v[6:7], s[6:7], -v[8:9]
	s_delay_alu instid0(VALU_DEP_2) | instskip(NEXT) | instid1(VALU_DEP_2)
	v_add_f64 v[2:3], v[2:3], -v[4:5]
	v_fma_f64 v[4:5], v[6:7], s[8:9], v[11:12]
	s_delay_alu instid0(VALU_DEP_1) | instskip(NEXT) | instid1(VALU_DEP_1)
	v_fma_f64 v[4:5], v[2:3], s[6:7], v[4:5]
	v_add_f64 v[2:3], v[8:9], v[4:5]
	s_delay_alu instid0(VALU_DEP_1) | instskip(NEXT) | instid1(VALU_DEP_1)
	v_add_f64 v[6:7], v[2:3], -v[8:9]
	v_add_f64 v[4:5], v[4:5], -v[6:7]
	s_and_not1_saveexec_b32 s2, s4
	s_cbranch_execz .LBB8_182
	s_branch .LBB8_181
.LBB8_180:
	s_and_not1_saveexec_b32 s2, s4
	s_cbranch_execz .LBB8_182
.LBB8_181:
	s_mov_b32 s6, 0x6dc9c883
	s_mov_b32 s7, 0x3fe45f30
	;; [unrolled: 1-line block ×3, first 2 shown]
	v_mul_f64 v[2:3], |v[0:1]|, s[6:7]
	s_mov_b32 s6, 0x54442d18
	s_mov_b32 s7, 0xbff921fb
	;; [unrolled: 1-line block ×3, first 2 shown]
	s_delay_alu instid0(VALU_DEP_1) | instskip(NEXT) | instid1(VALU_DEP_1)
	v_rndne_f64_e32 v[6:7], v[2:3]
	v_fma_f64 v[2:3], v[6:7], s[6:7], |v[0:1]|
	v_mul_f64 v[4:5], v[6:7], s[8:9]
	s_mov_b32 s6, 0x252049c0
	s_mov_b32 s7, 0xb97b839a
	s_delay_alu instid0(VALU_DEP_2) | instskip(NEXT) | instid1(VALU_DEP_2)
	v_fma_f64 v[10:11], v[6:7], s[8:9], v[2:3]
	v_add_f64 v[8:9], v[2:3], v[4:5]
	s_mov_b32 s9, 0x3c91a626
	s_delay_alu instid0(VALU_DEP_1) | instskip(NEXT) | instid1(VALU_DEP_3)
	v_add_f64 v[2:3], v[2:3], -v[8:9]
	v_add_f64 v[8:9], v[8:9], -v[10:11]
	s_delay_alu instid0(VALU_DEP_2) | instskip(SKIP_1) | instid1(VALU_DEP_2)
	v_add_f64 v[2:3], v[2:3], v[4:5]
	v_fma_f64 v[4:5], v[6:7], s[8:9], v[4:5]
	v_add_f64 v[2:3], v[8:9], v[2:3]
	s_delay_alu instid0(VALU_DEP_1) | instskip(NEXT) | instid1(VALU_DEP_1)
	v_add_f64 v[2:3], v[2:3], -v[4:5]
	v_fma_f64 v[4:5], v[6:7], s[6:7], v[2:3]
	s_delay_alu instid0(VALU_DEP_1) | instskip(NEXT) | instid1(VALU_DEP_1)
	v_add_f64 v[2:3], v[10:11], v[4:5]
	v_add_f64 v[8:9], v[2:3], -v[10:11]
	v_cvt_i32_f64_e32 v10, v[6:7]
	s_delay_alu instid0(VALU_DEP_2)
	v_add_f64 v[4:5], v[4:5], -v[8:9]
.LBB8_182:
	s_or_b32 exec_lo, exec_lo, s2
                                        ; implicit-def: $vgpr11
                                        ; implicit-def: $vgpr6_vgpr7
                                        ; implicit-def: $vgpr8_vgpr9
	s_and_saveexec_b32 s2, s3
	s_delay_alu instid0(SALU_CYCLE_1)
	s_xor_b32 s3, exec_lo, s2
	s_cbranch_execz .LBB8_184
; %bb.183:
	v_ldexp_f64 v[6:7], |v[0:1]|, 0xffffff80
	v_cmp_le_f64_e64 vcc_lo, 0x7b000000, |v[0:1]|
	v_trig_preop_f64 v[8:9], |v[0:1]|, 0
	v_and_b32_e32 v11, 0x7fffffff, v1
	v_trig_preop_f64 v[21:22], |v[0:1]|, 2
	v_mov_b32_e32 v29, 0
	s_mov_b32 s6, 0x54442d18
	s_mov_b32 s7, 0x3ff921fb
	;; [unrolled: 1-line block ×4, first 2 shown]
	v_dual_cndmask_b32 v6, v0, v6 :: v_dual_cndmask_b32 v7, v11, v7
	v_trig_preop_f64 v[11:12], |v[0:1]|, 1
	s_delay_alu instid0(VALU_DEP_2) | instskip(NEXT) | instid1(VALU_DEP_2)
	v_mul_f64 v[13:14], v[8:9], v[6:7]
	v_mul_f64 v[15:16], v[11:12], v[6:7]
	s_delay_alu instid0(VALU_DEP_2) | instskip(NEXT) | instid1(VALU_DEP_2)
	v_fma_f64 v[8:9], v[8:9], v[6:7], -v[13:14]
	v_fma_f64 v[11:12], v[11:12], v[6:7], -v[15:16]
	s_delay_alu instid0(VALU_DEP_2) | instskip(NEXT) | instid1(VALU_DEP_1)
	v_add_f64 v[17:18], v[15:16], v[8:9]
	v_add_f64 v[19:20], v[17:18], -v[15:16]
	v_add_f64 v[25:26], v[13:14], v[17:18]
	s_delay_alu instid0(VALU_DEP_2) | instskip(SKIP_1) | instid1(VALU_DEP_3)
	v_add_f64 v[23:24], v[17:18], -v[19:20]
	v_add_f64 v[8:9], v[8:9], -v[19:20]
	v_ldexp_f64 v[19:20], v[25:26], -2
	v_add_f64 v[13:14], v[25:26], -v[13:14]
	s_delay_alu instid0(VALU_DEP_4) | instskip(NEXT) | instid1(VALU_DEP_3)
	v_add_f64 v[15:16], v[15:16], -v[23:24]
	v_cmp_neq_f64_e64 vcc_lo, 0x7ff00000, |v[19:20]|
	s_delay_alu instid0(VALU_DEP_3) | instskip(NEXT) | instid1(VALU_DEP_3)
	v_add_f64 v[13:14], v[17:18], -v[13:14]
	v_add_f64 v[8:9], v[8:9], v[15:16]
	v_fract_f64_e32 v[15:16], v[19:20]
	s_delay_alu instid0(VALU_DEP_1) | instskip(SKIP_1) | instid1(VALU_DEP_3)
	v_cndmask_b32_e32 v16, 0, v16, vcc_lo
	v_mul_f64 v[27:28], v[21:22], v[6:7]
	v_cndmask_b32_e32 v15, 0, v15, vcc_lo
	s_delay_alu instid0(VALU_DEP_1) | instskip(NEXT) | instid1(VALU_DEP_3)
	v_ldexp_f64 v[15:16], v[15:16], 2
	v_add_f64 v[23:24], v[27:28], v[11:12]
	v_fma_f64 v[6:7], v[21:22], v[6:7], -v[27:28]
	s_delay_alu instid0(VALU_DEP_2) | instskip(NEXT) | instid1(VALU_DEP_1)
	v_add_f64 v[17:18], v[23:24], v[8:9]
	v_add_f64 v[19:20], v[13:14], v[17:18]
	s_delay_alu instid0(VALU_DEP_1) | instskip(SKIP_1) | instid1(VALU_DEP_2)
	v_add_f64 v[25:26], v[19:20], v[15:16]
	v_add_f64 v[13:14], v[19:20], -v[13:14]
	v_cmp_gt_f64_e32 vcc_lo, 0, v[25:26]
	v_add_f64 v[25:26], v[23:24], -v[27:28]
	v_cndmask_b32_e64 v30, 0, 0x40100000, vcc_lo
	s_delay_alu instid0(VALU_DEP_2) | instskip(SKIP_1) | instid1(VALU_DEP_3)
	v_add_f64 v[34:35], v[23:24], -v[25:26]
	v_add_f64 v[11:12], v[11:12], -v[25:26]
	v_add_f64 v[15:16], v[15:16], v[29:30]
	v_add_f64 v[30:31], v[17:18], -v[23:24]
	s_delay_alu instid0(VALU_DEP_4) | instskip(NEXT) | instid1(VALU_DEP_3)
	v_add_f64 v[25:26], v[27:28], -v[34:35]
	v_add_f64 v[32:33], v[19:20], v[15:16]
	s_delay_alu instid0(VALU_DEP_3) | instskip(SKIP_1) | instid1(VALU_DEP_4)
	v_add_f64 v[36:37], v[17:18], -v[30:31]
	v_add_f64 v[8:9], v[8:9], -v[30:31]
	v_add_f64 v[11:12], v[11:12], v[25:26]
	s_delay_alu instid0(VALU_DEP_4) | instskip(NEXT) | instid1(VALU_DEP_4)
	v_cvt_i32_f64_e32 v32, v[32:33]
	v_add_f64 v[23:24], v[23:24], -v[36:37]
	s_delay_alu instid0(VALU_DEP_2) | instskip(NEXT) | instid1(VALU_DEP_2)
	v_cvt_f64_i32_e32 v[30:31], v32
	v_add_f64 v[8:9], v[8:9], v[23:24]
	s_delay_alu instid0(VALU_DEP_2) | instskip(NEXT) | instid1(VALU_DEP_2)
	v_add_f64 v[15:16], v[15:16], -v[30:31]
	v_add_f64 v[8:9], v[11:12], v[8:9]
	v_add_f64 v[11:12], v[17:18], -v[13:14]
	s_delay_alu instid0(VALU_DEP_3) | instskip(NEXT) | instid1(VALU_DEP_3)
	v_add_f64 v[21:22], v[19:20], v[15:16]
	v_add_f64 v[6:7], v[6:7], v[8:9]
	s_delay_alu instid0(VALU_DEP_2) | instskip(SKIP_1) | instid1(VALU_DEP_3)
	v_add_f64 v[8:9], v[21:22], -v[15:16]
	v_cmp_le_f64_e32 vcc_lo, 0.5, v[21:22]
	v_add_f64 v[6:7], v[11:12], v[6:7]
	s_delay_alu instid0(VALU_DEP_3) | instskip(SKIP_2) | instid1(VALU_DEP_3)
	v_add_f64 v[8:9], v[19:20], -v[8:9]
	v_cndmask_b32_e64 v30, 0, 0x3ff00000, vcc_lo
	v_add_co_ci_u32_e64 v11, s2, 0, v32, vcc_lo
	v_add_f64 v[6:7], v[6:7], v[8:9]
	s_delay_alu instid0(VALU_DEP_3) | instskip(NEXT) | instid1(VALU_DEP_1)
	v_add_f64 v[8:9], v[21:22], -v[29:30]
	v_add_f64 v[12:13], v[8:9], v[6:7]
	s_delay_alu instid0(VALU_DEP_1) | instskip(SKIP_1) | instid1(VALU_DEP_2)
	v_mul_f64 v[14:15], v[12:13], s[6:7]
	v_add_f64 v[8:9], v[12:13], -v[8:9]
	v_fma_f64 v[16:17], v[12:13], s[6:7], -v[14:15]
	s_delay_alu instid0(VALU_DEP_2) | instskip(NEXT) | instid1(VALU_DEP_2)
	v_add_f64 v[6:7], v[6:7], -v[8:9]
	v_fma_f64 v[8:9], v[12:13], s[8:9], v[16:17]
	s_delay_alu instid0(VALU_DEP_1) | instskip(NEXT) | instid1(VALU_DEP_1)
	v_fma_f64 v[8:9], v[6:7], s[6:7], v[8:9]
	v_add_f64 v[6:7], v[14:15], v[8:9]
	s_delay_alu instid0(VALU_DEP_1) | instskip(NEXT) | instid1(VALU_DEP_1)
	v_add_f64 v[12:13], v[6:7], -v[14:15]
	v_add_f64 v[8:9], v[8:9], -v[12:13]
	s_and_not1_saveexec_b32 s2, s3
	s_cbranch_execnz .LBB8_185
	s_branch .LBB8_186
.LBB8_184:
	s_and_not1_saveexec_b32 s2, s3
	s_cbranch_execz .LBB8_186
.LBB8_185:
	s_mov_b32 s6, 0x6dc9c883
	s_mov_b32 s7, 0x3fe45f30
	;; [unrolled: 1-line block ×3, first 2 shown]
	v_mul_f64 v[6:7], |v[0:1]|, s[6:7]
	s_mov_b32 s6, 0x54442d18
	s_mov_b32 s7, 0xbff921fb
	;; [unrolled: 1-line block ×3, first 2 shown]
	s_delay_alu instid0(VALU_DEP_1) | instskip(NEXT) | instid1(VALU_DEP_1)
	v_rndne_f64_e32 v[11:12], v[6:7]
	v_fma_f64 v[6:7], v[11:12], s[6:7], |v[0:1]|
	v_mul_f64 v[8:9], v[11:12], s[8:9]
	s_mov_b32 s6, 0x252049c0
	s_mov_b32 s7, 0xb97b839a
	s_delay_alu instid0(VALU_DEP_2) | instskip(NEXT) | instid1(VALU_DEP_2)
	v_fma_f64 v[15:16], v[11:12], s[8:9], v[6:7]
	v_add_f64 v[13:14], v[6:7], v[8:9]
	s_mov_b32 s9, 0x3c91a626
	s_delay_alu instid0(VALU_DEP_1) | instskip(NEXT) | instid1(VALU_DEP_3)
	v_add_f64 v[6:7], v[6:7], -v[13:14]
	v_add_f64 v[13:14], v[13:14], -v[15:16]
	s_delay_alu instid0(VALU_DEP_2) | instskip(SKIP_1) | instid1(VALU_DEP_2)
	v_add_f64 v[6:7], v[6:7], v[8:9]
	v_fma_f64 v[8:9], v[11:12], s[8:9], v[8:9]
	v_add_f64 v[6:7], v[13:14], v[6:7]
	s_delay_alu instid0(VALU_DEP_1) | instskip(NEXT) | instid1(VALU_DEP_1)
	v_add_f64 v[6:7], v[6:7], -v[8:9]
	v_fma_f64 v[8:9], v[11:12], s[6:7], v[6:7]
	v_cvt_i32_f64_e32 v11, v[11:12]
	s_delay_alu instid0(VALU_DEP_2) | instskip(NEXT) | instid1(VALU_DEP_1)
	v_add_f64 v[6:7], v[15:16], v[8:9]
	v_add_f64 v[13:14], v[6:7], -v[15:16]
	s_delay_alu instid0(VALU_DEP_1)
	v_add_f64 v[8:9], v[8:9], -v[13:14]
.LBB8_186:
	s_or_b32 exec_lo, exec_lo, s2
	v_div_scale_f64 v[12:13], null, v[41:42], v[41:42], 0x40140000
	v_div_scale_f64 v[18:19], vcc_lo, 0x40140000, v[41:42], 0x40140000
	s_mov_b32 s2, 0x6b70ba40
	s_mov_b32 s3, 0x3faa27fa
	;; [unrolled: 1-line block ×6, first 2 shown]
	v_mul_f64 v[26:27], v[2:3], v[2:3]
	v_mul_f64 v[32:33], v[6:7], v[6:7]
	s_mov_b32 s10, 0x796cde01
	s_mov_b32 s11, 0x3ec71de3
	v_mul_f64 v[62:63], v[4:5], 0.5
	v_rcp_f64_e32 v[14:15], v[12:13]
	s_delay_alu instid0(VALU_DEP_3) | instskip(SKIP_1) | instid1(VALU_DEP_4)
	v_mul_f64 v[50:51], v[26:27], 0.5
	v_mul_f64 v[64:65], v[2:3], -v[26:27]
	v_mul_f64 v[70:71], v[6:7], -v[32:33]
	s_waitcnt_depctr 0xfff
	v_fma_f64 v[16:17], -v[12:13], v[14:15], 1.0
	v_add_f64 v[52:53], -v[50:51], 1.0
	s_delay_alu instid0(VALU_DEP_2) | instskip(NEXT) | instid1(VALU_DEP_2)
	v_fma_f64 v[14:15], v[14:15], v[16:17], v[14:15]
	v_add_f64 v[66:67], -v[52:53], 1.0
	s_delay_alu instid0(VALU_DEP_2) | instskip(NEXT) | instid1(VALU_DEP_2)
	v_fma_f64 v[16:17], -v[12:13], v[14:15], 1.0
	v_add_f64 v[50:51], v[66:67], -v[50:51]
	s_delay_alu instid0(VALU_DEP_2) | instskip(NEXT) | instid1(VALU_DEP_2)
	v_fma_f64 v[14:15], v[14:15], v[16:17], v[14:15]
	v_fma_f64 v[50:51], v[2:3], -v[4:5], v[50:51]
	s_delay_alu instid0(VALU_DEP_2) | instskip(NEXT) | instid1(VALU_DEP_1)
	v_mul_f64 v[16:17], v[18:19], v[14:15]
	v_fma_f64 v[12:13], -v[12:13], v[16:17], v[18:19]
	s_delay_alu instid0(VALU_DEP_1) | instskip(NEXT) | instid1(VALU_DEP_1)
	v_div_fmas_f64 v[12:13], v[12:13], v[14:15], v[16:17]
	v_div_fixup_f64 v[12:13], v[12:13], v[41:42], 0x40140000
	s_delay_alu instid0(VALU_DEP_1) | instskip(NEXT) | instid1(VALU_DEP_1)
	v_mul_f64 v[14:15], v[12:13], v[12:13]
	v_fma_f64 v[16:17], v[14:15], 0, s[2:3]
	s_mov_b32 s2, 0x4c6c651b
	s_mov_b32 s3, 0x3f48f92c
	v_fma_f64 v[18:19], v[14:15], 0, s[6:7]
	v_fma_f64 v[20:21], v[14:15], 0, s[2:3]
	s_mov_b32 s2, 0xc66d8fd6
	s_mov_b32 s3, 0x4013edb5
	v_fma_f64 v[22:23], v[14:15], 0, s[8:9]
	s_mov_b32 s6, 0x5948aa83
	s_mov_b32 s7, 0x3fb19fdd
	s_mov_b32 s8, 0xa20e5f6f
	s_mov_b32 s9, 0x409081cb
	s_delay_alu instid0(VALU_DEP_4) | instskip(SKIP_2) | instid1(VALU_DEP_4)
	v_fma_f64 v[16:17], v[14:15], v[16:17], s[2:3]
	s_mov_b32 s2, 0xa3fec4b6
	s_mov_b32 s3, 0x3fb2b948
	v_fma_f64 v[18:19], v[14:15], v[18:19], s[6:7]
	s_delay_alu instid0(VALU_DEP_4) | instskip(SKIP_2) | instid1(VALU_DEP_4)
	v_fma_f64 v[20:21], v[14:15], v[20:21], s[2:3]
	s_mov_b32 s2, 0x9acf1c67
	s_mov_b32 s3, 0x4052f4b9
	v_fma_f64 v[22:23], v[14:15], v[22:23], s[8:9]
	s_mov_b32 s6, 0xb850eed6
	s_mov_b32 s7, 0x3ff1aea9
	s_mov_b32 s8, 0x1bfdfe81
	s_mov_b32 s9, 0x40b37a69
	s_delay_alu instid0(VALU_DEP_4) | instskip(SKIP_2) | instid1(VALU_DEP_4)
	v_fma_f64 v[16:17], v[14:15], v[16:17], s[2:3]
	s_mov_b32 s2, 0xc21596d6
	s_mov_b32 s3, 0x3ff208fe
	v_fma_f64 v[18:19], v[14:15], v[18:19], s[6:7]
	s_delay_alu instid0(VALU_DEP_4) | instskip(SKIP_2) | instid1(VALU_DEP_4)
	;; [unrolled: 14-line block ×5, first 2 shown]
	v_fma_f64 v[20:21], v[14:15], v[20:21], s[2:3]
	s_mov_b32 s2, 0x4c54bb0b
	s_mov_b32 s3, 0x406a760a
	v_fma_f64 v[22:23], v[14:15], v[22:23], s[8:9]
	s_mov_b32 s6, 0x4d159eb5
	s_mov_b32 s7, 0x403934ff
	;; [unrolled: 1-line block ×4, first 2 shown]
	s_delay_alu instid0(VALU_DEP_4) | instskip(SKIP_2) | instid1(VALU_DEP_4)
	v_fma_f64 v[16:17], v[14:15], v[16:17], s[2:3]
	s_mov_b32 s2, 0x6ae75997
	s_mov_b32 s3, 0x4075017f
	v_fma_f64 v[18:19], v[14:15], v[18:19], 1.0
	s_delay_alu instid0(VALU_DEP_4) | instskip(NEXT) | instid1(VALU_DEP_4)
	v_fma_f64 v[20:21], v[14:15], v[20:21], 1.0
	v_fma_f64 v[22:23], v[14:15], v[22:23], s[2:3]
	s_mov_b32 s2, 0xb42fdfa7
	s_mov_b32 s3, 0xbe5ae600
	s_delay_alu instid0(VALU_DEP_4) | instskip(SKIP_2) | instid1(VALU_DEP_3)
	v_fma_f64 v[14:15], v[14:15], v[16:17], s[6:7]
	s_mov_b32 s6, 0xf9a43bb8
	s_mov_b32 s7, 0x3de5e0b2
	v_div_scale_f64 v[16:17], null, v[18:19], v[18:19], v[20:21]
	v_fma_f64 v[34:35], v[26:27], s[6:7], s[2:3]
	v_fma_f64 v[46:47], v[32:33], s[6:7], s[2:3]
	v_cmp_gt_f64_e64 s2, 0x10000000, v[41:42]
	s_mov_b32 s6, 0x9037ab78
	s_mov_b32 s7, 0x3e21eeb6
	v_div_scale_f64 v[68:69], vcc_lo, v[20:21], v[18:19], v[20:21]
	v_fma_f64 v[48:49], v[26:27], s[8:9], s[6:7]
	v_div_scale_f64 v[24:25], null, v[22:23], v[22:23], v[14:15]
	v_rcp_f64_e32 v[28:29], v[16:17]
	v_fma_f64 v[34:35], v[26:27], v[34:35], s[10:11]
	s_delay_alu instid0(VALU_DEP_2) | instskip(SKIP_3) | instid1(VALU_DEP_2)
	v_rcp_f64_e32 v[30:31], v[24:25]
	s_waitcnt_depctr 0xfff
	v_fma_f64 v[36:37], -v[16:17], v[28:29], 1.0
	v_fma_f64 v[38:39], -v[24:25], v[30:31], 1.0
	v_fma_f64 v[28:29], v[28:29], v[36:37], v[28:29]
	v_fma_f64 v[36:37], v[32:33], v[46:47], s[10:11]
	;; [unrolled: 1-line block ×3, first 2 shown]
	s_mov_b32 s8, 0x19e83e5c
	s_mov_b32 s9, 0xbf2a01a0
	;; [unrolled: 1-line block ×3, first 2 shown]
	v_fma_f64 v[34:35], v[26:27], v[34:35], s[8:9]
	s_mov_b32 s7, 0xbe927e4f
	s_delay_alu instid0(SALU_CYCLE_1) | instskip(SKIP_4) | instid1(VALU_DEP_3)
	v_fma_f64 v[48:49], v[26:27], v[48:49], s[6:7]
	v_fma_f64 v[30:31], v[30:31], v[38:39], v[30:31]
	v_cndmask_b32_e64 v38, 0, 1, s2
	v_fma_f64 v[54:55], -v[16:17], v[28:29], 1.0
	v_fma_f64 v[36:37], v[32:33], v[36:37], s[8:9]
	v_lshlrev_b32_e32 v40, 8, v38
	v_mul_f64 v[38:39], v[32:33], 0.5
	v_fma_f64 v[46:47], v[32:33], v[46:47], s[6:7]
	s_mov_b32 s8, 0x11110bb3
	s_mov_b32 s9, 0x3f811111
	v_ldexp_f64 v[40:41], v[41:42], v40
	v_fma_f64 v[34:35], v[26:27], v[34:35], s[8:9]
	s_mov_b32 s6, 0x19f4ec90
	s_mov_b32 s7, 0x3efa01a0
	s_delay_alu instid0(SALU_CYCLE_1)
	v_fma_f64 v[48:49], v[26:27], v[48:49], s[6:7]
	v_fma_f64 v[56:57], -v[24:25], v[30:31], 1.0
	v_fma_f64 v[28:29], v[28:29], v[54:55], v[28:29]
	v_div_scale_f64 v[54:55], s3, v[14:15], v[22:23], v[14:15]
	v_add_f64 v[58:59], -v[38:39], 1.0
	v_fma_f64 v[36:37], v[32:33], v[36:37], s[8:9]
	v_fma_f64 v[46:47], v[32:33], v[46:47], s[6:7]
	s_mov_b32 s6, 0x16c16967
	v_rsq_f64_e32 v[60:61], v[40:41]
	v_fma_f64 v[34:35], v[64:65], v[34:35], v[62:63]
	s_mov_b32 s7, 0xbf56c16c
	s_delay_alu instid0(SALU_CYCLE_1)
	v_fma_f64 v[48:49], v[26:27], v[48:49], s[6:7]
	v_fma_f64 v[30:31], v[30:31], v[56:57], v[30:31]
	v_mul_f64 v[56:57], v[8:9], 0.5
	v_mul_f64 v[62:63], v[68:69], v[28:29]
	v_add_f64 v[72:73], -v[58:59], 1.0
	v_fma_f64 v[46:47], v[32:33], v[46:47], s[6:7]
	s_mov_b32 s6, 0x55555555
	s_mov_b32 s7, 0x3fa55555
	v_fma_f64 v[4:5], v[26:27], v[34:35], -v[4:5]
	s_delay_alu instid0(TRANS32_DEP_1)
	v_mul_f64 v[74:75], v[40:41], v[60:61]
	v_mul_f64 v[60:61], v[60:61], 0.5
	v_mul_f64 v[34:35], v[32:33], v[32:33]
	v_fma_f64 v[48:49], v[26:27], v[48:49], s[6:7]
	v_mul_f64 v[66:67], v[54:55], v[30:31]
	v_fma_f64 v[36:37], v[70:71], v[36:37], v[56:57]
	v_mul_f64 v[56:57], v[26:27], v[26:27]
	v_fma_f64 v[16:17], -v[16:17], v[62:63], v[68:69]
	v_add_f64 v[38:39], v[72:73], -v[38:39]
	v_fma_f64 v[72:73], -v[60:61], v[74:75], 0.5
	v_fma_f64 v[24:25], -v[24:25], v[66:67], v[54:55]
	v_fma_f64 v[26:27], v[32:33], v[36:37], -v[8:9]
	v_fma_f64 v[32:33], v[32:33], v[46:47], s[6:7]
	s_mov_b32 s7, 0xbfc55555
	v_div_fmas_f64 v[16:17], v[16:17], v[28:29], v[62:63]
	s_mov_b32 vcc_lo, s3
	v_fma_f64 v[4:5], v[64:65], s[6:7], v[4:5]
	v_fma_f64 v[8:9], v[6:7], -v[8:9], v[38:39]
	v_fma_f64 v[38:39], v[56:57], v[48:49], v[50:51]
	v_cmp_class_f64_e64 s3, v[0:1], 0x1f8
	v_and_b32_e32 v0, 1, v11
	v_lshlrev_b32_e32 v11, 30, v11
	v_fma_f64 v[36:37], v[74:75], v[72:73], v[74:75]
	v_fma_f64 v[28:29], v[60:61], v[72:73], v[60:61]
	s_delay_alu instid0(VALU_DEP_4) | instskip(NEXT) | instid1(VALU_DEP_4)
	v_cmp_eq_u32_e64 s4, 0, v0
	v_and_b32_e32 v0, 0x80000000, v11
	v_div_fmas_f64 v[24:25], v[24:25], v[30:31], v[66:67]
	v_fma_f64 v[26:27], v[70:71], s[6:7], v[26:27]
	v_add_f64 v[2:3], v[2:3], -v[4:5]
	v_fma_f64 v[8:9], v[34:35], v[32:33], v[8:9]
	v_add_f64 v[32:33], v[52:53], v[38:39]
	v_fma_f64 v[30:31], -v[36:37], v[36:37], v[40:41]
	v_div_fixup_f64 v[4:5], v[24:25], v[22:23], v[14:15]
	v_add_f64 v[6:7], v[6:7], -v[26:27]
	v_and_b32_e32 v22, 1, v10
	v_add_f64 v[8:9], v[58:59], v[8:9]
	s_delay_alu instid0(VALU_DEP_2)
	v_cmp_eq_u32_e32 vcc_lo, 0, v22
	v_cndmask_b32_e32 v2, v32, v2, vcc_lo
	v_fma_f64 v[14:15], v[30:31], v[28:29], v[36:37]
	v_mul_f64 v[4:5], v[12:13], v[4:5]
	v_xor_b32_e32 v7, 0x80000000, v7
	v_div_fixup_f64 v[11:12], v[16:17], v[18:19], v[20:21]
	v_cndmask_b32_e64 v8, v6, v8, s4
	s_delay_alu instid0(VALU_DEP_3) | instskip(NEXT) | instid1(VALU_DEP_2)
	v_cndmask_b32_e64 v6, v7, v9, s4
	v_cndmask_b32_e64 v8, 0, v8, s3
	s_delay_alu instid0(VALU_DEP_2) | instskip(SKIP_3) | instid1(VALU_DEP_4)
	v_xor_b32_e32 v9, v6, v0
	v_fma_f64 v[6:7], -v[14:15], v[14:15], v[40:41]
	v_cndmask_b32_e64 v0, 0, v2, s3
	v_lshlrev_b32_e32 v2, 30, v10
	v_cndmask_b32_e64 v9, 0x7ff80000, v9, s3
	s_delay_alu instid0(VALU_DEP_2) | instskip(SKIP_2) | instid1(VALU_DEP_3)
	v_xor_b32_e32 v1, v2, v1
	v_cndmask_b32_e32 v2, v33, v3, vcc_lo
	v_cmp_class_f64_e64 vcc_lo, v[40:41], 0x260
	v_and_b32_e32 v1, 0x80000000, v1
	s_delay_alu instid0(VALU_DEP_1) | instskip(NEXT) | instid1(VALU_DEP_1)
	v_xor_b32_e32 v1, v2, v1
	v_cndmask_b32_e64 v1, 0x7ff80000, v1, s3
	v_mul_f64 v[4:5], v[4:5], v[8:9]
	v_fma_f64 v[2:3], v[6:7], v[28:29], v[14:15]
	s_delay_alu instid0(VALU_DEP_2) | instskip(SKIP_3) | instid1(VALU_DEP_1)
	v_fma_f64 v[0:1], v[11:12], v[0:1], v[4:5]
	v_cndmask_b32_e64 v4, 0, 0xffffff80, s2
	s_mov_b32 s2, 0x33d43651
	s_mov_b32 s3, 0x3fe98845
	v_ldexp_f64 v[2:3], v[2:3], v4
	s_delay_alu instid0(VALU_DEP_3) | instskip(NEXT) | instid1(VALU_DEP_2)
	v_mul_f64 v[0:1], v[0:1], s[2:3]
	v_dual_cndmask_b32 v3, v3, v41 :: v_dual_cndmask_b32 v2, v2, v40
	s_delay_alu instid0(VALU_DEP_1) | instskip(NEXT) | instid1(VALU_DEP_1)
	v_div_scale_f64 v[4:5], null, v[2:3], v[2:3], v[0:1]
	v_rcp_f64_e32 v[6:7], v[4:5]
	s_waitcnt_depctr 0xfff
	v_fma_f64 v[8:9], -v[4:5], v[6:7], 1.0
	s_delay_alu instid0(VALU_DEP_1) | instskip(NEXT) | instid1(VALU_DEP_1)
	v_fma_f64 v[6:7], v[6:7], v[8:9], v[6:7]
	v_fma_f64 v[8:9], -v[4:5], v[6:7], 1.0
	s_delay_alu instid0(VALU_DEP_1) | instskip(SKIP_1) | instid1(VALU_DEP_1)
	v_fma_f64 v[6:7], v[6:7], v[8:9], v[6:7]
	v_div_scale_f64 v[8:9], vcc_lo, v[0:1], v[2:3], v[0:1]
	v_mul_f64 v[10:11], v[8:9], v[6:7]
	s_delay_alu instid0(VALU_DEP_1) | instskip(NEXT) | instid1(VALU_DEP_1)
	v_fma_f64 v[4:5], -v[4:5], v[10:11], v[8:9]
	v_div_fmas_f64 v[4:5], v[4:5], v[6:7], v[10:11]
	s_delay_alu instid0(VALU_DEP_1)
	v_div_fixup_f64 v[0:1], v[4:5], v[2:3], v[0:1]
.LBB8_187:
	s_or_b32 exec_lo, exec_lo, s5
	v_add_nc_u32_e32 v45, 0x80, v45
	global_store_b64 v43, v[0:1], s[36:37]
	s_or_b32 exec_lo, exec_lo, s61
	s_delay_alu instid0(SALU_CYCLE_1)
	s_mov_b32 s61, exec_lo
	v_cmpx_gt_i32_e64 s58, v45
	s_cbranch_execnz .LBB8_158
.LBB8_188:
	s_or_b32 exec_lo, exec_lo, s61
	s_delay_alu instid0(SALU_CYCLE_1)
	s_mov_b32 s52, exec_lo
	v_cmpx_gt_i32_e64 s58, v45
	s_cbranch_execnz .LBB8_215
.LBB8_189:
	s_or_b32 exec_lo, exec_lo, s52
                                        ; implicit-def: $vgpr1
                                        ; implicit-def: $vgpr45
	s_and_not1_saveexec_b32 s2, s56
	s_cbranch_execnz .LBB8_8
.LBB8_190:
	s_endpgm
.LBB8_191:
	v_dual_mov_b32 v1, v45 :: v_dual_mov_b32 v0, 0
.LBB8_192:
	s_and_b32 s8, s8, 3
	s_delay_alu instid0(SALU_CYCLE_1)
	s_cmp_eq_u32 s8, 0
	s_cbranch_scc1 .LBB8_195
; %bb.193:
	s_lshl_b32 s2, s7, 3
	s_mul_i32 s4, s7, 12
	s_add_u32 s2, s2, s0
	s_addc_u32 s3, s1, 0
	s_add_u32 s2, s2, 0xc4
	s_addc_u32 s3, s3, 0
	;; [unrolled: 2-line block ×3, first 2 shown]
	.p2align	6
.LBB8_194:                              ; =>This Inner Loop Header: Depth=1
	s_clause 0x1
	s_load_b64 s[10:11], s[4:5], 0x4
	s_load_b32 s7, s[4:5], 0xc
	s_load_b64 s[12:13], s[2:3], 0x0
	s_add_u32 s4, s4, 12
	s_addc_u32 s5, s5, 0
	s_add_u32 s2, s2, 8
	s_addc_u32 s3, s3, 0
	s_add_i32 s8, s8, -1
	s_delay_alu instid0(SALU_CYCLE_1) | instskip(SKIP_2) | instid1(VALU_DEP_1)
	s_cmp_lg_u32 s8, 0
	s_waitcnt lgkmcnt(0)
	v_mul_hi_u32 v2, s11, v1
	v_add_nc_u32_e32 v2, v1, v2
	s_delay_alu instid0(VALU_DEP_1) | instskip(NEXT) | instid1(VALU_DEP_1)
	v_lshrrev_b32_e32 v5, s7, v2
	v_mul_lo_u32 v2, v5, s10
	s_delay_alu instid0(VALU_DEP_1) | instskip(NEXT) | instid1(VALU_DEP_1)
	v_sub_nc_u32_e32 v1, v1, v2
	v_mad_u64_u32 v[2:3], null, v1, s12, v[43:44]
	v_mad_u64_u32 v[3:4], null, v1, s13, v[0:1]
	v_mov_b32_e32 v1, v5
	s_delay_alu instid0(VALU_DEP_2)
	v_dual_mov_b32 v43, v2 :: v_dual_mov_b32 v0, v3
	s_cbranch_scc1 .LBB8_194
.LBB8_195:
	s_and_not1_b32 vcc_lo, exec_lo, s6
	s_cbranch_vccnz .LBB8_198
; %bb.196:
	s_waitcnt lgkmcnt(0)
	v_mul_hi_u32 v0, s45, v45
	s_and_not1_b32 vcc_lo, exec_lo, s57
	s_delay_alu instid0(VALU_DEP_1) | instskip(NEXT) | instid1(VALU_DEP_1)
	v_add_nc_u32_e32 v0, v45, v0
	v_lshrrev_b32_e32 v1, s46, v0
	s_delay_alu instid0(VALU_DEP_1) | instskip(NEXT) | instid1(VALU_DEP_1)
	v_mul_lo_u32 v0, v1, s44
	v_sub_nc_u32_e32 v0, v45, v0
	s_delay_alu instid0(VALU_DEP_1)
	v_mul_lo_u32 v43, v0, s40
	v_mul_lo_u32 v0, v0, s41
	s_cbranch_vccnz .LBB8_198
; %bb.197:
	v_mul_hi_u32 v2, s48, v1
	s_delay_alu instid0(VALU_DEP_1) | instskip(NEXT) | instid1(VALU_DEP_1)
	v_add_nc_u32_e32 v2, v1, v2
	v_lshrrev_b32_e32 v2, s49, v2
	s_delay_alu instid0(VALU_DEP_1) | instskip(NEXT) | instid1(VALU_DEP_1)
	v_mul_lo_u32 v2, v2, s47
	v_sub_nc_u32_e32 v4, v1, v2
	s_delay_alu instid0(VALU_DEP_1) | instskip(NEXT) | instid1(VALU_DEP_1)
	v_mad_u64_u32 v[1:2], null, v4, s42, v[43:44]
	v_mad_u64_u32 v[2:3], null, v4, s43, v[0:1]
	s_delay_alu instid0(VALU_DEP_1)
	v_dual_mov_b32 v43, v1 :: v_dual_mov_b32 v0, v2
.LBB8_198:
	s_waitcnt lgkmcnt(0)
	global_load_b64 v[41:42], v0, s[38:39]
                                        ; implicit-def: $vgpr0_vgpr1
	s_mov_b32 s2, exec_lo
	s_waitcnt vmcnt(0)
	v_cmpx_ge_f64_e32 0x40140000, v[41:42]
	s_xor_b32 s62, exec_lo, s2
	s_cbranch_execz .LBB8_204
; %bb.199:
	v_mov_b32_e32 v0, 0
	v_mov_b32_e32 v1, 0xfff00000
	s_mov_b32 s63, exec_lo
	v_cmpx_neq_f64_e32 0, v[41:42]
	s_cbranch_execz .LBB8_203
; %bb.200:
	v_mov_b32_e32 v0, 0
	v_mov_b32_e32 v1, 0x7ff80000
	s_mov_b32 s64, exec_lo
	v_cmpx_nge_f64_e32 0, v[41:42]
	s_cbranch_execz .LBB8_202
; %bb.201:
	v_mul_f64 v[0:1], v[41:42], v[41:42]
	s_mov_b32 s2, 0xa93f7ac2
	s_mov_b32 s3, 0x40829269
	s_mov_b32 s4, 0xa9c8acee
	s_mov_b32 s5, 0x419184ef
	s_mov_b64 s[52:53], s[0:1]
	s_delay_alu instid0(VALU_DEP_1)
	v_fma_f64 v[2:3], v[0:1], 0, s[2:3]
	s_mov_b32 s2, 0xbe58ef7f
	s_mov_b32 s3, 0x410cc160
	s_delay_alu instid0(VALU_DEP_1) | instid1(SALU_CYCLE_1)
	v_fma_f64 v[2:3], v[0:1], v[2:3], s[2:3]
	s_mov_b32 s2, 0x62f9b6c5
	s_mov_b32 s3, 0x41d2d2be
	s_delay_alu instid0(SALU_CYCLE_1) | instskip(SKIP_2) | instid1(VALU_DEP_2)
	v_fma_f64 v[4:5], v[0:1], 0, s[2:3]
	s_mov_b32 s2, 0x58836521
	s_mov_b32 s3, 0xc262d72d
	v_fma_f64 v[2:3], v[0:1], v[2:3], s[4:5]
	s_mov_b32 s4, 0x906b7b83
	s_mov_b32 s5, 0x421178c3
	s_delay_alu instid0(VALU_DEP_2) | instskip(SKIP_2) | instid1(VALU_DEP_2)
	v_fma_f64 v[4:5], v[0:1], v[4:5], s[2:3]
	s_mov_b32 s2, 0xb0910fef
	s_mov_b32 s3, 0x42da0954
	v_fma_f64 v[2:3], v[0:1], v[2:3], s[4:5]
	s_mov_b32 s4, 0xfda99316
	s_mov_b32 s5, 0x428c3f5e
	s_delay_alu instid0(VALU_DEP_2) | instskip(SKIP_2) | instid1(VALU_DEP_2)
	;; [unrolled: 7-line block ×4, first 2 shown]
	v_fma_f64 v[4:5], v[0:1], v[4:5], s[2:3]
	s_mov_b32 s2, 0x5dde2b17
	s_mov_b32 s3, 0xc3a59e41
	v_fma_f64 v[2:3], v[0:1], v[2:3], s[4:5]
	s_mov_b32 s4, 0x90f6747f
	s_mov_b32 s5, 0x43cb90f1
	s_delay_alu instid0(VALU_DEP_2) | instskip(SKIP_3) | instid1(VALU_DEP_2)
	v_fma_f64 v[4:5], v[0:1], v[4:5], s[2:3]
	s_getpc_b64 s[2:3]
	s_add_u32 s2, s2, _Z17bessel_j1_forwardIdET_S0_@rel32@lo+4
	s_addc_u32 s3, s3, _Z17bessel_j1_forwardIdET_S0_@rel32@hi+12
	v_fma_f64 v[0:1], v[0:1], v[2:3], s[4:5]
	s_delay_alu instid0(VALU_DEP_1) | instskip(NEXT) | instid1(VALU_DEP_1)
	v_div_scale_f64 v[2:3], null, v[0:1], v[0:1], v[4:5]
	v_rcp_f64_e32 v[6:7], v[2:3]
	s_waitcnt_depctr 0xfff
	v_fma_f64 v[8:9], -v[2:3], v[6:7], 1.0
	s_delay_alu instid0(VALU_DEP_1) | instskip(NEXT) | instid1(VALU_DEP_1)
	v_fma_f64 v[6:7], v[6:7], v[8:9], v[6:7]
	v_fma_f64 v[8:9], -v[2:3], v[6:7], 1.0
	s_delay_alu instid0(VALU_DEP_1) | instskip(SKIP_1) | instid1(VALU_DEP_1)
	v_fma_f64 v[6:7], v[6:7], v[8:9], v[6:7]
	v_div_scale_f64 v[8:9], vcc_lo, v[4:5], v[0:1], v[4:5]
	v_mul_f64 v[10:11], v[8:9], v[6:7]
	s_delay_alu instid0(VALU_DEP_1) | instskip(NEXT) | instid1(VALU_DEP_1)
	v_fma_f64 v[2:3], -v[2:3], v[10:11], v[8:9]
	v_div_fmas_f64 v[2:3], v[2:3], v[6:7], v[10:11]
	s_delay_alu instid0(VALU_DEP_1)
	v_div_fixup_f64 v[46:47], v[2:3], v[0:1], v[4:5]
	v_dual_mov_b32 v0, v41 :: v_dual_mov_b32 v1, v42
	s_swappc_b64 s[30:31], s[2:3]
	v_frexp_mant_f64_e32 v[2:3], v[41:42]
	s_mov_b32 s3, 0x3fe55555
	s_mov_b32 s2, 0x55555555
	v_mov_b32_e32 v4, 0
	s_mov_b32 s4, 0x6b47b09a
	s_mov_b32 s6, 0xbf559e2b
	;; [unrolled: 1-line block ×4, first 2 shown]
	v_div_scale_f64 v[18:19], null, v[41:42], v[41:42], -1.0
	s_mov_b64 s[0:1], s[52:53]
	s_delay_alu instid0(VALU_DEP_3) | instskip(SKIP_1) | instid1(VALU_DEP_2)
	v_cmp_gt_f64_e32 vcc_lo, s[2:3], v[2:3]
	s_mov_b32 s2, 0x55555780
	v_rcp_f64_e32 v[22:23], v[18:19]
	v_cndmask_b32_e64 v5, 0x3ff00000, 2.0, vcc_lo
	s_delay_alu instid0(VALU_DEP_1) | instskip(NEXT) | instid1(VALU_DEP_1)
	v_mul_f64 v[2:3], v[2:3], v[4:5]
	v_add_f64 v[4:5], v[2:3], 1.0
	v_add_f64 v[10:11], v[2:3], -1.0
	s_delay_alu instid0(VALU_DEP_2) | instskip(SKIP_1) | instid1(VALU_DEP_1)
	v_rcp_f64_e32 v[6:7], v[4:5]
	v_add_f64 v[12:13], v[4:5], -1.0
	v_add_f64 v[2:3], v[2:3], -v[12:13]
	s_waitcnt_depctr 0xfff
	v_fma_f64 v[8:9], -v[4:5], v[6:7], 1.0
	s_delay_alu instid0(VALU_DEP_1) | instskip(NEXT) | instid1(VALU_DEP_1)
	v_fma_f64 v[6:7], v[8:9], v[6:7], v[6:7]
	v_fma_f64 v[8:9], -v[4:5], v[6:7], 1.0
	s_delay_alu instid0(VALU_DEP_1) | instskip(NEXT) | instid1(VALU_DEP_1)
	v_fma_f64 v[6:7], v[8:9], v[6:7], v[6:7]
	v_mul_f64 v[8:9], v[10:11], v[6:7]
	s_delay_alu instid0(VALU_DEP_1) | instskip(NEXT) | instid1(VALU_DEP_1)
	v_mul_f64 v[14:15], v[4:5], v[8:9]
	v_fma_f64 v[4:5], v[8:9], v[4:5], -v[14:15]
	s_delay_alu instid0(VALU_DEP_1) | instskip(NEXT) | instid1(VALU_DEP_1)
	v_fma_f64 v[2:3], v[8:9], v[2:3], v[4:5]
	v_add_f64 v[4:5], v[14:15], v[2:3]
	s_delay_alu instid0(VALU_DEP_1) | instskip(SKIP_1) | instid1(VALU_DEP_2)
	v_add_f64 v[12:13], v[10:11], -v[4:5]
	v_add_f64 v[14:15], v[4:5], -v[14:15]
	;; [unrolled: 1-line block ×3, first 2 shown]
	s_delay_alu instid0(VALU_DEP_2) | instskip(SKIP_1) | instid1(VALU_DEP_3)
	v_add_f64 v[2:3], v[14:15], -v[2:3]
	v_frexp_exp_i32_f64_e32 v14, v[41:42]
	v_add_f64 v[4:5], v[10:11], -v[4:5]
	s_delay_alu instid0(VALU_DEP_1) | instskip(NEXT) | instid1(VALU_DEP_1)
	v_add_f64 v[2:3], v[2:3], v[4:5]
	v_add_f64 v[2:3], v[12:13], v[2:3]
	s_delay_alu instid0(VALU_DEP_1) | instskip(NEXT) | instid1(VALU_DEP_1)
	v_mul_f64 v[2:3], v[6:7], v[2:3]
	v_add_f64 v[4:5], v[8:9], v[2:3]
	s_delay_alu instid0(VALU_DEP_1) | instskip(NEXT) | instid1(VALU_DEP_1)
	v_mul_f64 v[6:7], v[4:5], v[4:5]
	v_fma_f64 v[10:11], v[6:7], s[6:7], s[4:5]
	s_mov_b32 s4, 0xd7f4df2e
	s_mov_b32 s5, 0x3fc7474d
	v_mul_f64 v[12:13], v[4:5], v[6:7]
	s_delay_alu instid0(VALU_DEP_2)
	v_fma_f64 v[10:11], v[6:7], v[10:11], s[4:5]
	s_mov_b32 s4, 0x16291751
	s_mov_b32 s5, 0x3fcc71c0
	s_delay_alu instid0(VALU_DEP_1) | instid1(SALU_CYCLE_1)
	v_fma_f64 v[10:11], v[6:7], v[10:11], s[4:5]
	s_mov_b32 s4, 0x9b27acf1
	s_mov_b32 s5, 0x3fd24924
	s_delay_alu instid0(VALU_DEP_1) | instid1(SALU_CYCLE_1)
	;; [unrolled: 4-line block ×3, first 2 shown]
	v_fma_f64 v[10:11], v[6:7], v[10:11], s[4:5]
	s_delay_alu instid0(VALU_DEP_1) | instskip(SKIP_4) | instid1(VALU_DEP_3)
	v_fma_f64 v[6:7], v[6:7], v[10:11], s[2:3]
	v_ldexp_f64 v[10:11], v[4:5], 1
	v_add_f64 v[4:5], v[4:5], -v[8:9]
	s_mov_b32 s2, 0xfefa39ef
	s_mov_b32 s3, 0x3fe62e42
	v_mul_f64 v[6:7], v[12:13], v[6:7]
	v_subrev_co_ci_u32_e32 v12, vcc_lo, 0, v14, vcc_lo
	s_delay_alu instid0(VALU_DEP_3) | instskip(NEXT) | instid1(VALU_DEP_2)
	v_add_f64 v[2:3], v[2:3], -v[4:5]
	v_cvt_f64_i32_e32 v[12:13], v12
	s_delay_alu instid0(VALU_DEP_4) | instskip(NEXT) | instid1(VALU_DEP_3)
	v_add_f64 v[8:9], v[10:11], v[6:7]
	v_ldexp_f64 v[2:3], v[2:3], 1
	s_delay_alu instid0(VALU_DEP_3) | instskip(NEXT) | instid1(VALU_DEP_3)
	v_mul_f64 v[14:15], v[12:13], s[2:3]
	v_add_f64 v[4:5], v[8:9], -v[10:11]
	s_delay_alu instid0(VALU_DEP_2) | instskip(SKIP_2) | instid1(VALU_DEP_2)
	v_fma_f64 v[10:11], v[12:13], s[2:3], -v[14:15]
	s_mov_b32 s2, 0x3b39803f
	s_mov_b32 s3, 0x3c7abc9e
	v_add_f64 v[4:5], v[6:7], -v[4:5]
	s_delay_alu instid0(VALU_DEP_2) | instskip(SKIP_2) | instid1(VALU_DEP_2)
	v_fma_f64 v[6:7], v[12:13], s[2:3], v[10:11]
	s_mov_b32 s2, 0x6dc9c883
	s_mov_b32 s3, 0x3fe45f30
	v_add_f64 v[2:3], v[2:3], v[4:5]
	s_delay_alu instid0(VALU_DEP_2) | instskip(NEXT) | instid1(VALU_DEP_2)
	v_add_f64 v[4:5], v[14:15], v[6:7]
	v_add_f64 v[10:11], v[8:9], v[2:3]
	s_delay_alu instid0(VALU_DEP_2) | instskip(NEXT) | instid1(VALU_DEP_2)
	v_add_f64 v[14:15], v[4:5], -v[14:15]
	v_add_f64 v[12:13], v[4:5], v[10:11]
	v_add_f64 v[8:9], v[10:11], -v[8:9]
	s_delay_alu instid0(VALU_DEP_3) | instskip(NEXT) | instid1(VALU_DEP_3)
	v_add_f64 v[6:7], v[6:7], -v[14:15]
	v_add_f64 v[16:17], v[12:13], -v[4:5]
	s_delay_alu instid0(VALU_DEP_3) | instskip(NEXT) | instid1(VALU_DEP_2)
	v_add_f64 v[2:3], v[2:3], -v[8:9]
	v_add_f64 v[20:21], v[12:13], -v[16:17]
	;; [unrolled: 1-line block ×3, first 2 shown]
	v_fma_f64 v[10:11], -v[18:19], v[22:23], 1.0
	s_delay_alu instid0(VALU_DEP_4) | instskip(NEXT) | instid1(VALU_DEP_4)
	v_add_f64 v[14:15], v[6:7], v[2:3]
	v_add_f64 v[4:5], v[4:5], -v[20:21]
	s_delay_alu instid0(VALU_DEP_1) | instskip(NEXT) | instid1(VALU_DEP_4)
	v_add_f64 v[4:5], v[8:9], v[4:5]
	v_fma_f64 v[8:9], v[22:23], v[10:11], v[22:23]
	s_delay_alu instid0(VALU_DEP_4) | instskip(SKIP_1) | instid1(VALU_DEP_4)
	v_add_f64 v[10:11], v[14:15], -v[6:7]
	v_div_scale_f64 v[22:23], vcc_lo, -1.0, v[41:42], -1.0
	v_add_f64 v[4:5], v[14:15], v[4:5]
	s_delay_alu instid0(VALU_DEP_4) | instskip(NEXT) | instid1(VALU_DEP_4)
	v_fma_f64 v[16:17], -v[18:19], v[8:9], 1.0
	v_add_f64 v[14:15], v[14:15], -v[10:11]
	v_add_f64 v[2:3], v[2:3], -v[10:11]
	s_delay_alu instid0(VALU_DEP_4) | instskip(NEXT) | instid1(VALU_DEP_4)
	v_add_f64 v[20:21], v[12:13], v[4:5]
	v_fma_f64 v[8:9], v[8:9], v[16:17], v[8:9]
	s_delay_alu instid0(VALU_DEP_4) | instskip(NEXT) | instid1(VALU_DEP_3)
	v_add_f64 v[6:7], v[6:7], -v[14:15]
	v_add_f64 v[10:11], v[20:21], -v[12:13]
	s_delay_alu instid0(VALU_DEP_3) | instskip(NEXT) | instid1(VALU_DEP_3)
	v_mul_f64 v[12:13], v[22:23], v[8:9]
	v_add_f64 v[2:3], v[2:3], v[6:7]
	s_delay_alu instid0(VALU_DEP_3) | instskip(NEXT) | instid1(VALU_DEP_3)
	v_add_f64 v[4:5], v[4:5], -v[10:11]
	v_fma_f64 v[6:7], -v[18:19], v[12:13], v[22:23]
	s_delay_alu instid0(VALU_DEP_2) | instskip(NEXT) | instid1(VALU_DEP_2)
	v_add_f64 v[2:3], v[2:3], v[4:5]
	v_div_fmas_f64 v[4:5], v[6:7], v[8:9], v[12:13]
	s_delay_alu instid0(VALU_DEP_2) | instskip(NEXT) | instid1(VALU_DEP_2)
	v_add_f64 v[2:3], v[20:21], v[2:3]
	v_div_fixup_f64 v[4:5], v[4:5], v[41:42], -1.0
	s_delay_alu instid0(VALU_DEP_1) | instskip(NEXT) | instid1(VALU_DEP_1)
	v_fma_f64 v[0:1], v[2:3], v[0:1], v[4:5]
	v_mul_f64 v[0:1], v[0:1], s[2:3]
	s_delay_alu instid0(VALU_DEP_1)
	v_fma_f64 v[0:1], v[41:42], v[46:47], v[0:1]
.LBB8_202:
	s_or_b32 exec_lo, exec_lo, s64
.LBB8_203:
	s_delay_alu instid0(SALU_CYCLE_1)
	s_or_b32 exec_lo, exec_lo, s63
                                        ; implicit-def: $vgpr41_vgpr42
.LBB8_204:
	s_and_not1_saveexec_b32 s5, s62
	s_cbranch_execz .LBB8_214
; %bb.205:
	s_mov_b32 s2, 0x7f3321d2
	s_mov_b32 s3, 0xc002d97c
                                        ; implicit-def: $vgpr10
                                        ; implicit-def: $vgpr2_vgpr3
                                        ; implicit-def: $vgpr4_vgpr5
	s_delay_alu instid0(SALU_CYCLE_1) | instskip(NEXT) | instid1(VALU_DEP_1)
	v_add_f64 v[0:1], v[41:42], s[2:3]
	v_cmp_ngt_f64_e64 s3, 0x41d00000, |v[0:1]|
	s_delay_alu instid0(VALU_DEP_1) | instskip(NEXT) | instid1(SALU_CYCLE_1)
	s_and_saveexec_b32 s2, s3
	s_xor_b32 s4, exec_lo, s2
	s_cbranch_execz .LBB8_207
; %bb.206:
	v_ldexp_f64 v[2:3], |v[0:1]|, 0xffffff80
	v_cmp_le_f64_e64 vcc_lo, 0x7b000000, |v[0:1]|
	v_trig_preop_f64 v[4:5], |v[0:1]|, 0
	v_and_b32_e32 v6, 0x7fffffff, v1
	v_trig_preop_f64 v[16:17], |v[0:1]|, 2
	v_mov_b32_e32 v24, 0
	s_mov_b32 s6, 0x54442d18
	s_mov_b32 s7, 0x3ff921fb
	;; [unrolled: 1-line block ×4, first 2 shown]
	v_dual_cndmask_b32 v3, v6, v3 :: v_dual_cndmask_b32 v2, v0, v2
	v_trig_preop_f64 v[6:7], |v[0:1]|, 1
	s_delay_alu instid0(VALU_DEP_2) | instskip(SKIP_1) | instid1(VALU_DEP_3)
	v_mul_f64 v[8:9], v[4:5], v[2:3]
	v_mul_f64 v[22:23], v[16:17], v[2:3]
	;; [unrolled: 1-line block ×3, first 2 shown]
	s_delay_alu instid0(VALU_DEP_3) | instskip(NEXT) | instid1(VALU_DEP_2)
	v_fma_f64 v[4:5], v[4:5], v[2:3], -v[8:9]
	v_fma_f64 v[6:7], v[6:7], v[2:3], -v[10:11]
	s_delay_alu instid0(VALU_DEP_4) | instskip(NEXT) | instid1(VALU_DEP_3)
	v_fma_f64 v[2:3], v[16:17], v[2:3], -v[22:23]
	v_add_f64 v[12:13], v[10:11], v[4:5]
	s_delay_alu instid0(VALU_DEP_1) | instskip(SKIP_1) | instid1(VALU_DEP_2)
	v_add_f64 v[14:15], v[12:13], -v[10:11]
	v_add_f64 v[20:21], v[8:9], v[12:13]
	v_add_f64 v[18:19], v[12:13], -v[14:15]
	v_add_f64 v[4:5], v[4:5], -v[14:15]
	s_delay_alu instid0(VALU_DEP_3) | instskip(SKIP_1) | instid1(VALU_DEP_4)
	v_ldexp_f64 v[14:15], v[20:21], -2
	v_add_f64 v[8:9], v[20:21], -v[8:9]
	v_add_f64 v[10:11], v[10:11], -v[18:19]
	v_add_f64 v[18:19], v[22:23], v[6:7]
	s_delay_alu instid0(VALU_DEP_4) | instskip(NEXT) | instid1(VALU_DEP_4)
	v_cmp_neq_f64_e64 vcc_lo, 0x7ff00000, |v[14:15]|
	v_add_f64 v[8:9], v[12:13], -v[8:9]
	s_delay_alu instid0(VALU_DEP_4) | instskip(SKIP_1) | instid1(VALU_DEP_2)
	v_add_f64 v[4:5], v[4:5], v[10:11]
	v_fract_f64_e32 v[10:11], v[14:15]
	v_add_f64 v[12:13], v[18:19], v[4:5]
	s_delay_alu instid0(VALU_DEP_2) | instskip(NEXT) | instid1(VALU_DEP_1)
	v_dual_cndmask_b32 v11, 0, v11 :: v_dual_cndmask_b32 v10, 0, v10
	v_ldexp_f64 v[10:11], v[10:11], 2
	s_delay_alu instid0(VALU_DEP_3) | instskip(NEXT) | instid1(VALU_DEP_1)
	v_add_f64 v[14:15], v[8:9], v[12:13]
	v_add_f64 v[20:21], v[14:15], v[10:11]
	v_add_f64 v[8:9], v[14:15], -v[8:9]
	s_delay_alu instid0(VALU_DEP_2) | instskip(SKIP_1) | instid1(VALU_DEP_3)
	v_cmp_gt_f64_e32 vcc_lo, 0, v[20:21]
	v_add_f64 v[20:21], v[18:19], -v[22:23]
	v_add_f64 v[8:9], v[12:13], -v[8:9]
	v_cndmask_b32_e64 v25, 0, 0x40100000, vcc_lo
	s_delay_alu instid0(VALU_DEP_3) | instskip(SKIP_1) | instid1(VALU_DEP_3)
	v_add_f64 v[29:30], v[18:19], -v[20:21]
	v_add_f64 v[6:7], v[6:7], -v[20:21]
	v_add_f64 v[10:11], v[10:11], v[24:25]
	v_add_f64 v[25:26], v[12:13], -v[18:19]
	s_delay_alu instid0(VALU_DEP_4) | instskip(NEXT) | instid1(VALU_DEP_3)
	v_add_f64 v[20:21], v[22:23], -v[29:30]
	v_add_f64 v[27:28], v[14:15], v[10:11]
	s_delay_alu instid0(VALU_DEP_3) | instskip(SKIP_1) | instid1(VALU_DEP_4)
	v_add_f64 v[31:32], v[12:13], -v[25:26]
	v_add_f64 v[4:5], v[4:5], -v[25:26]
	v_add_f64 v[6:7], v[6:7], v[20:21]
	s_delay_alu instid0(VALU_DEP_4) | instskip(NEXT) | instid1(VALU_DEP_4)
	v_cvt_i32_f64_e32 v27, v[27:28]
	v_add_f64 v[18:19], v[18:19], -v[31:32]
	s_delay_alu instid0(VALU_DEP_2) | instskip(NEXT) | instid1(VALU_DEP_2)
	v_cvt_f64_i32_e32 v[25:26], v27
	v_add_f64 v[4:5], v[4:5], v[18:19]
	s_delay_alu instid0(VALU_DEP_2) | instskip(NEXT) | instid1(VALU_DEP_2)
	v_add_f64 v[10:11], v[10:11], -v[25:26]
	v_add_f64 v[4:5], v[6:7], v[4:5]
	s_delay_alu instid0(VALU_DEP_2) | instskip(NEXT) | instid1(VALU_DEP_2)
	v_add_f64 v[6:7], v[14:15], v[10:11]
	v_add_f64 v[2:3], v[2:3], v[4:5]
	s_delay_alu instid0(VALU_DEP_2) | instskip(SKIP_1) | instid1(VALU_DEP_3)
	v_add_f64 v[4:5], v[6:7], -v[10:11]
	v_cmp_le_f64_e32 vcc_lo, 0.5, v[6:7]
	v_add_f64 v[2:3], v[8:9], v[2:3]
	s_delay_alu instid0(VALU_DEP_3) | instskip(SKIP_2) | instid1(VALU_DEP_3)
	v_add_f64 v[4:5], v[14:15], -v[4:5]
	v_cndmask_b32_e64 v25, 0, 0x3ff00000, vcc_lo
	v_add_co_ci_u32_e64 v10, s2, 0, v27, vcc_lo
	v_add_f64 v[2:3], v[2:3], v[4:5]
	s_delay_alu instid0(VALU_DEP_3) | instskip(NEXT) | instid1(VALU_DEP_1)
	v_add_f64 v[4:5], v[6:7], -v[24:25]
	v_add_f64 v[6:7], v[4:5], v[2:3]
	s_delay_alu instid0(VALU_DEP_1) | instskip(SKIP_1) | instid1(VALU_DEP_2)
	v_mul_f64 v[8:9], v[6:7], s[6:7]
	v_add_f64 v[4:5], v[6:7], -v[4:5]
	v_fma_f64 v[11:12], v[6:7], s[6:7], -v[8:9]
	s_delay_alu instid0(VALU_DEP_2) | instskip(NEXT) | instid1(VALU_DEP_2)
	v_add_f64 v[2:3], v[2:3], -v[4:5]
	v_fma_f64 v[4:5], v[6:7], s[8:9], v[11:12]
	s_delay_alu instid0(VALU_DEP_1) | instskip(NEXT) | instid1(VALU_DEP_1)
	v_fma_f64 v[4:5], v[2:3], s[6:7], v[4:5]
	v_add_f64 v[2:3], v[8:9], v[4:5]
	s_delay_alu instid0(VALU_DEP_1) | instskip(NEXT) | instid1(VALU_DEP_1)
	v_add_f64 v[6:7], v[2:3], -v[8:9]
	v_add_f64 v[4:5], v[4:5], -v[6:7]
	s_and_not1_saveexec_b32 s2, s4
	s_cbranch_execz .LBB8_209
	s_branch .LBB8_208
.LBB8_207:
	s_and_not1_saveexec_b32 s2, s4
	s_cbranch_execz .LBB8_209
.LBB8_208:
	s_mov_b32 s6, 0x6dc9c883
	s_mov_b32 s7, 0x3fe45f30
	;; [unrolled: 1-line block ×3, first 2 shown]
	v_mul_f64 v[2:3], |v[0:1]|, s[6:7]
	s_mov_b32 s6, 0x54442d18
	s_mov_b32 s7, 0xbff921fb
	;; [unrolled: 1-line block ×3, first 2 shown]
	s_delay_alu instid0(VALU_DEP_1) | instskip(NEXT) | instid1(VALU_DEP_1)
	v_rndne_f64_e32 v[6:7], v[2:3]
	v_fma_f64 v[2:3], v[6:7], s[6:7], |v[0:1]|
	v_mul_f64 v[4:5], v[6:7], s[8:9]
	s_mov_b32 s6, 0x252049c0
	s_mov_b32 s7, 0xb97b839a
	s_delay_alu instid0(VALU_DEP_2) | instskip(NEXT) | instid1(VALU_DEP_2)
	v_fma_f64 v[10:11], v[6:7], s[8:9], v[2:3]
	v_add_f64 v[8:9], v[2:3], v[4:5]
	s_mov_b32 s9, 0x3c91a626
	s_delay_alu instid0(VALU_DEP_1) | instskip(NEXT) | instid1(VALU_DEP_3)
	v_add_f64 v[2:3], v[2:3], -v[8:9]
	v_add_f64 v[8:9], v[8:9], -v[10:11]
	s_delay_alu instid0(VALU_DEP_2) | instskip(SKIP_1) | instid1(VALU_DEP_2)
	v_add_f64 v[2:3], v[2:3], v[4:5]
	v_fma_f64 v[4:5], v[6:7], s[8:9], v[4:5]
	v_add_f64 v[2:3], v[8:9], v[2:3]
	s_delay_alu instid0(VALU_DEP_1) | instskip(NEXT) | instid1(VALU_DEP_1)
	v_add_f64 v[2:3], v[2:3], -v[4:5]
	v_fma_f64 v[4:5], v[6:7], s[6:7], v[2:3]
	s_delay_alu instid0(VALU_DEP_1) | instskip(NEXT) | instid1(VALU_DEP_1)
	v_add_f64 v[2:3], v[10:11], v[4:5]
	v_add_f64 v[8:9], v[2:3], -v[10:11]
	v_cvt_i32_f64_e32 v10, v[6:7]
	s_delay_alu instid0(VALU_DEP_2)
	v_add_f64 v[4:5], v[4:5], -v[8:9]
.LBB8_209:
	s_or_b32 exec_lo, exec_lo, s2
                                        ; implicit-def: $vgpr11
                                        ; implicit-def: $vgpr6_vgpr7
                                        ; implicit-def: $vgpr8_vgpr9
	s_and_saveexec_b32 s2, s3
	s_delay_alu instid0(SALU_CYCLE_1)
	s_xor_b32 s3, exec_lo, s2
	s_cbranch_execz .LBB8_211
; %bb.210:
	v_ldexp_f64 v[6:7], |v[0:1]|, 0xffffff80
	v_cmp_le_f64_e64 vcc_lo, 0x7b000000, |v[0:1]|
	v_trig_preop_f64 v[8:9], |v[0:1]|, 0
	v_and_b32_e32 v11, 0x7fffffff, v1
	v_trig_preop_f64 v[21:22], |v[0:1]|, 2
	v_mov_b32_e32 v29, 0
	s_mov_b32 s6, 0x54442d18
	s_mov_b32 s7, 0x3ff921fb
	;; [unrolled: 1-line block ×4, first 2 shown]
	v_dual_cndmask_b32 v6, v0, v6 :: v_dual_cndmask_b32 v7, v11, v7
	v_trig_preop_f64 v[11:12], |v[0:1]|, 1
	s_delay_alu instid0(VALU_DEP_2) | instskip(NEXT) | instid1(VALU_DEP_2)
	v_mul_f64 v[13:14], v[8:9], v[6:7]
	v_mul_f64 v[15:16], v[11:12], v[6:7]
	s_delay_alu instid0(VALU_DEP_2) | instskip(NEXT) | instid1(VALU_DEP_2)
	v_fma_f64 v[8:9], v[8:9], v[6:7], -v[13:14]
	v_fma_f64 v[11:12], v[11:12], v[6:7], -v[15:16]
	s_delay_alu instid0(VALU_DEP_2) | instskip(NEXT) | instid1(VALU_DEP_1)
	v_add_f64 v[17:18], v[15:16], v[8:9]
	v_add_f64 v[19:20], v[17:18], -v[15:16]
	v_add_f64 v[25:26], v[13:14], v[17:18]
	s_delay_alu instid0(VALU_DEP_2) | instskip(SKIP_1) | instid1(VALU_DEP_3)
	v_add_f64 v[23:24], v[17:18], -v[19:20]
	v_add_f64 v[8:9], v[8:9], -v[19:20]
	v_ldexp_f64 v[19:20], v[25:26], -2
	v_add_f64 v[13:14], v[25:26], -v[13:14]
	s_delay_alu instid0(VALU_DEP_4) | instskip(NEXT) | instid1(VALU_DEP_3)
	v_add_f64 v[15:16], v[15:16], -v[23:24]
	v_cmp_neq_f64_e64 vcc_lo, 0x7ff00000, |v[19:20]|
	s_delay_alu instid0(VALU_DEP_3) | instskip(NEXT) | instid1(VALU_DEP_3)
	v_add_f64 v[13:14], v[17:18], -v[13:14]
	v_add_f64 v[8:9], v[8:9], v[15:16]
	v_fract_f64_e32 v[15:16], v[19:20]
	s_delay_alu instid0(VALU_DEP_1) | instskip(SKIP_1) | instid1(VALU_DEP_3)
	v_cndmask_b32_e32 v16, 0, v16, vcc_lo
	v_mul_f64 v[27:28], v[21:22], v[6:7]
	v_cndmask_b32_e32 v15, 0, v15, vcc_lo
	s_delay_alu instid0(VALU_DEP_1) | instskip(NEXT) | instid1(VALU_DEP_3)
	v_ldexp_f64 v[15:16], v[15:16], 2
	v_add_f64 v[23:24], v[27:28], v[11:12]
	v_fma_f64 v[6:7], v[21:22], v[6:7], -v[27:28]
	s_delay_alu instid0(VALU_DEP_2) | instskip(NEXT) | instid1(VALU_DEP_1)
	v_add_f64 v[17:18], v[23:24], v[8:9]
	v_add_f64 v[19:20], v[13:14], v[17:18]
	s_delay_alu instid0(VALU_DEP_1) | instskip(SKIP_1) | instid1(VALU_DEP_2)
	v_add_f64 v[25:26], v[19:20], v[15:16]
	v_add_f64 v[13:14], v[19:20], -v[13:14]
	v_cmp_gt_f64_e32 vcc_lo, 0, v[25:26]
	v_add_f64 v[25:26], v[23:24], -v[27:28]
	v_cndmask_b32_e64 v30, 0, 0x40100000, vcc_lo
	s_delay_alu instid0(VALU_DEP_2) | instskip(SKIP_1) | instid1(VALU_DEP_3)
	v_add_f64 v[34:35], v[23:24], -v[25:26]
	v_add_f64 v[11:12], v[11:12], -v[25:26]
	v_add_f64 v[15:16], v[15:16], v[29:30]
	v_add_f64 v[30:31], v[17:18], -v[23:24]
	s_delay_alu instid0(VALU_DEP_4) | instskip(NEXT) | instid1(VALU_DEP_3)
	v_add_f64 v[25:26], v[27:28], -v[34:35]
	v_add_f64 v[32:33], v[19:20], v[15:16]
	s_delay_alu instid0(VALU_DEP_3) | instskip(SKIP_1) | instid1(VALU_DEP_4)
	v_add_f64 v[36:37], v[17:18], -v[30:31]
	v_add_f64 v[8:9], v[8:9], -v[30:31]
	v_add_f64 v[11:12], v[11:12], v[25:26]
	s_delay_alu instid0(VALU_DEP_4) | instskip(NEXT) | instid1(VALU_DEP_4)
	v_cvt_i32_f64_e32 v32, v[32:33]
	v_add_f64 v[23:24], v[23:24], -v[36:37]
	s_delay_alu instid0(VALU_DEP_2) | instskip(NEXT) | instid1(VALU_DEP_2)
	v_cvt_f64_i32_e32 v[30:31], v32
	v_add_f64 v[8:9], v[8:9], v[23:24]
	s_delay_alu instid0(VALU_DEP_2) | instskip(NEXT) | instid1(VALU_DEP_2)
	v_add_f64 v[15:16], v[15:16], -v[30:31]
	v_add_f64 v[8:9], v[11:12], v[8:9]
	v_add_f64 v[11:12], v[17:18], -v[13:14]
	s_delay_alu instid0(VALU_DEP_3) | instskip(NEXT) | instid1(VALU_DEP_3)
	v_add_f64 v[21:22], v[19:20], v[15:16]
	v_add_f64 v[6:7], v[6:7], v[8:9]
	s_delay_alu instid0(VALU_DEP_2) | instskip(SKIP_1) | instid1(VALU_DEP_3)
	v_add_f64 v[8:9], v[21:22], -v[15:16]
	v_cmp_le_f64_e32 vcc_lo, 0.5, v[21:22]
	v_add_f64 v[6:7], v[11:12], v[6:7]
	s_delay_alu instid0(VALU_DEP_3) | instskip(SKIP_2) | instid1(VALU_DEP_3)
	v_add_f64 v[8:9], v[19:20], -v[8:9]
	v_cndmask_b32_e64 v30, 0, 0x3ff00000, vcc_lo
	v_add_co_ci_u32_e64 v11, s2, 0, v32, vcc_lo
	v_add_f64 v[6:7], v[6:7], v[8:9]
	s_delay_alu instid0(VALU_DEP_3) | instskip(NEXT) | instid1(VALU_DEP_1)
	v_add_f64 v[8:9], v[21:22], -v[29:30]
	v_add_f64 v[12:13], v[8:9], v[6:7]
	s_delay_alu instid0(VALU_DEP_1) | instskip(SKIP_1) | instid1(VALU_DEP_2)
	v_mul_f64 v[14:15], v[12:13], s[6:7]
	v_add_f64 v[8:9], v[12:13], -v[8:9]
	v_fma_f64 v[16:17], v[12:13], s[6:7], -v[14:15]
	s_delay_alu instid0(VALU_DEP_2) | instskip(NEXT) | instid1(VALU_DEP_2)
	v_add_f64 v[6:7], v[6:7], -v[8:9]
	v_fma_f64 v[8:9], v[12:13], s[8:9], v[16:17]
	s_delay_alu instid0(VALU_DEP_1) | instskip(NEXT) | instid1(VALU_DEP_1)
	v_fma_f64 v[8:9], v[6:7], s[6:7], v[8:9]
	v_add_f64 v[6:7], v[14:15], v[8:9]
	s_delay_alu instid0(VALU_DEP_1) | instskip(NEXT) | instid1(VALU_DEP_1)
	v_add_f64 v[12:13], v[6:7], -v[14:15]
	v_add_f64 v[8:9], v[8:9], -v[12:13]
	s_and_not1_saveexec_b32 s2, s3
	s_cbranch_execnz .LBB8_212
	s_branch .LBB8_213
.LBB8_211:
	s_and_not1_saveexec_b32 s2, s3
	s_cbranch_execz .LBB8_213
.LBB8_212:
	s_mov_b32 s6, 0x6dc9c883
	s_mov_b32 s7, 0x3fe45f30
	;; [unrolled: 1-line block ×3, first 2 shown]
	v_mul_f64 v[6:7], |v[0:1]|, s[6:7]
	s_mov_b32 s6, 0x54442d18
	s_mov_b32 s7, 0xbff921fb
	;; [unrolled: 1-line block ×3, first 2 shown]
	s_delay_alu instid0(VALU_DEP_1) | instskip(NEXT) | instid1(VALU_DEP_1)
	v_rndne_f64_e32 v[11:12], v[6:7]
	v_fma_f64 v[6:7], v[11:12], s[6:7], |v[0:1]|
	v_mul_f64 v[8:9], v[11:12], s[8:9]
	s_mov_b32 s6, 0x252049c0
	s_mov_b32 s7, 0xb97b839a
	s_delay_alu instid0(VALU_DEP_2) | instskip(NEXT) | instid1(VALU_DEP_2)
	v_fma_f64 v[15:16], v[11:12], s[8:9], v[6:7]
	v_add_f64 v[13:14], v[6:7], v[8:9]
	s_mov_b32 s9, 0x3c91a626
	s_delay_alu instid0(VALU_DEP_1) | instskip(NEXT) | instid1(VALU_DEP_3)
	v_add_f64 v[6:7], v[6:7], -v[13:14]
	v_add_f64 v[13:14], v[13:14], -v[15:16]
	s_delay_alu instid0(VALU_DEP_2) | instskip(SKIP_1) | instid1(VALU_DEP_2)
	v_add_f64 v[6:7], v[6:7], v[8:9]
	v_fma_f64 v[8:9], v[11:12], s[8:9], v[8:9]
	v_add_f64 v[6:7], v[13:14], v[6:7]
	s_delay_alu instid0(VALU_DEP_1) | instskip(NEXT) | instid1(VALU_DEP_1)
	v_add_f64 v[6:7], v[6:7], -v[8:9]
	v_fma_f64 v[8:9], v[11:12], s[6:7], v[6:7]
	v_cvt_i32_f64_e32 v11, v[11:12]
	s_delay_alu instid0(VALU_DEP_2) | instskip(NEXT) | instid1(VALU_DEP_1)
	v_add_f64 v[6:7], v[15:16], v[8:9]
	v_add_f64 v[13:14], v[6:7], -v[15:16]
	s_delay_alu instid0(VALU_DEP_1)
	v_add_f64 v[8:9], v[8:9], -v[13:14]
.LBB8_213:
	s_or_b32 exec_lo, exec_lo, s2
	v_div_scale_f64 v[12:13], null, v[41:42], v[41:42], 0x40140000
	v_div_scale_f64 v[18:19], vcc_lo, 0x40140000, v[41:42], 0x40140000
	s_mov_b32 s2, 0x6b70ba40
	s_mov_b32 s3, 0x3faa27fa
	;; [unrolled: 1-line block ×6, first 2 shown]
	v_mul_f64 v[26:27], v[2:3], v[2:3]
	v_mul_f64 v[32:33], v[6:7], v[6:7]
	s_mov_b32 s10, 0x796cde01
	s_mov_b32 s11, 0x3ec71de3
	v_mul_f64 v[62:63], v[4:5], 0.5
	v_rcp_f64_e32 v[14:15], v[12:13]
	s_delay_alu instid0(VALU_DEP_3) | instskip(SKIP_1) | instid1(VALU_DEP_4)
	v_mul_f64 v[50:51], v[26:27], 0.5
	v_mul_f64 v[64:65], v[2:3], -v[26:27]
	v_mul_f64 v[70:71], v[6:7], -v[32:33]
	s_waitcnt_depctr 0xfff
	v_fma_f64 v[16:17], -v[12:13], v[14:15], 1.0
	v_add_f64 v[52:53], -v[50:51], 1.0
	s_delay_alu instid0(VALU_DEP_2) | instskip(NEXT) | instid1(VALU_DEP_2)
	v_fma_f64 v[14:15], v[14:15], v[16:17], v[14:15]
	v_add_f64 v[66:67], -v[52:53], 1.0
	s_delay_alu instid0(VALU_DEP_2) | instskip(NEXT) | instid1(VALU_DEP_2)
	v_fma_f64 v[16:17], -v[12:13], v[14:15], 1.0
	v_add_f64 v[50:51], v[66:67], -v[50:51]
	s_delay_alu instid0(VALU_DEP_2) | instskip(NEXT) | instid1(VALU_DEP_2)
	v_fma_f64 v[14:15], v[14:15], v[16:17], v[14:15]
	v_fma_f64 v[50:51], v[2:3], -v[4:5], v[50:51]
	s_delay_alu instid0(VALU_DEP_2) | instskip(NEXT) | instid1(VALU_DEP_1)
	v_mul_f64 v[16:17], v[18:19], v[14:15]
	v_fma_f64 v[12:13], -v[12:13], v[16:17], v[18:19]
	s_delay_alu instid0(VALU_DEP_1) | instskip(NEXT) | instid1(VALU_DEP_1)
	v_div_fmas_f64 v[12:13], v[12:13], v[14:15], v[16:17]
	v_div_fixup_f64 v[12:13], v[12:13], v[41:42], 0x40140000
	s_delay_alu instid0(VALU_DEP_1) | instskip(NEXT) | instid1(VALU_DEP_1)
	v_mul_f64 v[14:15], v[12:13], v[12:13]
	v_fma_f64 v[16:17], v[14:15], 0, s[2:3]
	s_mov_b32 s2, 0x4c6c651b
	s_mov_b32 s3, 0x3f48f92c
	v_fma_f64 v[18:19], v[14:15], 0, s[6:7]
	v_fma_f64 v[20:21], v[14:15], 0, s[2:3]
	s_mov_b32 s2, 0xc66d8fd6
	s_mov_b32 s3, 0x4013edb5
	v_fma_f64 v[22:23], v[14:15], 0, s[8:9]
	s_mov_b32 s6, 0x5948aa83
	s_mov_b32 s7, 0x3fb19fdd
	s_mov_b32 s8, 0xa20e5f6f
	s_mov_b32 s9, 0x409081cb
	s_delay_alu instid0(VALU_DEP_4) | instskip(SKIP_2) | instid1(VALU_DEP_4)
	v_fma_f64 v[16:17], v[14:15], v[16:17], s[2:3]
	s_mov_b32 s2, 0xa3fec4b6
	s_mov_b32 s3, 0x3fb2b948
	v_fma_f64 v[18:19], v[14:15], v[18:19], s[6:7]
	s_delay_alu instid0(VALU_DEP_4) | instskip(SKIP_2) | instid1(VALU_DEP_4)
	v_fma_f64 v[20:21], v[14:15], v[20:21], s[2:3]
	s_mov_b32 s2, 0x9acf1c67
	s_mov_b32 s3, 0x4052f4b9
	v_fma_f64 v[22:23], v[14:15], v[22:23], s[8:9]
	s_mov_b32 s6, 0xb850eed6
	s_mov_b32 s7, 0x3ff1aea9
	s_mov_b32 s8, 0x1bfdfe81
	s_mov_b32 s9, 0x40b37a69
	s_delay_alu instid0(VALU_DEP_4) | instskip(SKIP_2) | instid1(VALU_DEP_4)
	v_fma_f64 v[16:17], v[14:15], v[16:17], s[2:3]
	s_mov_b32 s2, 0xc21596d6
	s_mov_b32 s3, 0x3ff208fe
	v_fma_f64 v[18:19], v[14:15], v[18:19], s[6:7]
	s_delay_alu instid0(VALU_DEP_4) | instskip(SKIP_2) | instid1(VALU_DEP_4)
	;; [unrolled: 14-line block ×5, first 2 shown]
	v_fma_f64 v[20:21], v[14:15], v[20:21], s[2:3]
	s_mov_b32 s2, 0x4c54bb0b
	s_mov_b32 s3, 0x406a760a
	v_fma_f64 v[22:23], v[14:15], v[22:23], s[8:9]
	s_mov_b32 s6, 0x4d159eb5
	s_mov_b32 s7, 0x403934ff
	;; [unrolled: 1-line block ×4, first 2 shown]
	s_delay_alu instid0(VALU_DEP_4) | instskip(SKIP_2) | instid1(VALU_DEP_4)
	v_fma_f64 v[16:17], v[14:15], v[16:17], s[2:3]
	s_mov_b32 s2, 0x6ae75997
	s_mov_b32 s3, 0x4075017f
	v_fma_f64 v[18:19], v[14:15], v[18:19], 1.0
	s_delay_alu instid0(VALU_DEP_4) | instskip(NEXT) | instid1(VALU_DEP_4)
	v_fma_f64 v[20:21], v[14:15], v[20:21], 1.0
	v_fma_f64 v[22:23], v[14:15], v[22:23], s[2:3]
	s_mov_b32 s2, 0xb42fdfa7
	s_mov_b32 s3, 0xbe5ae600
	s_delay_alu instid0(VALU_DEP_4) | instskip(SKIP_2) | instid1(VALU_DEP_3)
	v_fma_f64 v[14:15], v[14:15], v[16:17], s[6:7]
	s_mov_b32 s6, 0xf9a43bb8
	s_mov_b32 s7, 0x3de5e0b2
	v_div_scale_f64 v[16:17], null, v[18:19], v[18:19], v[20:21]
	v_fma_f64 v[34:35], v[26:27], s[6:7], s[2:3]
	v_fma_f64 v[46:47], v[32:33], s[6:7], s[2:3]
	v_cmp_gt_f64_e64 s2, 0x10000000, v[41:42]
	s_mov_b32 s6, 0x9037ab78
	s_mov_b32 s7, 0x3e21eeb6
	v_div_scale_f64 v[68:69], vcc_lo, v[20:21], v[18:19], v[20:21]
	v_fma_f64 v[48:49], v[26:27], s[8:9], s[6:7]
	v_div_scale_f64 v[24:25], null, v[22:23], v[22:23], v[14:15]
	v_rcp_f64_e32 v[28:29], v[16:17]
	v_fma_f64 v[34:35], v[26:27], v[34:35], s[10:11]
	s_delay_alu instid0(VALU_DEP_2) | instskip(SKIP_3) | instid1(VALU_DEP_2)
	v_rcp_f64_e32 v[30:31], v[24:25]
	s_waitcnt_depctr 0xfff
	v_fma_f64 v[36:37], -v[16:17], v[28:29], 1.0
	v_fma_f64 v[38:39], -v[24:25], v[30:31], 1.0
	v_fma_f64 v[28:29], v[28:29], v[36:37], v[28:29]
	v_fma_f64 v[36:37], v[32:33], v[46:47], s[10:11]
	;; [unrolled: 1-line block ×3, first 2 shown]
	s_mov_b32 s8, 0x19e83e5c
	s_mov_b32 s9, 0xbf2a01a0
	;; [unrolled: 1-line block ×3, first 2 shown]
	v_fma_f64 v[34:35], v[26:27], v[34:35], s[8:9]
	s_mov_b32 s7, 0xbe927e4f
	s_delay_alu instid0(SALU_CYCLE_1) | instskip(SKIP_4) | instid1(VALU_DEP_3)
	v_fma_f64 v[48:49], v[26:27], v[48:49], s[6:7]
	v_fma_f64 v[30:31], v[30:31], v[38:39], v[30:31]
	v_cndmask_b32_e64 v38, 0, 1, s2
	v_fma_f64 v[54:55], -v[16:17], v[28:29], 1.0
	v_fma_f64 v[36:37], v[32:33], v[36:37], s[8:9]
	v_lshlrev_b32_e32 v40, 8, v38
	v_mul_f64 v[38:39], v[32:33], 0.5
	v_fma_f64 v[46:47], v[32:33], v[46:47], s[6:7]
	s_mov_b32 s8, 0x11110bb3
	s_mov_b32 s9, 0x3f811111
	v_ldexp_f64 v[40:41], v[41:42], v40
	v_fma_f64 v[34:35], v[26:27], v[34:35], s[8:9]
	s_mov_b32 s6, 0x19f4ec90
	s_mov_b32 s7, 0x3efa01a0
	s_delay_alu instid0(SALU_CYCLE_1)
	v_fma_f64 v[48:49], v[26:27], v[48:49], s[6:7]
	v_fma_f64 v[56:57], -v[24:25], v[30:31], 1.0
	v_fma_f64 v[28:29], v[28:29], v[54:55], v[28:29]
	v_div_scale_f64 v[54:55], s3, v[14:15], v[22:23], v[14:15]
	v_add_f64 v[58:59], -v[38:39], 1.0
	v_fma_f64 v[36:37], v[32:33], v[36:37], s[8:9]
	v_fma_f64 v[46:47], v[32:33], v[46:47], s[6:7]
	s_mov_b32 s6, 0x16c16967
	v_rsq_f64_e32 v[60:61], v[40:41]
	v_fma_f64 v[34:35], v[64:65], v[34:35], v[62:63]
	s_mov_b32 s7, 0xbf56c16c
	s_delay_alu instid0(SALU_CYCLE_1)
	v_fma_f64 v[48:49], v[26:27], v[48:49], s[6:7]
	v_fma_f64 v[30:31], v[30:31], v[56:57], v[30:31]
	v_mul_f64 v[56:57], v[8:9], 0.5
	v_mul_f64 v[62:63], v[68:69], v[28:29]
	v_add_f64 v[72:73], -v[58:59], 1.0
	v_fma_f64 v[46:47], v[32:33], v[46:47], s[6:7]
	s_mov_b32 s6, 0x55555555
	s_mov_b32 s7, 0x3fa55555
	v_fma_f64 v[4:5], v[26:27], v[34:35], -v[4:5]
	s_delay_alu instid0(TRANS32_DEP_1)
	v_mul_f64 v[74:75], v[40:41], v[60:61]
	v_mul_f64 v[60:61], v[60:61], 0.5
	v_mul_f64 v[34:35], v[32:33], v[32:33]
	v_fma_f64 v[48:49], v[26:27], v[48:49], s[6:7]
	v_mul_f64 v[66:67], v[54:55], v[30:31]
	v_fma_f64 v[36:37], v[70:71], v[36:37], v[56:57]
	v_mul_f64 v[56:57], v[26:27], v[26:27]
	v_fma_f64 v[16:17], -v[16:17], v[62:63], v[68:69]
	v_add_f64 v[38:39], v[72:73], -v[38:39]
	v_fma_f64 v[72:73], -v[60:61], v[74:75], 0.5
	v_fma_f64 v[24:25], -v[24:25], v[66:67], v[54:55]
	v_fma_f64 v[26:27], v[32:33], v[36:37], -v[8:9]
	v_fma_f64 v[32:33], v[32:33], v[46:47], s[6:7]
	s_mov_b32 s7, 0xbfc55555
	v_div_fmas_f64 v[16:17], v[16:17], v[28:29], v[62:63]
	s_mov_b32 vcc_lo, s3
	v_fma_f64 v[4:5], v[64:65], s[6:7], v[4:5]
	v_fma_f64 v[8:9], v[6:7], -v[8:9], v[38:39]
	v_fma_f64 v[38:39], v[56:57], v[48:49], v[50:51]
	v_cmp_class_f64_e64 s3, v[0:1], 0x1f8
	v_and_b32_e32 v0, 1, v11
	v_lshlrev_b32_e32 v11, 30, v11
	v_fma_f64 v[36:37], v[74:75], v[72:73], v[74:75]
	v_fma_f64 v[28:29], v[60:61], v[72:73], v[60:61]
	s_delay_alu instid0(VALU_DEP_4) | instskip(NEXT) | instid1(VALU_DEP_4)
	v_cmp_eq_u32_e64 s4, 0, v0
	v_and_b32_e32 v0, 0x80000000, v11
	v_div_fmas_f64 v[24:25], v[24:25], v[30:31], v[66:67]
	v_fma_f64 v[26:27], v[70:71], s[6:7], v[26:27]
	v_add_f64 v[2:3], v[2:3], -v[4:5]
	v_fma_f64 v[8:9], v[34:35], v[32:33], v[8:9]
	v_add_f64 v[32:33], v[52:53], v[38:39]
	v_fma_f64 v[30:31], -v[36:37], v[36:37], v[40:41]
	v_div_fixup_f64 v[4:5], v[24:25], v[22:23], v[14:15]
	v_add_f64 v[6:7], v[6:7], -v[26:27]
	v_and_b32_e32 v22, 1, v10
	v_add_f64 v[8:9], v[58:59], v[8:9]
	s_delay_alu instid0(VALU_DEP_2)
	v_cmp_eq_u32_e32 vcc_lo, 0, v22
	v_cndmask_b32_e32 v2, v32, v2, vcc_lo
	v_fma_f64 v[14:15], v[30:31], v[28:29], v[36:37]
	v_mul_f64 v[4:5], v[12:13], v[4:5]
	v_xor_b32_e32 v7, 0x80000000, v7
	v_div_fixup_f64 v[11:12], v[16:17], v[18:19], v[20:21]
	v_cndmask_b32_e64 v8, v6, v8, s4
	s_delay_alu instid0(VALU_DEP_3) | instskip(NEXT) | instid1(VALU_DEP_2)
	v_cndmask_b32_e64 v6, v7, v9, s4
	v_cndmask_b32_e64 v8, 0, v8, s3
	s_delay_alu instid0(VALU_DEP_2) | instskip(SKIP_3) | instid1(VALU_DEP_4)
	v_xor_b32_e32 v9, v6, v0
	v_fma_f64 v[6:7], -v[14:15], v[14:15], v[40:41]
	v_cndmask_b32_e64 v0, 0, v2, s3
	v_lshlrev_b32_e32 v2, 30, v10
	v_cndmask_b32_e64 v9, 0x7ff80000, v9, s3
	s_delay_alu instid0(VALU_DEP_2) | instskip(SKIP_2) | instid1(VALU_DEP_3)
	v_xor_b32_e32 v1, v2, v1
	v_cndmask_b32_e32 v2, v33, v3, vcc_lo
	v_cmp_class_f64_e64 vcc_lo, v[40:41], 0x260
	v_and_b32_e32 v1, 0x80000000, v1
	s_delay_alu instid0(VALU_DEP_1) | instskip(NEXT) | instid1(VALU_DEP_1)
	v_xor_b32_e32 v1, v2, v1
	v_cndmask_b32_e64 v1, 0x7ff80000, v1, s3
	v_mul_f64 v[4:5], v[4:5], v[8:9]
	v_fma_f64 v[2:3], v[6:7], v[28:29], v[14:15]
	s_delay_alu instid0(VALU_DEP_2) | instskip(SKIP_3) | instid1(VALU_DEP_1)
	v_fma_f64 v[0:1], v[11:12], v[0:1], v[4:5]
	v_cndmask_b32_e64 v4, 0, 0xffffff80, s2
	s_mov_b32 s2, 0x33d43651
	s_mov_b32 s3, 0x3fe98845
	v_ldexp_f64 v[2:3], v[2:3], v4
	s_delay_alu instid0(VALU_DEP_3) | instskip(NEXT) | instid1(VALU_DEP_2)
	v_mul_f64 v[0:1], v[0:1], s[2:3]
	v_dual_cndmask_b32 v3, v3, v41 :: v_dual_cndmask_b32 v2, v2, v40
	s_delay_alu instid0(VALU_DEP_1) | instskip(NEXT) | instid1(VALU_DEP_1)
	v_div_scale_f64 v[4:5], null, v[2:3], v[2:3], v[0:1]
	v_rcp_f64_e32 v[6:7], v[4:5]
	s_waitcnt_depctr 0xfff
	v_fma_f64 v[8:9], -v[4:5], v[6:7], 1.0
	s_delay_alu instid0(VALU_DEP_1) | instskip(NEXT) | instid1(VALU_DEP_1)
	v_fma_f64 v[6:7], v[6:7], v[8:9], v[6:7]
	v_fma_f64 v[8:9], -v[4:5], v[6:7], 1.0
	s_delay_alu instid0(VALU_DEP_1) | instskip(SKIP_1) | instid1(VALU_DEP_1)
	v_fma_f64 v[6:7], v[6:7], v[8:9], v[6:7]
	v_div_scale_f64 v[8:9], vcc_lo, v[0:1], v[2:3], v[0:1]
	v_mul_f64 v[10:11], v[8:9], v[6:7]
	s_delay_alu instid0(VALU_DEP_1) | instskip(NEXT) | instid1(VALU_DEP_1)
	v_fma_f64 v[4:5], -v[4:5], v[10:11], v[8:9]
	v_div_fmas_f64 v[4:5], v[4:5], v[6:7], v[10:11]
	s_delay_alu instid0(VALU_DEP_1)
	v_div_fixup_f64 v[0:1], v[4:5], v[2:3], v[0:1]
.LBB8_214:
	s_or_b32 exec_lo, exec_lo, s5
	v_add_nc_u32_e32 v45, 0x80, v45
	global_store_b64 v43, v[0:1], s[36:37]
	s_or_b32 exec_lo, exec_lo, s61
	s_delay_alu instid0(SALU_CYCLE_1)
	s_mov_b32 s52, exec_lo
	v_cmpx_gt_i32_e64 s58, v45
	s_cbranch_execz .LBB8_189
.LBB8_215:
	s_and_not1_b32 vcc_lo, exec_lo, s55
	s_cbranch_vccnz .LBB8_220
; %bb.216:
	v_dual_mov_b32 v43, 0 :: v_dual_mov_b32 v0, 0
	s_and_not1_b32 vcc_lo, exec_lo, s60
	s_mov_b32 s6, 0
	s_cbranch_vccnz .LBB8_225
; %bb.217:
	v_mov_b32_e32 v43, 0
	s_add_i32 s59, s59, 1
	s_cmp_eq_u32 s54, 2
	s_mov_b32 s4, 0
	s_cbranch_scc1 .LBB8_221
; %bb.218:
	v_dual_mov_b32 v0, 0 :: v_dual_mov_b32 v43, 0
	v_mov_b32_e32 v1, v45
	s_and_b32 s4, s59, 28
	s_mov_b32 s5, 0
	s_mov_b64 s[2:3], s[0:1]
.LBB8_219:                              ; =>This Inner Loop Header: Depth=1
	s_clause 0x1
	s_load_b256 s[8:15], s[2:3], 0x4
	s_load_b128 s[24:27], s[2:3], 0x24
	s_load_b256 s[16:23], s[50:51], 0x0
	s_add_u32 s2, s2, 48
	s_addc_u32 s3, s3, 0
	s_add_i32 s5, s5, 4
	s_add_u32 s50, s50, 32
	s_addc_u32 s51, s51, 0
	s_cmp_eq_u32 s4, s5
	s_waitcnt lgkmcnt(0)
	v_mul_hi_u32 v2, s9, v1
	s_delay_alu instid0(VALU_DEP_1) | instskip(NEXT) | instid1(VALU_DEP_1)
	v_add_nc_u32_e32 v2, v1, v2
	v_lshrrev_b32_e32 v2, s10, v2
	s_delay_alu instid0(VALU_DEP_1) | instskip(SKIP_1) | instid1(VALU_DEP_2)
	v_mul_hi_u32 v3, s12, v2
	v_mul_lo_u32 v5, v2, s8
	v_add_nc_u32_e32 v3, v2, v3
	s_delay_alu instid0(VALU_DEP_2) | instskip(NEXT) | instid1(VALU_DEP_2)
	v_sub_nc_u32_e32 v1, v1, v5
	v_lshrrev_b32_e32 v3, s13, v3
	s_delay_alu instid0(VALU_DEP_2) | instskip(SKIP_1) | instid1(VALU_DEP_3)
	v_mul_lo_u32 v5, v1, s16
	v_mul_lo_u32 v7, v1, s17
	v_mul_hi_u32 v4, s15, v3
	s_delay_alu instid0(VALU_DEP_1) | instskip(NEXT) | instid1(VALU_DEP_1)
	v_add_nc_u32_e32 v4, v3, v4
	v_lshrrev_b32_e32 v4, s24, v4
	s_delay_alu instid0(VALU_DEP_1) | instskip(SKIP_1) | instid1(VALU_DEP_2)
	v_mul_hi_u32 v6, s26, v4
	v_mul_lo_u32 v8, v4, s14
	v_add_nc_u32_e32 v1, v4, v6
	v_mul_lo_u32 v6, v3, s11
	s_delay_alu instid0(VALU_DEP_3) | instskip(NEXT) | instid1(VALU_DEP_3)
	v_sub_nc_u32_e32 v3, v3, v8
	v_lshrrev_b32_e32 v1, s27, v1
	s_delay_alu instid0(VALU_DEP_2) | instskip(SKIP_2) | instid1(VALU_DEP_4)
	v_mul_lo_u32 v8, v3, s20
	v_mul_lo_u32 v3, v3, s21
	v_sub_nc_u32_e32 v2, v2, v6
	v_mul_lo_u32 v9, v1, s25
	s_delay_alu instid0(VALU_DEP_2) | instskip(SKIP_1) | instid1(VALU_DEP_3)
	v_mul_lo_u32 v6, v2, s18
	v_mul_lo_u32 v2, v2, s19
	v_sub_nc_u32_e32 v4, v4, v9
	s_delay_alu instid0(VALU_DEP_3) | instskip(NEXT) | instid1(VALU_DEP_2)
	v_add3_u32 v5, v5, v43, v6
	v_mul_lo_u32 v9, v4, s22
	v_mul_lo_u32 v4, v4, s23
	v_add3_u32 v0, v7, v0, v2
	s_delay_alu instid0(VALU_DEP_3) | instskip(NEXT) | instid1(VALU_DEP_2)
	v_add3_u32 v43, v8, v5, v9
	v_add3_u32 v0, v3, v0, v4
	s_cbranch_scc0 .LBB8_219
	s_branch .LBB8_222
.LBB8_220:
	s_mov_b32 s6, -1
                                        ; implicit-def: $vgpr43
                                        ; implicit-def: $vgpr0
	s_branch .LBB8_225
.LBB8_221:
	v_dual_mov_b32 v1, v45 :: v_dual_mov_b32 v0, 0
.LBB8_222:
	s_and_b32 s7, s59, 3
	s_delay_alu instid0(SALU_CYCLE_1)
	s_cmp_eq_u32 s7, 0
	s_cbranch_scc1 .LBB8_225
; %bb.223:
	s_lshl_b32 s2, s4, 3
	s_mul_i32 s4, s4, 12
	s_add_u32 s2, s2, s0
	s_addc_u32 s3, s1, 0
	s_add_u32 s2, s2, 0xc4
	s_addc_u32 s3, s3, 0
	;; [unrolled: 2-line block ×3, first 2 shown]
	.p2align	6
.LBB8_224:                              ; =>This Inner Loop Header: Depth=1
	s_clause 0x1
	s_load_b64 s[8:9], s[4:5], 0x4
	s_load_b32 s12, s[4:5], 0xc
	s_load_b64 s[10:11], s[2:3], 0x0
	s_add_u32 s4, s4, 12
	s_addc_u32 s5, s5, 0
	s_add_u32 s2, s2, 8
	s_addc_u32 s3, s3, 0
	s_add_i32 s7, s7, -1
	s_delay_alu instid0(SALU_CYCLE_1) | instskip(SKIP_2) | instid1(VALU_DEP_1)
	s_cmp_lg_u32 s7, 0
	s_waitcnt lgkmcnt(0)
	v_mul_hi_u32 v2, s9, v1
	v_add_nc_u32_e32 v2, v1, v2
	s_delay_alu instid0(VALU_DEP_1) | instskip(NEXT) | instid1(VALU_DEP_1)
	v_lshrrev_b32_e32 v5, s12, v2
	v_mul_lo_u32 v2, v5, s8
	s_delay_alu instid0(VALU_DEP_1) | instskip(NEXT) | instid1(VALU_DEP_1)
	v_sub_nc_u32_e32 v1, v1, v2
	v_mad_u64_u32 v[2:3], null, v1, s10, v[43:44]
	v_mad_u64_u32 v[3:4], null, v1, s11, v[0:1]
	v_mov_b32_e32 v1, v5
	s_delay_alu instid0(VALU_DEP_2)
	v_dual_mov_b32 v43, v2 :: v_dual_mov_b32 v0, v3
	s_cbranch_scc1 .LBB8_224
.LBB8_225:
	s_and_not1_b32 vcc_lo, exec_lo, s6
	s_cbranch_vccnz .LBB8_228
; %bb.226:
	s_waitcnt lgkmcnt(0)
	v_mul_hi_u32 v0, s45, v45
	s_and_not1_b32 vcc_lo, exec_lo, s57
	s_delay_alu instid0(VALU_DEP_1) | instskip(NEXT) | instid1(VALU_DEP_1)
	v_add_nc_u32_e32 v0, v45, v0
	v_lshrrev_b32_e32 v1, s46, v0
	s_delay_alu instid0(VALU_DEP_1) | instskip(NEXT) | instid1(VALU_DEP_1)
	v_mul_lo_u32 v0, v1, s44
	v_sub_nc_u32_e32 v0, v45, v0
	s_delay_alu instid0(VALU_DEP_1)
	v_mul_lo_u32 v43, v0, s40
	v_mul_lo_u32 v0, v0, s41
	s_cbranch_vccnz .LBB8_228
; %bb.227:
	v_mul_hi_u32 v2, s48, v1
	s_delay_alu instid0(VALU_DEP_1) | instskip(NEXT) | instid1(VALU_DEP_1)
	v_add_nc_u32_e32 v2, v1, v2
	v_lshrrev_b32_e32 v2, s49, v2
	s_delay_alu instid0(VALU_DEP_1) | instskip(NEXT) | instid1(VALU_DEP_1)
	v_mul_lo_u32 v2, v2, s47
	v_sub_nc_u32_e32 v4, v1, v2
	s_delay_alu instid0(VALU_DEP_1) | instskip(NEXT) | instid1(VALU_DEP_1)
	v_mad_u64_u32 v[1:2], null, v4, s42, v[43:44]
	v_mad_u64_u32 v[2:3], null, v4, s43, v[0:1]
	s_delay_alu instid0(VALU_DEP_1)
	v_dual_mov_b32 v43, v1 :: v_dual_mov_b32 v0, v2
.LBB8_228:
	s_waitcnt lgkmcnt(0)
	global_load_b64 v[41:42], v0, s[38:39]
                                        ; implicit-def: $vgpr0_vgpr1
	s_mov_b32 s2, exec_lo
	s_waitcnt vmcnt(0)
	v_cmpx_ge_f64_e32 0x40140000, v[41:42]
	s_xor_b32 s40, exec_lo, s2
	s_cbranch_execz .LBB8_234
; %bb.229:
	v_mov_b32_e32 v0, 0
	v_mov_b32_e32 v1, 0xfff00000
	s_mov_b32 s41, exec_lo
	v_cmpx_neq_f64_e32 0, v[41:42]
	s_cbranch_execz .LBB8_233
; %bb.230:
	v_mov_b32_e32 v0, 0
	v_mov_b32_e32 v1, 0x7ff80000
	s_mov_b32 s42, exec_lo
	v_cmpx_nge_f64_e32 0, v[41:42]
	s_cbranch_execz .LBB8_232
; %bb.231:
	v_mul_f64 v[0:1], v[41:42], v[41:42]
	s_mov_b32 s2, 0xa93f7ac2
	s_mov_b32 s3, 0x40829269
	;; [unrolled: 1-line block ×4, first 2 shown]
	s_mov_b64 s[38:39], s[0:1]
	s_delay_alu instid0(VALU_DEP_1)
	v_fma_f64 v[2:3], v[0:1], 0, s[2:3]
	s_mov_b32 s2, 0xbe58ef7f
	s_mov_b32 s3, 0x410cc160
	s_delay_alu instid0(VALU_DEP_1) | instid1(SALU_CYCLE_1)
	v_fma_f64 v[2:3], v[0:1], v[2:3], s[2:3]
	s_mov_b32 s2, 0x62f9b6c5
	s_mov_b32 s3, 0x41d2d2be
	s_delay_alu instid0(SALU_CYCLE_1) | instskip(SKIP_2) | instid1(VALU_DEP_2)
	v_fma_f64 v[4:5], v[0:1], 0, s[2:3]
	s_mov_b32 s2, 0x58836521
	s_mov_b32 s3, 0xc262d72d
	v_fma_f64 v[2:3], v[0:1], v[2:3], s[4:5]
	s_mov_b32 s4, 0x906b7b83
	s_mov_b32 s5, 0x421178c3
	s_delay_alu instid0(VALU_DEP_2) | instskip(SKIP_2) | instid1(VALU_DEP_2)
	v_fma_f64 v[4:5], v[0:1], v[4:5], s[2:3]
	s_mov_b32 s2, 0xb0910fef
	s_mov_b32 s3, 0x42da0954
	v_fma_f64 v[2:3], v[0:1], v[2:3], s[4:5]
	s_mov_b32 s4, 0xfda99316
	s_mov_b32 s5, 0x428c3f5e
	s_delay_alu instid0(VALU_DEP_2) | instskip(SKIP_2) | instid1(VALU_DEP_2)
	;; [unrolled: 7-line block ×4, first 2 shown]
	v_fma_f64 v[4:5], v[0:1], v[4:5], s[2:3]
	s_mov_b32 s2, 0x5dde2b17
	s_mov_b32 s3, 0xc3a59e41
	v_fma_f64 v[2:3], v[0:1], v[2:3], s[4:5]
	s_mov_b32 s4, 0x90f6747f
	s_mov_b32 s5, 0x43cb90f1
	s_delay_alu instid0(VALU_DEP_2) | instskip(SKIP_3) | instid1(VALU_DEP_2)
	v_fma_f64 v[4:5], v[0:1], v[4:5], s[2:3]
	s_getpc_b64 s[2:3]
	s_add_u32 s2, s2, _Z17bessel_j1_forwardIdET_S0_@rel32@lo+4
	s_addc_u32 s3, s3, _Z17bessel_j1_forwardIdET_S0_@rel32@hi+12
	v_fma_f64 v[0:1], v[0:1], v[2:3], s[4:5]
	s_delay_alu instid0(VALU_DEP_1) | instskip(NEXT) | instid1(VALU_DEP_1)
	v_div_scale_f64 v[2:3], null, v[0:1], v[0:1], v[4:5]
	v_rcp_f64_e32 v[6:7], v[2:3]
	s_waitcnt_depctr 0xfff
	v_fma_f64 v[8:9], -v[2:3], v[6:7], 1.0
	s_delay_alu instid0(VALU_DEP_1) | instskip(NEXT) | instid1(VALU_DEP_1)
	v_fma_f64 v[6:7], v[6:7], v[8:9], v[6:7]
	v_fma_f64 v[8:9], -v[2:3], v[6:7], 1.0
	s_delay_alu instid0(VALU_DEP_1) | instskip(SKIP_1) | instid1(VALU_DEP_1)
	v_fma_f64 v[6:7], v[6:7], v[8:9], v[6:7]
	v_div_scale_f64 v[8:9], vcc_lo, v[4:5], v[0:1], v[4:5]
	v_mul_f64 v[10:11], v[8:9], v[6:7]
	s_delay_alu instid0(VALU_DEP_1) | instskip(NEXT) | instid1(VALU_DEP_1)
	v_fma_f64 v[2:3], -v[2:3], v[10:11], v[8:9]
	v_div_fmas_f64 v[2:3], v[2:3], v[6:7], v[10:11]
	s_delay_alu instid0(VALU_DEP_1)
	v_div_fixup_f64 v[44:45], v[2:3], v[0:1], v[4:5]
	v_dual_mov_b32 v0, v41 :: v_dual_mov_b32 v1, v42
	s_swappc_b64 s[30:31], s[2:3]
	v_frexp_mant_f64_e32 v[2:3], v[41:42]
	s_mov_b32 s3, 0x3fe55555
	s_mov_b32 s2, 0x55555555
	v_mov_b32_e32 v4, 0
	s_mov_b32 s4, 0x6b47b09a
	s_mov_b32 s6, 0xbf559e2b
	s_mov_b32 s5, 0x3fc38538
	s_mov_b32 s7, 0x3fc3ab76
	v_div_scale_f64 v[18:19], null, v[41:42], v[41:42], -1.0
	s_mov_b64 s[0:1], s[38:39]
	s_delay_alu instid0(VALU_DEP_3) | instskip(SKIP_1) | instid1(VALU_DEP_2)
	v_cmp_gt_f64_e32 vcc_lo, s[2:3], v[2:3]
	s_mov_b32 s2, 0x55555780
	v_rcp_f64_e32 v[22:23], v[18:19]
	v_cndmask_b32_e64 v5, 0x3ff00000, 2.0, vcc_lo
	s_delay_alu instid0(VALU_DEP_1) | instskip(NEXT) | instid1(VALU_DEP_1)
	v_mul_f64 v[2:3], v[2:3], v[4:5]
	v_add_f64 v[4:5], v[2:3], 1.0
	v_add_f64 v[10:11], v[2:3], -1.0
	s_delay_alu instid0(VALU_DEP_2) | instskip(SKIP_1) | instid1(VALU_DEP_1)
	v_rcp_f64_e32 v[6:7], v[4:5]
	v_add_f64 v[12:13], v[4:5], -1.0
	v_add_f64 v[2:3], v[2:3], -v[12:13]
	s_waitcnt_depctr 0xfff
	v_fma_f64 v[8:9], -v[4:5], v[6:7], 1.0
	s_delay_alu instid0(VALU_DEP_1) | instskip(NEXT) | instid1(VALU_DEP_1)
	v_fma_f64 v[6:7], v[8:9], v[6:7], v[6:7]
	v_fma_f64 v[8:9], -v[4:5], v[6:7], 1.0
	s_delay_alu instid0(VALU_DEP_1) | instskip(NEXT) | instid1(VALU_DEP_1)
	v_fma_f64 v[6:7], v[8:9], v[6:7], v[6:7]
	v_mul_f64 v[8:9], v[10:11], v[6:7]
	s_delay_alu instid0(VALU_DEP_1) | instskip(NEXT) | instid1(VALU_DEP_1)
	v_mul_f64 v[14:15], v[4:5], v[8:9]
	v_fma_f64 v[4:5], v[8:9], v[4:5], -v[14:15]
	s_delay_alu instid0(VALU_DEP_1) | instskip(NEXT) | instid1(VALU_DEP_1)
	v_fma_f64 v[2:3], v[8:9], v[2:3], v[4:5]
	v_add_f64 v[4:5], v[14:15], v[2:3]
	s_delay_alu instid0(VALU_DEP_1) | instskip(SKIP_1) | instid1(VALU_DEP_2)
	v_add_f64 v[12:13], v[10:11], -v[4:5]
	v_add_f64 v[14:15], v[4:5], -v[14:15]
	;; [unrolled: 1-line block ×3, first 2 shown]
	s_delay_alu instid0(VALU_DEP_2) | instskip(SKIP_1) | instid1(VALU_DEP_3)
	v_add_f64 v[2:3], v[14:15], -v[2:3]
	v_frexp_exp_i32_f64_e32 v14, v[41:42]
	v_add_f64 v[4:5], v[10:11], -v[4:5]
	s_delay_alu instid0(VALU_DEP_1) | instskip(NEXT) | instid1(VALU_DEP_1)
	v_add_f64 v[2:3], v[2:3], v[4:5]
	v_add_f64 v[2:3], v[12:13], v[2:3]
	s_delay_alu instid0(VALU_DEP_1) | instskip(NEXT) | instid1(VALU_DEP_1)
	v_mul_f64 v[2:3], v[6:7], v[2:3]
	v_add_f64 v[4:5], v[8:9], v[2:3]
	s_delay_alu instid0(VALU_DEP_1) | instskip(NEXT) | instid1(VALU_DEP_1)
	v_mul_f64 v[6:7], v[4:5], v[4:5]
	v_fma_f64 v[10:11], v[6:7], s[6:7], s[4:5]
	s_mov_b32 s4, 0xd7f4df2e
	s_mov_b32 s5, 0x3fc7474d
	v_mul_f64 v[12:13], v[4:5], v[6:7]
	s_delay_alu instid0(VALU_DEP_2)
	v_fma_f64 v[10:11], v[6:7], v[10:11], s[4:5]
	s_mov_b32 s4, 0x16291751
	s_mov_b32 s5, 0x3fcc71c0
	s_delay_alu instid0(VALU_DEP_1) | instid1(SALU_CYCLE_1)
	v_fma_f64 v[10:11], v[6:7], v[10:11], s[4:5]
	s_mov_b32 s4, 0x9b27acf1
	s_mov_b32 s5, 0x3fd24924
	s_delay_alu instid0(VALU_DEP_1) | instid1(SALU_CYCLE_1)
	;; [unrolled: 4-line block ×3, first 2 shown]
	v_fma_f64 v[10:11], v[6:7], v[10:11], s[4:5]
	s_delay_alu instid0(VALU_DEP_1) | instskip(SKIP_4) | instid1(VALU_DEP_3)
	v_fma_f64 v[6:7], v[6:7], v[10:11], s[2:3]
	v_ldexp_f64 v[10:11], v[4:5], 1
	v_add_f64 v[4:5], v[4:5], -v[8:9]
	s_mov_b32 s2, 0xfefa39ef
	s_mov_b32 s3, 0x3fe62e42
	v_mul_f64 v[6:7], v[12:13], v[6:7]
	v_subrev_co_ci_u32_e32 v12, vcc_lo, 0, v14, vcc_lo
	s_delay_alu instid0(VALU_DEP_3) | instskip(NEXT) | instid1(VALU_DEP_2)
	v_add_f64 v[2:3], v[2:3], -v[4:5]
	v_cvt_f64_i32_e32 v[12:13], v12
	s_delay_alu instid0(VALU_DEP_4) | instskip(NEXT) | instid1(VALU_DEP_3)
	v_add_f64 v[8:9], v[10:11], v[6:7]
	v_ldexp_f64 v[2:3], v[2:3], 1
	s_delay_alu instid0(VALU_DEP_3) | instskip(NEXT) | instid1(VALU_DEP_3)
	v_mul_f64 v[14:15], v[12:13], s[2:3]
	v_add_f64 v[4:5], v[8:9], -v[10:11]
	s_delay_alu instid0(VALU_DEP_2) | instskip(SKIP_2) | instid1(VALU_DEP_2)
	v_fma_f64 v[10:11], v[12:13], s[2:3], -v[14:15]
	s_mov_b32 s2, 0x3b39803f
	s_mov_b32 s3, 0x3c7abc9e
	v_add_f64 v[4:5], v[6:7], -v[4:5]
	s_delay_alu instid0(VALU_DEP_2) | instskip(SKIP_2) | instid1(VALU_DEP_2)
	v_fma_f64 v[6:7], v[12:13], s[2:3], v[10:11]
	s_mov_b32 s2, 0x6dc9c883
	s_mov_b32 s3, 0x3fe45f30
	v_add_f64 v[2:3], v[2:3], v[4:5]
	s_delay_alu instid0(VALU_DEP_2) | instskip(NEXT) | instid1(VALU_DEP_2)
	v_add_f64 v[4:5], v[14:15], v[6:7]
	v_add_f64 v[10:11], v[8:9], v[2:3]
	s_delay_alu instid0(VALU_DEP_2) | instskip(NEXT) | instid1(VALU_DEP_2)
	v_add_f64 v[14:15], v[4:5], -v[14:15]
	v_add_f64 v[12:13], v[4:5], v[10:11]
	v_add_f64 v[8:9], v[10:11], -v[8:9]
	s_delay_alu instid0(VALU_DEP_3) | instskip(NEXT) | instid1(VALU_DEP_3)
	v_add_f64 v[6:7], v[6:7], -v[14:15]
	v_add_f64 v[16:17], v[12:13], -v[4:5]
	s_delay_alu instid0(VALU_DEP_3) | instskip(NEXT) | instid1(VALU_DEP_2)
	v_add_f64 v[2:3], v[2:3], -v[8:9]
	v_add_f64 v[20:21], v[12:13], -v[16:17]
	v_add_f64 v[8:9], v[10:11], -v[16:17]
	v_fma_f64 v[10:11], -v[18:19], v[22:23], 1.0
	s_delay_alu instid0(VALU_DEP_4) | instskip(NEXT) | instid1(VALU_DEP_4)
	v_add_f64 v[14:15], v[6:7], v[2:3]
	v_add_f64 v[4:5], v[4:5], -v[20:21]
	s_delay_alu instid0(VALU_DEP_1) | instskip(NEXT) | instid1(VALU_DEP_4)
	v_add_f64 v[4:5], v[8:9], v[4:5]
	v_fma_f64 v[8:9], v[22:23], v[10:11], v[22:23]
	s_delay_alu instid0(VALU_DEP_4) | instskip(SKIP_1) | instid1(VALU_DEP_4)
	v_add_f64 v[10:11], v[14:15], -v[6:7]
	v_div_scale_f64 v[22:23], vcc_lo, -1.0, v[41:42], -1.0
	v_add_f64 v[4:5], v[14:15], v[4:5]
	s_delay_alu instid0(VALU_DEP_4) | instskip(NEXT) | instid1(VALU_DEP_4)
	v_fma_f64 v[16:17], -v[18:19], v[8:9], 1.0
	v_add_f64 v[14:15], v[14:15], -v[10:11]
	v_add_f64 v[2:3], v[2:3], -v[10:11]
	s_delay_alu instid0(VALU_DEP_4) | instskip(NEXT) | instid1(VALU_DEP_4)
	v_add_f64 v[20:21], v[12:13], v[4:5]
	v_fma_f64 v[8:9], v[8:9], v[16:17], v[8:9]
	s_delay_alu instid0(VALU_DEP_4) | instskip(NEXT) | instid1(VALU_DEP_3)
	v_add_f64 v[6:7], v[6:7], -v[14:15]
	v_add_f64 v[10:11], v[20:21], -v[12:13]
	s_delay_alu instid0(VALU_DEP_3) | instskip(NEXT) | instid1(VALU_DEP_3)
	v_mul_f64 v[12:13], v[22:23], v[8:9]
	v_add_f64 v[2:3], v[2:3], v[6:7]
	s_delay_alu instid0(VALU_DEP_3) | instskip(NEXT) | instid1(VALU_DEP_3)
	v_add_f64 v[4:5], v[4:5], -v[10:11]
	v_fma_f64 v[6:7], -v[18:19], v[12:13], v[22:23]
	s_delay_alu instid0(VALU_DEP_2) | instskip(NEXT) | instid1(VALU_DEP_2)
	v_add_f64 v[2:3], v[2:3], v[4:5]
	v_div_fmas_f64 v[4:5], v[6:7], v[8:9], v[12:13]
	s_delay_alu instid0(VALU_DEP_2) | instskip(NEXT) | instid1(VALU_DEP_2)
	v_add_f64 v[2:3], v[20:21], v[2:3]
	v_div_fixup_f64 v[4:5], v[4:5], v[41:42], -1.0
	s_delay_alu instid0(VALU_DEP_1) | instskip(NEXT) | instid1(VALU_DEP_1)
	v_fma_f64 v[0:1], v[2:3], v[0:1], v[4:5]
	v_mul_f64 v[0:1], v[0:1], s[2:3]
	s_delay_alu instid0(VALU_DEP_1)
	v_fma_f64 v[0:1], v[41:42], v[44:45], v[0:1]
.LBB8_232:
	s_or_b32 exec_lo, exec_lo, s42
.LBB8_233:
	s_delay_alu instid0(SALU_CYCLE_1)
	s_or_b32 exec_lo, exec_lo, s41
                                        ; implicit-def: $vgpr41_vgpr42
.LBB8_234:
	s_and_not1_saveexec_b32 s5, s40
	s_cbranch_execz .LBB8_244
; %bb.235:
	s_mov_b32 s2, 0x7f3321d2
	s_mov_b32 s3, 0xc002d97c
                                        ; implicit-def: $vgpr10
                                        ; implicit-def: $vgpr2_vgpr3
                                        ; implicit-def: $vgpr4_vgpr5
	s_delay_alu instid0(SALU_CYCLE_1) | instskip(NEXT) | instid1(VALU_DEP_1)
	v_add_f64 v[0:1], v[41:42], s[2:3]
	v_cmp_ngt_f64_e64 s3, 0x41d00000, |v[0:1]|
	s_delay_alu instid0(VALU_DEP_1) | instskip(NEXT) | instid1(SALU_CYCLE_1)
	s_and_saveexec_b32 s2, s3
	s_xor_b32 s4, exec_lo, s2
	s_cbranch_execz .LBB8_237
; %bb.236:
	v_ldexp_f64 v[2:3], |v[0:1]|, 0xffffff80
	v_cmp_le_f64_e64 vcc_lo, 0x7b000000, |v[0:1]|
	v_trig_preop_f64 v[4:5], |v[0:1]|, 0
	v_and_b32_e32 v6, 0x7fffffff, v1
	v_trig_preop_f64 v[16:17], |v[0:1]|, 2
	v_mov_b32_e32 v24, 0
	s_mov_b32 s6, 0x54442d18
	s_mov_b32 s7, 0x3ff921fb
	;; [unrolled: 1-line block ×4, first 2 shown]
	v_dual_cndmask_b32 v3, v6, v3 :: v_dual_cndmask_b32 v2, v0, v2
	v_trig_preop_f64 v[6:7], |v[0:1]|, 1
	s_delay_alu instid0(VALU_DEP_2) | instskip(SKIP_1) | instid1(VALU_DEP_3)
	v_mul_f64 v[8:9], v[4:5], v[2:3]
	v_mul_f64 v[22:23], v[16:17], v[2:3]
	;; [unrolled: 1-line block ×3, first 2 shown]
	s_delay_alu instid0(VALU_DEP_3) | instskip(NEXT) | instid1(VALU_DEP_2)
	v_fma_f64 v[4:5], v[4:5], v[2:3], -v[8:9]
	v_fma_f64 v[6:7], v[6:7], v[2:3], -v[10:11]
	s_delay_alu instid0(VALU_DEP_4) | instskip(NEXT) | instid1(VALU_DEP_3)
	v_fma_f64 v[2:3], v[16:17], v[2:3], -v[22:23]
	v_add_f64 v[12:13], v[10:11], v[4:5]
	s_delay_alu instid0(VALU_DEP_1) | instskip(SKIP_1) | instid1(VALU_DEP_2)
	v_add_f64 v[14:15], v[12:13], -v[10:11]
	v_add_f64 v[20:21], v[8:9], v[12:13]
	v_add_f64 v[18:19], v[12:13], -v[14:15]
	v_add_f64 v[4:5], v[4:5], -v[14:15]
	s_delay_alu instid0(VALU_DEP_3) | instskip(SKIP_1) | instid1(VALU_DEP_4)
	v_ldexp_f64 v[14:15], v[20:21], -2
	v_add_f64 v[8:9], v[20:21], -v[8:9]
	v_add_f64 v[10:11], v[10:11], -v[18:19]
	v_add_f64 v[18:19], v[22:23], v[6:7]
	s_delay_alu instid0(VALU_DEP_4) | instskip(NEXT) | instid1(VALU_DEP_4)
	v_cmp_neq_f64_e64 vcc_lo, 0x7ff00000, |v[14:15]|
	v_add_f64 v[8:9], v[12:13], -v[8:9]
	s_delay_alu instid0(VALU_DEP_4) | instskip(SKIP_1) | instid1(VALU_DEP_2)
	v_add_f64 v[4:5], v[4:5], v[10:11]
	v_fract_f64_e32 v[10:11], v[14:15]
	v_add_f64 v[12:13], v[18:19], v[4:5]
	s_delay_alu instid0(VALU_DEP_2) | instskip(NEXT) | instid1(VALU_DEP_1)
	v_dual_cndmask_b32 v11, 0, v11 :: v_dual_cndmask_b32 v10, 0, v10
	v_ldexp_f64 v[10:11], v[10:11], 2
	s_delay_alu instid0(VALU_DEP_3) | instskip(NEXT) | instid1(VALU_DEP_1)
	v_add_f64 v[14:15], v[8:9], v[12:13]
	v_add_f64 v[20:21], v[14:15], v[10:11]
	v_add_f64 v[8:9], v[14:15], -v[8:9]
	s_delay_alu instid0(VALU_DEP_2) | instskip(SKIP_1) | instid1(VALU_DEP_3)
	v_cmp_gt_f64_e32 vcc_lo, 0, v[20:21]
	v_add_f64 v[20:21], v[18:19], -v[22:23]
	v_add_f64 v[8:9], v[12:13], -v[8:9]
	v_cndmask_b32_e64 v25, 0, 0x40100000, vcc_lo
	s_delay_alu instid0(VALU_DEP_3) | instskip(SKIP_1) | instid1(VALU_DEP_3)
	v_add_f64 v[29:30], v[18:19], -v[20:21]
	v_add_f64 v[6:7], v[6:7], -v[20:21]
	v_add_f64 v[10:11], v[10:11], v[24:25]
	v_add_f64 v[25:26], v[12:13], -v[18:19]
	s_delay_alu instid0(VALU_DEP_4) | instskip(NEXT) | instid1(VALU_DEP_3)
	v_add_f64 v[20:21], v[22:23], -v[29:30]
	v_add_f64 v[27:28], v[14:15], v[10:11]
	s_delay_alu instid0(VALU_DEP_3) | instskip(SKIP_1) | instid1(VALU_DEP_4)
	v_add_f64 v[31:32], v[12:13], -v[25:26]
	v_add_f64 v[4:5], v[4:5], -v[25:26]
	v_add_f64 v[6:7], v[6:7], v[20:21]
	s_delay_alu instid0(VALU_DEP_4) | instskip(NEXT) | instid1(VALU_DEP_4)
	v_cvt_i32_f64_e32 v27, v[27:28]
	v_add_f64 v[18:19], v[18:19], -v[31:32]
	s_delay_alu instid0(VALU_DEP_2) | instskip(NEXT) | instid1(VALU_DEP_2)
	v_cvt_f64_i32_e32 v[25:26], v27
	v_add_f64 v[4:5], v[4:5], v[18:19]
	s_delay_alu instid0(VALU_DEP_2) | instskip(NEXT) | instid1(VALU_DEP_2)
	v_add_f64 v[10:11], v[10:11], -v[25:26]
	v_add_f64 v[4:5], v[6:7], v[4:5]
	s_delay_alu instid0(VALU_DEP_2) | instskip(NEXT) | instid1(VALU_DEP_2)
	v_add_f64 v[6:7], v[14:15], v[10:11]
	v_add_f64 v[2:3], v[2:3], v[4:5]
	s_delay_alu instid0(VALU_DEP_2) | instskip(SKIP_1) | instid1(VALU_DEP_3)
	v_add_f64 v[4:5], v[6:7], -v[10:11]
	v_cmp_le_f64_e32 vcc_lo, 0.5, v[6:7]
	v_add_f64 v[2:3], v[8:9], v[2:3]
	s_delay_alu instid0(VALU_DEP_3) | instskip(SKIP_2) | instid1(VALU_DEP_3)
	v_add_f64 v[4:5], v[14:15], -v[4:5]
	v_cndmask_b32_e64 v25, 0, 0x3ff00000, vcc_lo
	v_add_co_ci_u32_e64 v10, s2, 0, v27, vcc_lo
	v_add_f64 v[2:3], v[2:3], v[4:5]
	s_delay_alu instid0(VALU_DEP_3) | instskip(NEXT) | instid1(VALU_DEP_1)
	v_add_f64 v[4:5], v[6:7], -v[24:25]
	v_add_f64 v[6:7], v[4:5], v[2:3]
	s_delay_alu instid0(VALU_DEP_1) | instskip(SKIP_1) | instid1(VALU_DEP_2)
	v_mul_f64 v[8:9], v[6:7], s[6:7]
	v_add_f64 v[4:5], v[6:7], -v[4:5]
	v_fma_f64 v[11:12], v[6:7], s[6:7], -v[8:9]
	s_delay_alu instid0(VALU_DEP_2) | instskip(NEXT) | instid1(VALU_DEP_2)
	v_add_f64 v[2:3], v[2:3], -v[4:5]
	v_fma_f64 v[4:5], v[6:7], s[8:9], v[11:12]
	s_delay_alu instid0(VALU_DEP_1) | instskip(NEXT) | instid1(VALU_DEP_1)
	v_fma_f64 v[4:5], v[2:3], s[6:7], v[4:5]
	v_add_f64 v[2:3], v[8:9], v[4:5]
	s_delay_alu instid0(VALU_DEP_1) | instskip(NEXT) | instid1(VALU_DEP_1)
	v_add_f64 v[6:7], v[2:3], -v[8:9]
	v_add_f64 v[4:5], v[4:5], -v[6:7]
	s_and_not1_saveexec_b32 s2, s4
	s_cbranch_execz .LBB8_239
	s_branch .LBB8_238
.LBB8_237:
	s_and_not1_saveexec_b32 s2, s4
	s_cbranch_execz .LBB8_239
.LBB8_238:
	s_mov_b32 s6, 0x6dc9c883
	s_mov_b32 s7, 0x3fe45f30
	;; [unrolled: 1-line block ×3, first 2 shown]
	v_mul_f64 v[2:3], |v[0:1]|, s[6:7]
	s_mov_b32 s6, 0x54442d18
	s_mov_b32 s7, 0xbff921fb
	;; [unrolled: 1-line block ×3, first 2 shown]
	s_delay_alu instid0(VALU_DEP_1) | instskip(NEXT) | instid1(VALU_DEP_1)
	v_rndne_f64_e32 v[6:7], v[2:3]
	v_fma_f64 v[2:3], v[6:7], s[6:7], |v[0:1]|
	v_mul_f64 v[4:5], v[6:7], s[8:9]
	s_mov_b32 s6, 0x252049c0
	s_mov_b32 s7, 0xb97b839a
	s_delay_alu instid0(VALU_DEP_2) | instskip(NEXT) | instid1(VALU_DEP_2)
	v_fma_f64 v[10:11], v[6:7], s[8:9], v[2:3]
	v_add_f64 v[8:9], v[2:3], v[4:5]
	s_mov_b32 s9, 0x3c91a626
	s_delay_alu instid0(VALU_DEP_1) | instskip(NEXT) | instid1(VALU_DEP_3)
	v_add_f64 v[2:3], v[2:3], -v[8:9]
	v_add_f64 v[8:9], v[8:9], -v[10:11]
	s_delay_alu instid0(VALU_DEP_2) | instskip(SKIP_1) | instid1(VALU_DEP_2)
	v_add_f64 v[2:3], v[2:3], v[4:5]
	v_fma_f64 v[4:5], v[6:7], s[8:9], v[4:5]
	v_add_f64 v[2:3], v[8:9], v[2:3]
	s_delay_alu instid0(VALU_DEP_1) | instskip(NEXT) | instid1(VALU_DEP_1)
	v_add_f64 v[2:3], v[2:3], -v[4:5]
	v_fma_f64 v[4:5], v[6:7], s[6:7], v[2:3]
	s_delay_alu instid0(VALU_DEP_1) | instskip(NEXT) | instid1(VALU_DEP_1)
	v_add_f64 v[2:3], v[10:11], v[4:5]
	v_add_f64 v[8:9], v[2:3], -v[10:11]
	v_cvt_i32_f64_e32 v10, v[6:7]
	s_delay_alu instid0(VALU_DEP_2)
	v_add_f64 v[4:5], v[4:5], -v[8:9]
.LBB8_239:
	s_or_b32 exec_lo, exec_lo, s2
                                        ; implicit-def: $vgpr11
                                        ; implicit-def: $vgpr6_vgpr7
                                        ; implicit-def: $vgpr8_vgpr9
	s_and_saveexec_b32 s2, s3
	s_delay_alu instid0(SALU_CYCLE_1)
	s_xor_b32 s3, exec_lo, s2
	s_cbranch_execz .LBB8_241
; %bb.240:
	v_ldexp_f64 v[6:7], |v[0:1]|, 0xffffff80
	v_cmp_le_f64_e64 vcc_lo, 0x7b000000, |v[0:1]|
	v_trig_preop_f64 v[8:9], |v[0:1]|, 0
	v_and_b32_e32 v11, 0x7fffffff, v1
	v_trig_preop_f64 v[21:22], |v[0:1]|, 2
	v_mov_b32_e32 v29, 0
	s_mov_b32 s6, 0x54442d18
	s_mov_b32 s7, 0x3ff921fb
	;; [unrolled: 1-line block ×4, first 2 shown]
	v_dual_cndmask_b32 v6, v0, v6 :: v_dual_cndmask_b32 v7, v11, v7
	v_trig_preop_f64 v[11:12], |v[0:1]|, 1
	s_delay_alu instid0(VALU_DEP_2) | instskip(NEXT) | instid1(VALU_DEP_2)
	v_mul_f64 v[13:14], v[8:9], v[6:7]
	v_mul_f64 v[15:16], v[11:12], v[6:7]
	s_delay_alu instid0(VALU_DEP_2) | instskip(NEXT) | instid1(VALU_DEP_2)
	v_fma_f64 v[8:9], v[8:9], v[6:7], -v[13:14]
	v_fma_f64 v[11:12], v[11:12], v[6:7], -v[15:16]
	s_delay_alu instid0(VALU_DEP_2) | instskip(NEXT) | instid1(VALU_DEP_1)
	v_add_f64 v[17:18], v[15:16], v[8:9]
	v_add_f64 v[19:20], v[17:18], -v[15:16]
	v_add_f64 v[25:26], v[13:14], v[17:18]
	s_delay_alu instid0(VALU_DEP_2) | instskip(SKIP_1) | instid1(VALU_DEP_3)
	v_add_f64 v[23:24], v[17:18], -v[19:20]
	v_add_f64 v[8:9], v[8:9], -v[19:20]
	v_ldexp_f64 v[19:20], v[25:26], -2
	v_add_f64 v[13:14], v[25:26], -v[13:14]
	s_delay_alu instid0(VALU_DEP_4) | instskip(NEXT) | instid1(VALU_DEP_3)
	v_add_f64 v[15:16], v[15:16], -v[23:24]
	v_cmp_neq_f64_e64 vcc_lo, 0x7ff00000, |v[19:20]|
	s_delay_alu instid0(VALU_DEP_3) | instskip(NEXT) | instid1(VALU_DEP_3)
	v_add_f64 v[13:14], v[17:18], -v[13:14]
	v_add_f64 v[8:9], v[8:9], v[15:16]
	v_fract_f64_e32 v[15:16], v[19:20]
	s_delay_alu instid0(VALU_DEP_1) | instskip(SKIP_1) | instid1(VALU_DEP_3)
	v_cndmask_b32_e32 v16, 0, v16, vcc_lo
	v_mul_f64 v[27:28], v[21:22], v[6:7]
	v_cndmask_b32_e32 v15, 0, v15, vcc_lo
	s_delay_alu instid0(VALU_DEP_1) | instskip(NEXT) | instid1(VALU_DEP_3)
	v_ldexp_f64 v[15:16], v[15:16], 2
	v_add_f64 v[23:24], v[27:28], v[11:12]
	v_fma_f64 v[6:7], v[21:22], v[6:7], -v[27:28]
	s_delay_alu instid0(VALU_DEP_2) | instskip(NEXT) | instid1(VALU_DEP_1)
	v_add_f64 v[17:18], v[23:24], v[8:9]
	v_add_f64 v[19:20], v[13:14], v[17:18]
	s_delay_alu instid0(VALU_DEP_1) | instskip(SKIP_1) | instid1(VALU_DEP_2)
	v_add_f64 v[25:26], v[19:20], v[15:16]
	v_add_f64 v[13:14], v[19:20], -v[13:14]
	v_cmp_gt_f64_e32 vcc_lo, 0, v[25:26]
	v_add_f64 v[25:26], v[23:24], -v[27:28]
	v_cndmask_b32_e64 v30, 0, 0x40100000, vcc_lo
	s_delay_alu instid0(VALU_DEP_2) | instskip(SKIP_1) | instid1(VALU_DEP_3)
	v_add_f64 v[34:35], v[23:24], -v[25:26]
	v_add_f64 v[11:12], v[11:12], -v[25:26]
	v_add_f64 v[15:16], v[15:16], v[29:30]
	v_add_f64 v[30:31], v[17:18], -v[23:24]
	s_delay_alu instid0(VALU_DEP_4) | instskip(NEXT) | instid1(VALU_DEP_3)
	v_add_f64 v[25:26], v[27:28], -v[34:35]
	v_add_f64 v[32:33], v[19:20], v[15:16]
	s_delay_alu instid0(VALU_DEP_3) | instskip(SKIP_1) | instid1(VALU_DEP_4)
	v_add_f64 v[36:37], v[17:18], -v[30:31]
	v_add_f64 v[8:9], v[8:9], -v[30:31]
	v_add_f64 v[11:12], v[11:12], v[25:26]
	s_delay_alu instid0(VALU_DEP_4) | instskip(NEXT) | instid1(VALU_DEP_4)
	v_cvt_i32_f64_e32 v32, v[32:33]
	v_add_f64 v[23:24], v[23:24], -v[36:37]
	s_delay_alu instid0(VALU_DEP_2) | instskip(NEXT) | instid1(VALU_DEP_2)
	v_cvt_f64_i32_e32 v[30:31], v32
	v_add_f64 v[8:9], v[8:9], v[23:24]
	s_delay_alu instid0(VALU_DEP_2) | instskip(NEXT) | instid1(VALU_DEP_2)
	v_add_f64 v[15:16], v[15:16], -v[30:31]
	v_add_f64 v[8:9], v[11:12], v[8:9]
	v_add_f64 v[11:12], v[17:18], -v[13:14]
	s_delay_alu instid0(VALU_DEP_3) | instskip(NEXT) | instid1(VALU_DEP_3)
	v_add_f64 v[21:22], v[19:20], v[15:16]
	v_add_f64 v[6:7], v[6:7], v[8:9]
	s_delay_alu instid0(VALU_DEP_2) | instskip(SKIP_1) | instid1(VALU_DEP_3)
	v_add_f64 v[8:9], v[21:22], -v[15:16]
	v_cmp_le_f64_e32 vcc_lo, 0.5, v[21:22]
	v_add_f64 v[6:7], v[11:12], v[6:7]
	s_delay_alu instid0(VALU_DEP_3) | instskip(SKIP_2) | instid1(VALU_DEP_3)
	v_add_f64 v[8:9], v[19:20], -v[8:9]
	v_cndmask_b32_e64 v30, 0, 0x3ff00000, vcc_lo
	v_add_co_ci_u32_e64 v11, s2, 0, v32, vcc_lo
	v_add_f64 v[6:7], v[6:7], v[8:9]
	s_delay_alu instid0(VALU_DEP_3) | instskip(NEXT) | instid1(VALU_DEP_1)
	v_add_f64 v[8:9], v[21:22], -v[29:30]
	v_add_f64 v[12:13], v[8:9], v[6:7]
	s_delay_alu instid0(VALU_DEP_1) | instskip(SKIP_1) | instid1(VALU_DEP_2)
	v_mul_f64 v[14:15], v[12:13], s[6:7]
	v_add_f64 v[8:9], v[12:13], -v[8:9]
	v_fma_f64 v[16:17], v[12:13], s[6:7], -v[14:15]
	s_delay_alu instid0(VALU_DEP_2) | instskip(NEXT) | instid1(VALU_DEP_2)
	v_add_f64 v[6:7], v[6:7], -v[8:9]
	v_fma_f64 v[8:9], v[12:13], s[8:9], v[16:17]
	s_delay_alu instid0(VALU_DEP_1) | instskip(NEXT) | instid1(VALU_DEP_1)
	v_fma_f64 v[8:9], v[6:7], s[6:7], v[8:9]
	v_add_f64 v[6:7], v[14:15], v[8:9]
	s_delay_alu instid0(VALU_DEP_1) | instskip(NEXT) | instid1(VALU_DEP_1)
	v_add_f64 v[12:13], v[6:7], -v[14:15]
	v_add_f64 v[8:9], v[8:9], -v[12:13]
	s_and_not1_saveexec_b32 s2, s3
	s_cbranch_execnz .LBB8_242
	s_branch .LBB8_243
.LBB8_241:
	s_and_not1_saveexec_b32 s2, s3
	s_cbranch_execz .LBB8_243
.LBB8_242:
	s_mov_b32 s6, 0x6dc9c883
	s_mov_b32 s7, 0x3fe45f30
	;; [unrolled: 1-line block ×3, first 2 shown]
	v_mul_f64 v[6:7], |v[0:1]|, s[6:7]
	s_mov_b32 s6, 0x54442d18
	s_mov_b32 s7, 0xbff921fb
	;; [unrolled: 1-line block ×3, first 2 shown]
	s_delay_alu instid0(VALU_DEP_1) | instskip(NEXT) | instid1(VALU_DEP_1)
	v_rndne_f64_e32 v[11:12], v[6:7]
	v_fma_f64 v[6:7], v[11:12], s[6:7], |v[0:1]|
	v_mul_f64 v[8:9], v[11:12], s[8:9]
	s_mov_b32 s6, 0x252049c0
	s_mov_b32 s7, 0xb97b839a
	s_delay_alu instid0(VALU_DEP_2) | instskip(NEXT) | instid1(VALU_DEP_2)
	v_fma_f64 v[15:16], v[11:12], s[8:9], v[6:7]
	v_add_f64 v[13:14], v[6:7], v[8:9]
	s_mov_b32 s9, 0x3c91a626
	s_delay_alu instid0(VALU_DEP_1) | instskip(NEXT) | instid1(VALU_DEP_3)
	v_add_f64 v[6:7], v[6:7], -v[13:14]
	v_add_f64 v[13:14], v[13:14], -v[15:16]
	s_delay_alu instid0(VALU_DEP_2) | instskip(SKIP_1) | instid1(VALU_DEP_2)
	v_add_f64 v[6:7], v[6:7], v[8:9]
	v_fma_f64 v[8:9], v[11:12], s[8:9], v[8:9]
	v_add_f64 v[6:7], v[13:14], v[6:7]
	s_delay_alu instid0(VALU_DEP_1) | instskip(NEXT) | instid1(VALU_DEP_1)
	v_add_f64 v[6:7], v[6:7], -v[8:9]
	v_fma_f64 v[8:9], v[11:12], s[6:7], v[6:7]
	v_cvt_i32_f64_e32 v11, v[11:12]
	s_delay_alu instid0(VALU_DEP_2) | instskip(NEXT) | instid1(VALU_DEP_1)
	v_add_f64 v[6:7], v[15:16], v[8:9]
	v_add_f64 v[13:14], v[6:7], -v[15:16]
	s_delay_alu instid0(VALU_DEP_1)
	v_add_f64 v[8:9], v[8:9], -v[13:14]
.LBB8_243:
	s_or_b32 exec_lo, exec_lo, s2
	v_div_scale_f64 v[12:13], null, v[41:42], v[41:42], 0x40140000
	v_div_scale_f64 v[18:19], vcc_lo, 0x40140000, v[41:42], 0x40140000
	s_mov_b32 s2, 0x6b70ba40
	s_mov_b32 s3, 0x3faa27fa
	;; [unrolled: 1-line block ×6, first 2 shown]
	v_mul_f64 v[26:27], v[2:3], v[2:3]
	v_mul_f64 v[32:33], v[6:7], v[6:7]
	s_mov_b32 s10, 0x796cde01
	s_mov_b32 s11, 0x3ec71de3
	v_mul_f64 v[60:61], v[4:5], 0.5
	v_rcp_f64_e32 v[14:15], v[12:13]
	s_delay_alu instid0(VALU_DEP_3) | instskip(SKIP_1) | instid1(VALU_DEP_4)
	v_mul_f64 v[48:49], v[26:27], 0.5
	v_mul_f64 v[62:63], v[2:3], -v[26:27]
	v_mul_f64 v[68:69], v[6:7], -v[32:33]
	s_waitcnt_depctr 0xfff
	v_fma_f64 v[16:17], -v[12:13], v[14:15], 1.0
	v_add_f64 v[50:51], -v[48:49], 1.0
	s_delay_alu instid0(VALU_DEP_2) | instskip(NEXT) | instid1(VALU_DEP_2)
	v_fma_f64 v[14:15], v[14:15], v[16:17], v[14:15]
	v_add_f64 v[64:65], -v[50:51], 1.0
	s_delay_alu instid0(VALU_DEP_2) | instskip(NEXT) | instid1(VALU_DEP_2)
	v_fma_f64 v[16:17], -v[12:13], v[14:15], 1.0
	v_add_f64 v[48:49], v[64:65], -v[48:49]
	s_delay_alu instid0(VALU_DEP_2) | instskip(NEXT) | instid1(VALU_DEP_2)
	v_fma_f64 v[14:15], v[14:15], v[16:17], v[14:15]
	v_fma_f64 v[48:49], v[2:3], -v[4:5], v[48:49]
	s_delay_alu instid0(VALU_DEP_2) | instskip(NEXT) | instid1(VALU_DEP_1)
	v_mul_f64 v[16:17], v[18:19], v[14:15]
	v_fma_f64 v[12:13], -v[12:13], v[16:17], v[18:19]
	s_delay_alu instid0(VALU_DEP_1) | instskip(NEXT) | instid1(VALU_DEP_1)
	v_div_fmas_f64 v[12:13], v[12:13], v[14:15], v[16:17]
	v_div_fixup_f64 v[12:13], v[12:13], v[41:42], 0x40140000
	s_delay_alu instid0(VALU_DEP_1) | instskip(NEXT) | instid1(VALU_DEP_1)
	v_mul_f64 v[14:15], v[12:13], v[12:13]
	v_fma_f64 v[16:17], v[14:15], 0, s[2:3]
	s_mov_b32 s2, 0x4c6c651b
	s_mov_b32 s3, 0x3f48f92c
	v_fma_f64 v[18:19], v[14:15], 0, s[6:7]
	v_fma_f64 v[20:21], v[14:15], 0, s[2:3]
	s_mov_b32 s2, 0xc66d8fd6
	s_mov_b32 s3, 0x4013edb5
	v_fma_f64 v[22:23], v[14:15], 0, s[8:9]
	s_mov_b32 s6, 0x5948aa83
	s_mov_b32 s7, 0x3fb19fdd
	s_mov_b32 s8, 0xa20e5f6f
	s_mov_b32 s9, 0x409081cb
	s_delay_alu instid0(VALU_DEP_4) | instskip(SKIP_2) | instid1(VALU_DEP_4)
	v_fma_f64 v[16:17], v[14:15], v[16:17], s[2:3]
	s_mov_b32 s2, 0xa3fec4b6
	s_mov_b32 s3, 0x3fb2b948
	v_fma_f64 v[18:19], v[14:15], v[18:19], s[6:7]
	s_delay_alu instid0(VALU_DEP_4) | instskip(SKIP_2) | instid1(VALU_DEP_4)
	v_fma_f64 v[20:21], v[14:15], v[20:21], s[2:3]
	s_mov_b32 s2, 0x9acf1c67
	s_mov_b32 s3, 0x4052f4b9
	v_fma_f64 v[22:23], v[14:15], v[22:23], s[8:9]
	s_mov_b32 s6, 0xb850eed6
	s_mov_b32 s7, 0x3ff1aea9
	s_mov_b32 s8, 0x1bfdfe81
	s_mov_b32 s9, 0x40b37a69
	s_delay_alu instid0(VALU_DEP_4) | instskip(SKIP_2) | instid1(VALU_DEP_4)
	v_fma_f64 v[16:17], v[14:15], v[16:17], s[2:3]
	s_mov_b32 s2, 0xc21596d6
	s_mov_b32 s3, 0x3ff208fe
	v_fma_f64 v[18:19], v[14:15], v[18:19], s[6:7]
	s_delay_alu instid0(VALU_DEP_4) | instskip(SKIP_2) | instid1(VALU_DEP_4)
	;; [unrolled: 14-line block ×5, first 2 shown]
	v_fma_f64 v[20:21], v[14:15], v[20:21], s[2:3]
	s_mov_b32 s2, 0x4c54bb0b
	s_mov_b32 s3, 0x406a760a
	v_fma_f64 v[22:23], v[14:15], v[22:23], s[8:9]
	s_mov_b32 s6, 0x4d159eb5
	s_mov_b32 s7, 0x403934ff
	;; [unrolled: 1-line block ×4, first 2 shown]
	s_delay_alu instid0(VALU_DEP_4) | instskip(SKIP_2) | instid1(VALU_DEP_4)
	v_fma_f64 v[16:17], v[14:15], v[16:17], s[2:3]
	s_mov_b32 s2, 0x6ae75997
	s_mov_b32 s3, 0x4075017f
	v_fma_f64 v[18:19], v[14:15], v[18:19], 1.0
	s_delay_alu instid0(VALU_DEP_4) | instskip(NEXT) | instid1(VALU_DEP_4)
	v_fma_f64 v[20:21], v[14:15], v[20:21], 1.0
	v_fma_f64 v[22:23], v[14:15], v[22:23], s[2:3]
	s_mov_b32 s2, 0xb42fdfa7
	s_mov_b32 s3, 0xbe5ae600
	s_delay_alu instid0(VALU_DEP_4) | instskip(SKIP_2) | instid1(VALU_DEP_3)
	v_fma_f64 v[14:15], v[14:15], v[16:17], s[6:7]
	s_mov_b32 s6, 0xf9a43bb8
	s_mov_b32 s7, 0x3de5e0b2
	v_div_scale_f64 v[16:17], null, v[18:19], v[18:19], v[20:21]
	v_fma_f64 v[34:35], v[26:27], s[6:7], s[2:3]
	v_fma_f64 v[44:45], v[32:33], s[6:7], s[2:3]
	v_cmp_gt_f64_e64 s2, 0x10000000, v[41:42]
	s_mov_b32 s6, 0x9037ab78
	s_mov_b32 s7, 0x3e21eeb6
	v_div_scale_f64 v[66:67], vcc_lo, v[20:21], v[18:19], v[20:21]
	v_fma_f64 v[46:47], v[26:27], s[8:9], s[6:7]
	v_div_scale_f64 v[24:25], null, v[22:23], v[22:23], v[14:15]
	v_rcp_f64_e32 v[28:29], v[16:17]
	v_fma_f64 v[34:35], v[26:27], v[34:35], s[10:11]
	s_delay_alu instid0(VALU_DEP_2) | instskip(SKIP_3) | instid1(VALU_DEP_2)
	v_rcp_f64_e32 v[30:31], v[24:25]
	s_waitcnt_depctr 0xfff
	v_fma_f64 v[36:37], -v[16:17], v[28:29], 1.0
	v_fma_f64 v[38:39], -v[24:25], v[30:31], 1.0
	v_fma_f64 v[28:29], v[28:29], v[36:37], v[28:29]
	v_fma_f64 v[36:37], v[32:33], v[44:45], s[10:11]
	;; [unrolled: 1-line block ×3, first 2 shown]
	s_mov_b32 s8, 0x19e83e5c
	s_mov_b32 s9, 0xbf2a01a0
	;; [unrolled: 1-line block ×3, first 2 shown]
	v_fma_f64 v[34:35], v[26:27], v[34:35], s[8:9]
	s_mov_b32 s7, 0xbe927e4f
	s_delay_alu instid0(SALU_CYCLE_1) | instskip(SKIP_4) | instid1(VALU_DEP_3)
	v_fma_f64 v[46:47], v[26:27], v[46:47], s[6:7]
	v_fma_f64 v[30:31], v[30:31], v[38:39], v[30:31]
	v_cndmask_b32_e64 v38, 0, 1, s2
	v_fma_f64 v[52:53], -v[16:17], v[28:29], 1.0
	v_fma_f64 v[36:37], v[32:33], v[36:37], s[8:9]
	v_lshlrev_b32_e32 v40, 8, v38
	v_mul_f64 v[38:39], v[32:33], 0.5
	v_fma_f64 v[44:45], v[32:33], v[44:45], s[6:7]
	s_mov_b32 s8, 0x11110bb3
	s_mov_b32 s9, 0x3f811111
	v_ldexp_f64 v[40:41], v[41:42], v40
	v_fma_f64 v[34:35], v[26:27], v[34:35], s[8:9]
	s_mov_b32 s6, 0x19f4ec90
	s_mov_b32 s7, 0x3efa01a0
	s_delay_alu instid0(SALU_CYCLE_1)
	v_fma_f64 v[46:47], v[26:27], v[46:47], s[6:7]
	v_fma_f64 v[54:55], -v[24:25], v[30:31], 1.0
	v_fma_f64 v[28:29], v[28:29], v[52:53], v[28:29]
	v_div_scale_f64 v[52:53], s3, v[14:15], v[22:23], v[14:15]
	v_add_f64 v[56:57], -v[38:39], 1.0
	v_fma_f64 v[36:37], v[32:33], v[36:37], s[8:9]
	v_fma_f64 v[44:45], v[32:33], v[44:45], s[6:7]
	s_mov_b32 s6, 0x16c16967
	v_rsq_f64_e32 v[58:59], v[40:41]
	v_fma_f64 v[34:35], v[62:63], v[34:35], v[60:61]
	s_mov_b32 s7, 0xbf56c16c
	s_delay_alu instid0(SALU_CYCLE_1)
	v_fma_f64 v[46:47], v[26:27], v[46:47], s[6:7]
	v_fma_f64 v[30:31], v[30:31], v[54:55], v[30:31]
	v_mul_f64 v[54:55], v[8:9], 0.5
	v_mul_f64 v[60:61], v[66:67], v[28:29]
	v_add_f64 v[70:71], -v[56:57], 1.0
	v_fma_f64 v[44:45], v[32:33], v[44:45], s[6:7]
	s_mov_b32 s6, 0x55555555
	s_mov_b32 s7, 0x3fa55555
	v_fma_f64 v[4:5], v[26:27], v[34:35], -v[4:5]
	s_delay_alu instid0(TRANS32_DEP_1)
	v_mul_f64 v[72:73], v[40:41], v[58:59]
	v_mul_f64 v[58:59], v[58:59], 0.5
	v_mul_f64 v[34:35], v[32:33], v[32:33]
	v_fma_f64 v[46:47], v[26:27], v[46:47], s[6:7]
	v_mul_f64 v[64:65], v[52:53], v[30:31]
	v_fma_f64 v[36:37], v[68:69], v[36:37], v[54:55]
	v_mul_f64 v[54:55], v[26:27], v[26:27]
	v_fma_f64 v[16:17], -v[16:17], v[60:61], v[66:67]
	v_add_f64 v[38:39], v[70:71], -v[38:39]
	v_fma_f64 v[70:71], -v[58:59], v[72:73], 0.5
	v_fma_f64 v[24:25], -v[24:25], v[64:65], v[52:53]
	v_fma_f64 v[26:27], v[32:33], v[36:37], -v[8:9]
	v_fma_f64 v[32:33], v[32:33], v[44:45], s[6:7]
	s_mov_b32 s7, 0xbfc55555
	v_div_fmas_f64 v[16:17], v[16:17], v[28:29], v[60:61]
	s_mov_b32 vcc_lo, s3
	v_fma_f64 v[4:5], v[62:63], s[6:7], v[4:5]
	v_fma_f64 v[8:9], v[6:7], -v[8:9], v[38:39]
	v_fma_f64 v[38:39], v[54:55], v[46:47], v[48:49]
	v_cmp_class_f64_e64 s3, v[0:1], 0x1f8
	v_and_b32_e32 v0, 1, v11
	v_lshlrev_b32_e32 v11, 30, v11
	v_fma_f64 v[36:37], v[72:73], v[70:71], v[72:73]
	v_fma_f64 v[28:29], v[58:59], v[70:71], v[58:59]
	s_delay_alu instid0(VALU_DEP_4) | instskip(NEXT) | instid1(VALU_DEP_4)
	v_cmp_eq_u32_e64 s4, 0, v0
	v_and_b32_e32 v0, 0x80000000, v11
	v_div_fmas_f64 v[24:25], v[24:25], v[30:31], v[64:65]
	v_fma_f64 v[26:27], v[68:69], s[6:7], v[26:27]
	v_add_f64 v[2:3], v[2:3], -v[4:5]
	v_fma_f64 v[8:9], v[34:35], v[32:33], v[8:9]
	v_add_f64 v[32:33], v[50:51], v[38:39]
	v_fma_f64 v[30:31], -v[36:37], v[36:37], v[40:41]
	v_div_fixup_f64 v[4:5], v[24:25], v[22:23], v[14:15]
	v_add_f64 v[6:7], v[6:7], -v[26:27]
	v_and_b32_e32 v22, 1, v10
	v_add_f64 v[8:9], v[56:57], v[8:9]
	s_delay_alu instid0(VALU_DEP_2)
	v_cmp_eq_u32_e32 vcc_lo, 0, v22
	v_cndmask_b32_e32 v2, v32, v2, vcc_lo
	v_fma_f64 v[14:15], v[30:31], v[28:29], v[36:37]
	v_mul_f64 v[4:5], v[12:13], v[4:5]
	v_xor_b32_e32 v7, 0x80000000, v7
	v_div_fixup_f64 v[11:12], v[16:17], v[18:19], v[20:21]
	v_cndmask_b32_e64 v8, v6, v8, s4
	s_delay_alu instid0(VALU_DEP_3) | instskip(NEXT) | instid1(VALU_DEP_2)
	v_cndmask_b32_e64 v6, v7, v9, s4
	v_cndmask_b32_e64 v8, 0, v8, s3
	s_delay_alu instid0(VALU_DEP_2) | instskip(SKIP_3) | instid1(VALU_DEP_4)
	v_xor_b32_e32 v9, v6, v0
	v_fma_f64 v[6:7], -v[14:15], v[14:15], v[40:41]
	v_cndmask_b32_e64 v0, 0, v2, s3
	v_lshlrev_b32_e32 v2, 30, v10
	v_cndmask_b32_e64 v9, 0x7ff80000, v9, s3
	s_delay_alu instid0(VALU_DEP_2) | instskip(SKIP_2) | instid1(VALU_DEP_3)
	v_xor_b32_e32 v1, v2, v1
	v_cndmask_b32_e32 v2, v33, v3, vcc_lo
	v_cmp_class_f64_e64 vcc_lo, v[40:41], 0x260
	v_and_b32_e32 v1, 0x80000000, v1
	s_delay_alu instid0(VALU_DEP_1) | instskip(NEXT) | instid1(VALU_DEP_1)
	v_xor_b32_e32 v1, v2, v1
	v_cndmask_b32_e64 v1, 0x7ff80000, v1, s3
	v_mul_f64 v[4:5], v[4:5], v[8:9]
	v_fma_f64 v[2:3], v[6:7], v[28:29], v[14:15]
	s_delay_alu instid0(VALU_DEP_2) | instskip(SKIP_3) | instid1(VALU_DEP_1)
	v_fma_f64 v[0:1], v[11:12], v[0:1], v[4:5]
	v_cndmask_b32_e64 v4, 0, 0xffffff80, s2
	s_mov_b32 s2, 0x33d43651
	s_mov_b32 s3, 0x3fe98845
	v_ldexp_f64 v[2:3], v[2:3], v4
	s_delay_alu instid0(VALU_DEP_3) | instskip(NEXT) | instid1(VALU_DEP_2)
	v_mul_f64 v[0:1], v[0:1], s[2:3]
	v_dual_cndmask_b32 v3, v3, v41 :: v_dual_cndmask_b32 v2, v2, v40
	s_delay_alu instid0(VALU_DEP_1) | instskip(NEXT) | instid1(VALU_DEP_1)
	v_div_scale_f64 v[4:5], null, v[2:3], v[2:3], v[0:1]
	v_rcp_f64_e32 v[6:7], v[4:5]
	s_waitcnt_depctr 0xfff
	v_fma_f64 v[8:9], -v[4:5], v[6:7], 1.0
	s_delay_alu instid0(VALU_DEP_1) | instskip(NEXT) | instid1(VALU_DEP_1)
	v_fma_f64 v[6:7], v[6:7], v[8:9], v[6:7]
	v_fma_f64 v[8:9], -v[4:5], v[6:7], 1.0
	s_delay_alu instid0(VALU_DEP_1) | instskip(SKIP_1) | instid1(VALU_DEP_1)
	v_fma_f64 v[6:7], v[6:7], v[8:9], v[6:7]
	v_div_scale_f64 v[8:9], vcc_lo, v[0:1], v[2:3], v[0:1]
	v_mul_f64 v[10:11], v[8:9], v[6:7]
	s_delay_alu instid0(VALU_DEP_1) | instskip(NEXT) | instid1(VALU_DEP_1)
	v_fma_f64 v[4:5], -v[4:5], v[10:11], v[8:9]
	v_div_fmas_f64 v[4:5], v[4:5], v[6:7], v[10:11]
	s_delay_alu instid0(VALU_DEP_1)
	v_div_fixup_f64 v[0:1], v[4:5], v[2:3], v[0:1]
.LBB8_244:
	s_or_b32 exec_lo, exec_lo, s5
	global_store_b64 v43, v[0:1], s[36:37]
	s_or_b32 exec_lo, exec_lo, s52
                                        ; implicit-def: $vgpr1
                                        ; implicit-def: $vgpr45
	s_and_not1_saveexec_b32 s2, s56
	s_cbranch_execz .LBB8_190
	s_branch .LBB8_8
	.section	.rodata,"a",@progbits
	.p2align	6, 0x0
	.amdhsa_kernel _ZN2at6native32elementwise_kernel_manual_unrollILi128ELi4EZNS0_22gpu_kernel_impl_nocastIZZZNS0_12_GLOBAL__N_121bessel_y1_kernel_cudaERNS_18TensorIteratorBaseEENKUlvE_clEvENKUlvE_clEvEUldE_EEvS5_RKT_EUlibE_EEviT1_
		.amdhsa_group_segment_fixed_size 0
		.amdhsa_private_segment_fixed_size 16
		.amdhsa_kernarg_size 360
		.amdhsa_user_sgpr_count 15
		.amdhsa_user_sgpr_dispatch_ptr 0
		.amdhsa_user_sgpr_queue_ptr 0
		.amdhsa_user_sgpr_kernarg_segment_ptr 1
		.amdhsa_user_sgpr_dispatch_id 0
		.amdhsa_user_sgpr_private_segment_size 0
		.amdhsa_wavefront_size32 1
		.amdhsa_uses_dynamic_stack 1
		.amdhsa_enable_private_segment 1
		.amdhsa_system_sgpr_workgroup_id_x 1
		.amdhsa_system_sgpr_workgroup_id_y 0
		.amdhsa_system_sgpr_workgroup_id_z 0
		.amdhsa_system_sgpr_workgroup_info 0
		.amdhsa_system_vgpr_workitem_id 0
		.amdhsa_next_free_vgpr 104
		.amdhsa_next_free_sgpr 65
		.amdhsa_reserve_vcc 1
		.amdhsa_float_round_mode_32 0
		.amdhsa_float_round_mode_16_64 0
		.amdhsa_float_denorm_mode_32 3
		.amdhsa_float_denorm_mode_16_64 3
		.amdhsa_dx10_clamp 1
		.amdhsa_ieee_mode 1
		.amdhsa_fp16_overflow 0
		.amdhsa_workgroup_processor_mode 1
		.amdhsa_memory_ordered 1
		.amdhsa_forward_progress 0
		.amdhsa_shared_vgpr_count 0
		.amdhsa_exception_fp_ieee_invalid_op 0
		.amdhsa_exception_fp_denorm_src 0
		.amdhsa_exception_fp_ieee_div_zero 0
		.amdhsa_exception_fp_ieee_overflow 0
		.amdhsa_exception_fp_ieee_underflow 0
		.amdhsa_exception_fp_ieee_inexact 0
		.amdhsa_exception_int_div_zero 0
	.end_amdhsa_kernel
	.section	.text._ZN2at6native32elementwise_kernel_manual_unrollILi128ELi4EZNS0_22gpu_kernel_impl_nocastIZZZNS0_12_GLOBAL__N_121bessel_y1_kernel_cudaERNS_18TensorIteratorBaseEENKUlvE_clEvENKUlvE_clEvEUldE_EEvS5_RKT_EUlibE_EEviT1_,"axG",@progbits,_ZN2at6native32elementwise_kernel_manual_unrollILi128ELi4EZNS0_22gpu_kernel_impl_nocastIZZZNS0_12_GLOBAL__N_121bessel_y1_kernel_cudaERNS_18TensorIteratorBaseEENKUlvE_clEvENKUlvE_clEvEUldE_EEvS5_RKT_EUlibE_EEviT1_,comdat
.Lfunc_end8:
	.size	_ZN2at6native32elementwise_kernel_manual_unrollILi128ELi4EZNS0_22gpu_kernel_impl_nocastIZZZNS0_12_GLOBAL__N_121bessel_y1_kernel_cudaERNS_18TensorIteratorBaseEENKUlvE_clEvENKUlvE_clEvEUldE_EEvS5_RKT_EUlibE_EEviT1_, .Lfunc_end8-_ZN2at6native32elementwise_kernel_manual_unrollILi128ELi4EZNS0_22gpu_kernel_impl_nocastIZZZNS0_12_GLOBAL__N_121bessel_y1_kernel_cudaERNS_18TensorIteratorBaseEENKUlvE_clEvENKUlvE_clEvEUldE_EEvS5_RKT_EUlibE_EEviT1_
                                        ; -- End function
	.section	.AMDGPU.csdata,"",@progbits
; Kernel info:
; codeLenInByte = 52096
; NumSgprs: 67
; NumVgprs: 104
; ScratchSize: 16
; MemoryBound: 0
; FloatMode: 240
; IeeeMode: 1
; LDSByteSize: 0 bytes/workgroup (compile time only)
; SGPRBlocks: 8
; VGPRBlocks: 12
; NumSGPRsForWavesPerEU: 67
; NumVGPRsForWavesPerEU: 104
; Occupancy: 12
; WaveLimiterHint : 1
; COMPUTE_PGM_RSRC2:SCRATCH_EN: 1
; COMPUTE_PGM_RSRC2:USER_SGPR: 15
; COMPUTE_PGM_RSRC2:TRAP_HANDLER: 0
; COMPUTE_PGM_RSRC2:TGID_X_EN: 1
; COMPUTE_PGM_RSRC2:TGID_Y_EN: 0
; COMPUTE_PGM_RSRC2:TGID_Z_EN: 0
; COMPUTE_PGM_RSRC2:TIDIG_COMP_CNT: 0
	.text
	.p2align	2                               ; -- Begin function _ZN2at6native6invokeIZZZNS0_12_GLOBAL__N_121bessel_y1_kernel_cudaERNS_18TensorIteratorBaseEENKUlvE_clEvENKUlvE_clEvEUldE_i15function_traitsIS7_EEENT1_11result_typeERKT_PrKPcPKT0_PKN3c1010ScalarTypeEi
	.type	_ZN2at6native6invokeIZZZNS0_12_GLOBAL__N_121bessel_y1_kernel_cudaERNS_18TensorIteratorBaseEENKUlvE_clEvENKUlvE_clEvEUldE_i15function_traitsIS7_EEENT1_11result_typeERKT_PrKPcPKT0_PKN3c1010ScalarTypeEi,@function
_ZN2at6native6invokeIZZZNS0_12_GLOBAL__N_121bessel_y1_kernel_cudaERNS_18TensorIteratorBaseEENKUlvE_clEvENKUlvE_clEvEUldE_i15function_traitsIS7_EEENT1_11result_typeERKT_PrKPcPKT0_PKN3c1010ScalarTypeEi: ; @_ZN2at6native6invokeIZZZNS0_12_GLOBAL__N_121bessel_y1_kernel_cudaERNS_18TensorIteratorBaseEENKUlvE_clEvENKUlvE_clEvEUldE_i15function_traitsIS7_EEENT1_11result_typeERKT_PrKPcPKT0_PKN3c1010ScalarTypeEi
; %bb.0:
	s_waitcnt vmcnt(0) expcnt(0) lgkmcnt(0)
	s_mov_b32 s0, s33
	s_mov_b32 s33, s32
	s_or_saveexec_b32 s1, -1
	scratch_store_b32 off, v45, s33 offset:20 ; 4-byte Folded Spill
	s_mov_b32 exec_lo, s1
	v_writelane_b32 v45, s0, 7
	s_add_i32 s32, s32, 32
	s_clause 0x4
	scratch_store_b32 off, v40, s33 offset:16
	; meta instruction
	scratch_store_b32 off, v41, s33 offset:12
	; meta instruction
	;; [unrolled: 2-line block ×4, first 2 shown]
	scratch_store_b32 off, v44, s33
	v_writelane_b32 v45, s34, 0
	v_writelane_b32 v45, s35, 1
	;; [unrolled: 1-line block ×7, first 2 shown]
	v_mul_lo_u32 v4, v4, v2
	v_and_b32_e32 v2, 0xff, v3
	s_mov_b32 s0, 0
                                        ; implicit-def: $vgpr41_vgpr42
	s_mov_b32 s1, exec_lo
	s_delay_alu instid0(VALU_DEP_2) | instskip(SKIP_1) | instid1(VALU_DEP_2)
	v_ashrrev_i32_e32 v5, 31, v4
	v_add_co_u32 v0, vcc_lo, v0, v4
	v_add_co_ci_u32_e32 v1, vcc_lo, v1, v5, vcc_lo
	v_cmpx_lt_i16_e32 10, v2
	s_xor_b32 s2, exec_lo, s1
	s_cbranch_execz .LBB9_41
; %bb.1:
	s_mov_b32 s3, 0
	s_mov_b32 s6, 0
	;; [unrolled: 1-line block ×3, first 2 shown]
                                        ; implicit-def: $vgpr41_vgpr42
	s_mov_b32 s0, exec_lo
	v_cmpx_lt_i16_e32 25, v2
	s_xor_b32 s5, exec_lo, s0
	s_cbranch_execz .LBB9_93
; %bb.2:
	s_mov_b32 s0, exec_lo
                                        ; implicit-def: $vgpr41_vgpr42
	v_cmpx_lt_i16_e32 28, v2
	s_xor_b32 s0, exec_lo, s0
	s_cbranch_execz .LBB9_18
; %bb.3:
	s_mov_b32 s7, 0
	s_mov_b32 s1, exec_lo
                                        ; implicit-def: $vgpr41_vgpr42
	v_cmpx_lt_i16_e32 43, v2
	s_xor_b32 s1, exec_lo, s1
	s_cbranch_execz .LBB9_13
; %bb.4:
	s_mov_b32 s7, exec_lo
                                        ; implicit-def: $vgpr41_vgpr42
	v_cmpx_lt_i16_e32 45, v2
	s_xor_b32 s7, exec_lo, s7
	s_cbranch_execz .LBB9_8
; %bb.5:
	s_mov_b32 s8, -1
	s_mov_b32 s6, exec_lo
                                        ; implicit-def: $vgpr41_vgpr42
	v_cmpx_eq_u16_e32 46, v2
	s_cbranch_execz .LBB9_7
; %bb.6:
	flat_load_b32 v2, v[0:1]
	s_mov_b32 s4, exec_lo
	s_xor_b32 s8, exec_lo, -1
	s_waitcnt vmcnt(0) lgkmcnt(0)
	v_lshlrev_b32_e32 v2, 16, v2
	s_delay_alu instid0(VALU_DEP_1)
	v_cvt_f64_f32_e32 v[41:42], v2
.LBB9_7:
	s_or_b32 exec_lo, exec_lo, s6
	s_delay_alu instid0(SALU_CYCLE_1)
	s_and_b32 s6, s4, exec_lo
	s_and_b32 s4, s8, exec_lo
                                        ; implicit-def: $vgpr2
.LBB9_8:
	s_and_not1_saveexec_b32 s7, s7
	s_cbranch_execz .LBB9_12
; %bb.9:
	s_mov_b32 s9, -1
	s_mov_b32 s10, s6
	s_mov_b32 s8, exec_lo
                                        ; implicit-def: $vgpr41_vgpr42
	v_cmpx_eq_u16_e32 44, v2
	s_cbranch_execz .LBB9_11
; %bb.10:
	flat_load_u8 v4, v[0:1]
	s_or_b32 s10, s6, exec_lo
	s_xor_b32 s9, exec_lo, -1
	s_waitcnt vmcnt(0) lgkmcnt(0)
	v_cmp_ne_u32_e32 vcc_lo, 0xff, v4
	v_lshlrev_b32_e32 v2, 23, v4
	s_delay_alu instid0(VALU_DEP_1) | instskip(NEXT) | instid1(VALU_DEP_1)
	v_cvt_f64_f32_e32 v[2:3], v2
	v_cndmask_b32_e32 v3, 0x7ff80000, v3, vcc_lo
	s_delay_alu instid0(VALU_DEP_2) | instskip(SKIP_1) | instid1(VALU_DEP_3)
	v_cndmask_b32_e32 v2, 0x20000000, v2, vcc_lo
	v_cmp_ne_u32_e32 vcc_lo, 0, v4
	v_cndmask_b32_e32 v42, 0x38000000, v3, vcc_lo
	s_delay_alu instid0(VALU_DEP_3)
	v_cndmask_b32_e32 v41, 0, v2, vcc_lo
.LBB9_11:
	s_or_b32 exec_lo, exec_lo, s8
	s_delay_alu instid0(SALU_CYCLE_1)
	s_and_not1_b32 s6, s6, exec_lo
	s_and_b32 s8, s10, exec_lo
	s_and_not1_b32 s4, s4, exec_lo
	s_and_b32 s9, s9, exec_lo
	s_or_b32 s6, s6, s8
	s_or_b32 s4, s4, s9
.LBB9_12:
	s_or_b32 exec_lo, exec_lo, s7
	s_delay_alu instid0(SALU_CYCLE_1)
	s_and_b32 s7, s6, exec_lo
	s_and_b32 s6, s4, exec_lo
                                        ; implicit-def: $vgpr2
.LBB9_13:
	s_and_not1_saveexec_b32 s1, s1
	s_cbranch_execz .LBB9_17
; %bb.14:
	s_mov_b32 s4, -1
	s_mov_b32 s8, s7
	s_mov_b32 s9, exec_lo
                                        ; implicit-def: $vgpr41_vgpr42
	v_cmpx_eq_u16_e32 29, v2
	s_cbranch_execz .LBB9_16
; %bb.15:
	flat_load_b64 v[2:3], v[0:1]
	s_or_b32 s8, s7, exec_lo
	s_xor_b32 s4, exec_lo, -1
	s_waitcnt vmcnt(0) lgkmcnt(0)
	v_cvt_f64_u32_e32 v[3:4], v3
	v_cvt_f64_u32_e32 v[5:6], v2
	s_delay_alu instid0(VALU_DEP_2) | instskip(NEXT) | instid1(VALU_DEP_1)
	v_ldexp_f64 v[3:4], v[3:4], 32
	v_add_f64 v[41:42], v[3:4], v[5:6]
.LBB9_16:
	s_or_b32 exec_lo, exec_lo, s9
	s_delay_alu instid0(SALU_CYCLE_1)
	s_and_not1_b32 s7, s7, exec_lo
	s_and_b32 s8, s8, exec_lo
	s_and_not1_b32 s6, s6, exec_lo
	s_and_b32 s4, s4, exec_lo
	s_or_b32 s7, s7, s8
	s_or_b32 s6, s6, s4
.LBB9_17:
	s_or_b32 exec_lo, exec_lo, s1
	s_delay_alu instid0(SALU_CYCLE_1)
	s_and_b32 s4, s7, exec_lo
	s_and_b32 s6, s6, exec_lo
                                        ; implicit-def: $vgpr2
.LBB9_18:
	s_and_not1_saveexec_b32 s7, s0
	s_cbranch_execz .LBB9_36
; %bb.19:
	s_mov_b32 s0, exec_lo
                                        ; implicit-def: $vgpr41_vgpr42
	v_cmpx_lt_i16_e32 26, v2
	s_xor_b32 s0, exec_lo, s0
	s_cbranch_execz .LBB9_25
; %bb.20:
	s_mov_b32 s1, exec_lo
                                        ; implicit-def: $vgpr41_vgpr42
	v_cmpx_lt_i16_e32 27, v2
	s_xor_b32 s1, exec_lo, s1
	s_cbranch_execz .LBB9_22
; %bb.21:
	flat_load_b32 v2, v[0:1]
	s_waitcnt vmcnt(0) lgkmcnt(0)
	v_cvt_f64_u32_e32 v[41:42], v2
.LBB9_22:
	s_and_not1_saveexec_b32 s1, s1
	s_cbranch_execz .LBB9_24
; %bb.23:
	flat_load_u16 v2, v[0:1]
	s_waitcnt vmcnt(0) lgkmcnt(0)
	v_cvt_f64_u32_e32 v[41:42], v2
.LBB9_24:
	s_or_b32 exec_lo, exec_lo, s1
.LBB9_25:
	s_and_not1_saveexec_b32 s8, s0
	s_cbranch_execz .LBB9_35
; %bb.26:
	flat_load_u8 v2, v[0:1]
	s_mov_b32 s9, 0
	s_mov_b32 s10, exec_lo
                                        ; implicit-def: $sgpr0_sgpr1
	s_waitcnt vmcnt(0) lgkmcnt(0)
	v_cmpx_lt_i16_e32 0x7f, v2
	s_xor_b32 s10, exec_lo, s10
	s_cbranch_execz .LBB9_30
; %bb.27:
	s_mov_b32 s11, -1
	s_mov_b32 s9, exec_lo
                                        ; implicit-def: $sgpr0_sgpr1
	v_cmpx_eq_u16_e32 0x80, v2
; %bb.28:
	s_mov_b32 s1, 0x7ff80000
	s_brev_b32 s0, 4
	s_xor_b32 s11, exec_lo, -1
; %bb.29:
	s_or_b32 exec_lo, exec_lo, s9
	s_delay_alu instid0(SALU_CYCLE_1)
	s_and_b32 s9, s11, exec_lo
.LBB9_30:
	s_or_saveexec_b32 s10, s10
	v_dual_mov_b32 v42, s1 :: v_dual_mov_b32 v41, s0
	s_xor_b32 exec_lo, exec_lo, s10
; %bb.31:
	v_cmp_ne_u16_e32 vcc_lo, 0, v2
	v_mov_b32_e32 v41, 0
	v_mov_b32_e32 v42, 0
	s_and_not1_b32 s0, s9, exec_lo
	s_and_b32 s1, vcc_lo, exec_lo
	s_delay_alu instid0(SALU_CYCLE_1)
	s_or_b32 s9, s0, s1
; %bb.32:
	s_or_b32 exec_lo, exec_lo, s10
	s_and_saveexec_b32 s0, s9
	s_cbranch_execz .LBB9_34
; %bb.33:
	v_and_b32_e32 v3, 0xffff, v2
	v_lshlrev_b32_e32 v2, 24, v2
	s_delay_alu instid0(VALU_DEP_2) | instskip(NEXT) | instid1(VALU_DEP_2)
	v_and_b32_e32 v4, 7, v3
	v_and_b32_e32 v2, 0x80000000, v2
	s_delay_alu instid0(VALU_DEP_2) | instskip(NEXT) | instid1(VALU_DEP_1)
	v_clz_i32_u32_e32 v5, v4
	v_min_u32_e32 v5, 32, v5
	s_delay_alu instid0(VALU_DEP_1) | instskip(SKIP_1) | instid1(VALU_DEP_2)
	v_subrev_nc_u32_e32 v6, 28, v5
	v_sub_nc_u32_e32 v5, 29, v5
	v_lshlrev_b32_e32 v6, v6, v3
	v_bfe_u32 v3, v3, 3, 4
	s_delay_alu instid0(VALU_DEP_2) | instskip(NEXT) | instid1(VALU_DEP_2)
	v_and_b32_e32 v6, 7, v6
	v_cmp_eq_u32_e32 vcc_lo, 0, v3
	s_delay_alu instid0(VALU_DEP_2) | instskip(NEXT) | instid1(VALU_DEP_1)
	v_dual_cndmask_b32 v3, v3, v5 :: v_dual_cndmask_b32 v4, v4, v6
	v_lshl_add_u32 v3, v3, 23, 0x3b800000
	s_delay_alu instid0(VALU_DEP_2) | instskip(NEXT) | instid1(VALU_DEP_1)
	v_lshlrev_b32_e32 v4, 20, v4
	v_or3_b32 v2, v2, v3, v4
	s_delay_alu instid0(VALU_DEP_1)
	v_cvt_f64_f32_e32 v[41:42], v2
.LBB9_34:
	s_or_b32 exec_lo, exec_lo, s0
.LBB9_35:
	s_delay_alu instid0(SALU_CYCLE_1) | instskip(NEXT) | instid1(SALU_CYCLE_1)
	s_or_b32 exec_lo, exec_lo, s8
	s_or_b32 s4, s4, exec_lo
.LBB9_36:
	s_or_b32 exec_lo, exec_lo, s7
	s_delay_alu instid0(SALU_CYCLE_1)
	s_and_b32 s4, s4, exec_lo
	s_and_b32 s6, s6, exec_lo
                                        ; implicit-def: $vgpr2
	s_and_not1_saveexec_b32 s5, s5
	s_cbranch_execnz .LBB9_94
.LBB9_37:
	s_or_b32 exec_lo, exec_lo, s5
	s_and_saveexec_b32 s0, s6
	s_cbranch_execnz .LBB9_121
.LBB9_38:
	s_or_b32 exec_lo, exec_lo, s0
	s_and_saveexec_b32 s0, s3
	s_delay_alu instid0(SALU_CYCLE_1)
	s_xor_b32 s0, exec_lo, s0
	s_cbranch_execz .LBB9_40
.LBB9_39:
	flat_load_u8 v0, v[0:1]
	v_mov_b32_e32 v41, 0
	s_or_b32 s4, s4, exec_lo
	s_waitcnt vmcnt(0) lgkmcnt(0)
	v_cmp_ne_u16_e32 vcc_lo, 0, v0
	v_cndmask_b32_e64 v42, 0, 0x3ff00000, vcc_lo
.LBB9_40:
	s_or_b32 exec_lo, exec_lo, s0
	s_delay_alu instid0(SALU_CYCLE_1)
	s_and_b32 s0, s4, exec_lo
                                        ; implicit-def: $vgpr2
                                        ; implicit-def: $vgpr0_vgpr1
.LBB9_41:
	s_and_not1_saveexec_b32 s1, s2
	s_cbranch_execz .LBB9_83
; %bb.42:
	s_mov_b32 s2, exec_lo
                                        ; implicit-def: $vgpr41_vgpr42
	v_cmpx_lt_i16_e32 4, v2
	s_xor_b32 s2, exec_lo, s2
	s_cbranch_execz .LBB9_64
; %bb.43:
	s_mov_b32 s3, exec_lo
                                        ; implicit-def: $vgpr41_vgpr42
	v_cmpx_lt_i16_e32 7, v2
	s_xor_b32 s3, exec_lo, s3
	;; [unrolled: 6-line block ×4, first 2 shown]
	s_cbranch_execz .LBB9_47
; %bb.46:
	flat_load_b64 v[41:42], v[0:1]
                                        ; implicit-def: $vgpr0_vgpr1
.LBB9_47:
	s_and_not1_saveexec_b32 s5, s5
	s_cbranch_execz .LBB9_49
; %bb.48:
	flat_load_b32 v0, v[0:1]
	s_waitcnt vmcnt(0) lgkmcnt(0)
	v_cvt_f64_f32_e32 v[41:42], v0
.LBB9_49:
	s_or_b32 exec_lo, exec_lo, s5
                                        ; implicit-def: $vgpr0_vgpr1
.LBB9_50:
	s_and_not1_saveexec_b32 s4, s4
	s_cbranch_execz .LBB9_52
; %bb.51:
	flat_load_b32 v0, v[0:1]
	s_waitcnt vmcnt(0) lgkmcnt(0)
	v_cvt_f32_f16_e32 v0, v0
	s_delay_alu instid0(VALU_DEP_1)
	v_cvt_f64_f32_e32 v[41:42], v0
.LBB9_52:
	s_or_b32 exec_lo, exec_lo, s4
                                        ; implicit-def: $vgpr0_vgpr1
                                        ; implicit-def: $vgpr2
.LBB9_53:
	s_and_not1_saveexec_b32 s3, s3
	s_cbranch_execz .LBB9_63
; %bb.54:
	s_mov_b32 s4, exec_lo
                                        ; implicit-def: $vgpr41_vgpr42
	v_cmpx_lt_i16_e32 5, v2
	s_xor_b32 s4, exec_lo, s4
	s_cbranch_execz .LBB9_60
; %bb.55:
	s_mov_b32 s5, exec_lo
                                        ; implicit-def: $vgpr41_vgpr42
	v_cmpx_lt_i16_e32 6, v2
	s_xor_b32 s5, exec_lo, s5
	s_cbranch_execz .LBB9_57
; %bb.56:
	s_waitcnt vmcnt(0) lgkmcnt(0)
	flat_load_b64 v[41:42], v[0:1]
                                        ; implicit-def: $vgpr0_vgpr1
.LBB9_57:
	s_and_not1_saveexec_b32 s5, s5
	s_cbranch_execz .LBB9_59
; %bb.58:
	flat_load_b32 v0, v[0:1]
	s_waitcnt vmcnt(0) lgkmcnt(0)
	v_cvt_f64_f32_e32 v[41:42], v0
.LBB9_59:
	s_or_b32 exec_lo, exec_lo, s5
                                        ; implicit-def: $vgpr0_vgpr1
.LBB9_60:
	s_and_not1_saveexec_b32 s4, s4
	s_cbranch_execz .LBB9_62
; %bb.61:
	flat_load_u16 v0, v[0:1]
	s_waitcnt vmcnt(0) lgkmcnt(0)
	v_cvt_f32_f16_e32 v0, v0
	s_delay_alu instid0(VALU_DEP_1)
	v_cvt_f64_f32_e32 v[41:42], v0
.LBB9_62:
	s_or_b32 exec_lo, exec_lo, s4
.LBB9_63:
	s_delay_alu instid0(SALU_CYCLE_1)
	s_or_b32 exec_lo, exec_lo, s3
                                        ; implicit-def: $vgpr2
                                        ; implicit-def: $vgpr0_vgpr1
.LBB9_64:
	s_and_not1_saveexec_b32 s2, s2
	s_cbranch_execz .LBB9_82
; %bb.65:
	s_mov_b32 s3, exec_lo
                                        ; implicit-def: $vgpr41_vgpr42
	v_cmpx_lt_i16_e32 1, v2
	s_xor_b32 s3, exec_lo, s3
	s_cbranch_execz .LBB9_75
; %bb.66:
	s_mov_b32 s4, exec_lo
                                        ; implicit-def: $vgpr41_vgpr42
	v_cmpx_lt_i16_e32 2, v2
	s_xor_b32 s4, exec_lo, s4
	;; [unrolled: 6-line block ×3, first 2 shown]
	s_cbranch_execz .LBB9_69
; %bb.68:
	flat_load_b64 v[0:1], v[0:1]
	s_waitcnt vmcnt(0) lgkmcnt(0)
	v_cvt_f64_i32_e32 v[1:2], v1
	v_cvt_f64_u32_e32 v[3:4], v0
	s_delay_alu instid0(VALU_DEP_2) | instskip(NEXT) | instid1(VALU_DEP_1)
	v_ldexp_f64 v[1:2], v[1:2], 32
	v_add_f64 v[41:42], v[1:2], v[3:4]
                                        ; implicit-def: $vgpr0_vgpr1
.LBB9_69:
	s_and_not1_saveexec_b32 s5, s5
	s_cbranch_execz .LBB9_71
; %bb.70:
	flat_load_b32 v0, v[0:1]
	s_waitcnt vmcnt(0) lgkmcnt(0)
	v_cvt_f64_i32_e32 v[41:42], v0
.LBB9_71:
	s_or_b32 exec_lo, exec_lo, s5
                                        ; implicit-def: $vgpr0_vgpr1
.LBB9_72:
	s_and_not1_saveexec_b32 s4, s4
	s_cbranch_execz .LBB9_74
; %bb.73:
	flat_load_i16 v0, v[0:1]
	s_waitcnt vmcnt(0) lgkmcnt(0)
	v_cvt_f64_i32_e32 v[41:42], v0
.LBB9_74:
	s_or_b32 exec_lo, exec_lo, s4
                                        ; implicit-def: $vgpr0_vgpr1
                                        ; implicit-def: $vgpr2
.LBB9_75:
	s_and_not1_saveexec_b32 s3, s3
	s_cbranch_execz .LBB9_81
; %bb.76:
	s_mov_b32 s4, exec_lo
                                        ; implicit-def: $vgpr41_vgpr42
	v_cmpx_lt_i16_e32 0, v2
	s_xor_b32 s4, exec_lo, s4
	s_cbranch_execz .LBB9_78
; %bb.77:
	flat_load_i8 v0, v[0:1]
	s_waitcnt vmcnt(0) lgkmcnt(0)
	v_cvt_f64_i32_e32 v[41:42], v0
                                        ; implicit-def: $vgpr0_vgpr1
.LBB9_78:
	s_and_not1_saveexec_b32 s4, s4
	s_cbranch_execz .LBB9_80
; %bb.79:
	flat_load_u8 v0, v[0:1]
	s_waitcnt vmcnt(0) lgkmcnt(0)
	v_cvt_f64_u32_e32 v[41:42], v0
.LBB9_80:
	s_or_b32 exec_lo, exec_lo, s4
.LBB9_81:
	s_delay_alu instid0(SALU_CYCLE_1)
	s_or_b32 exec_lo, exec_lo, s3
.LBB9_82:
	s_delay_alu instid0(SALU_CYCLE_1) | instskip(NEXT) | instid1(SALU_CYCLE_1)
	s_or_b32 exec_lo, exec_lo, s2
	s_or_b32 s0, s0, exec_lo
.LBB9_83:
	s_or_b32 exec_lo, exec_lo, s1
                                        ; implicit-def: $vgpr0_vgpr1
	s_and_saveexec_b32 s35, s0
	s_cbranch_execz .LBB9_131
; %bb.84:
                                        ; implicit-def: $vgpr0_vgpr1
	s_mov_b32 s0, exec_lo
	s_waitcnt vmcnt(0) lgkmcnt(0)
	s_delay_alu instid0(VALU_DEP_1)
	v_cmpx_ge_f64_e32 0x40140000, v[41:42]
	s_xor_b32 s36, exec_lo, s0
	s_cbranch_execz .LBB9_90
; %bb.85:
	v_mov_b32_e32 v0, 0
	v_mov_b32_e32 v1, 0xfff00000
	s_mov_b32 s37, exec_lo
	v_cmpx_neq_f64_e32 0, v[41:42]
	s_cbranch_execz .LBB9_89
; %bb.86:
	v_mov_b32_e32 v0, 0
	v_mov_b32_e32 v1, 0x7ff80000
	s_mov_b32 s38, exec_lo
	v_cmpx_nge_f64_e32 0, v[41:42]
	s_cbranch_execz .LBB9_88
; %bb.87:
	v_mul_f64 v[0:1], v[41:42], v[41:42]
	s_mov_b32 s0, 0xa93f7ac2
	s_mov_b32 s1, 0x40829269
	;; [unrolled: 1-line block ×4, first 2 shown]
	s_delay_alu instid0(VALU_DEP_1)
	v_fma_f64 v[2:3], v[0:1], 0, s[0:1]
	s_mov_b32 s0, 0xbe58ef7f
	s_mov_b32 s1, 0x410cc160
	s_delay_alu instid0(VALU_DEP_1) | instid1(SALU_CYCLE_1)
	v_fma_f64 v[2:3], v[0:1], v[2:3], s[0:1]
	s_mov_b32 s0, 0x62f9b6c5
	s_mov_b32 s1, 0x41d2d2be
	s_delay_alu instid0(SALU_CYCLE_1) | instskip(SKIP_2) | instid1(VALU_DEP_2)
	v_fma_f64 v[4:5], v[0:1], 0, s[0:1]
	s_mov_b32 s0, 0x58836521
	s_mov_b32 s1, 0xc262d72d
	v_fma_f64 v[2:3], v[0:1], v[2:3], s[2:3]
	s_mov_b32 s2, 0x906b7b83
	s_mov_b32 s3, 0x421178c3
	s_delay_alu instid0(VALU_DEP_2) | instskip(SKIP_2) | instid1(VALU_DEP_2)
	v_fma_f64 v[4:5], v[0:1], v[4:5], s[0:1]
	s_mov_b32 s0, 0xb0910fef
	s_mov_b32 s1, 0x42da0954
	v_fma_f64 v[2:3], v[0:1], v[2:3], s[2:3]
	s_mov_b32 s2, 0xfda99316
	s_mov_b32 s3, 0x428c3f5e
	s_delay_alu instid0(VALU_DEP_2) | instskip(SKIP_2) | instid1(VALU_DEP_2)
	;; [unrolled: 7-line block ×4, first 2 shown]
	v_fma_f64 v[4:5], v[0:1], v[4:5], s[0:1]
	s_mov_b32 s0, 0x5dde2b17
	s_mov_b32 s1, 0xc3a59e41
	v_fma_f64 v[2:3], v[0:1], v[2:3], s[2:3]
	s_mov_b32 s2, 0x90f6747f
	s_mov_b32 s3, 0x43cb90f1
	s_delay_alu instid0(VALU_DEP_2) | instskip(SKIP_3) | instid1(VALU_DEP_2)
	v_fma_f64 v[4:5], v[0:1], v[4:5], s[0:1]
	s_getpc_b64 s[0:1]
	s_add_u32 s0, s0, _Z17bessel_j1_forwardIdET_S0_@rel32@lo+4
	s_addc_u32 s1, s1, _Z17bessel_j1_forwardIdET_S0_@rel32@hi+12
	v_fma_f64 v[0:1], v[0:1], v[2:3], s[2:3]
	s_delay_alu instid0(VALU_DEP_1) | instskip(NEXT) | instid1(VALU_DEP_1)
	v_div_scale_f64 v[2:3], null, v[0:1], v[0:1], v[4:5]
	v_rcp_f64_e32 v[6:7], v[2:3]
	s_waitcnt_depctr 0xfff
	v_fma_f64 v[8:9], -v[2:3], v[6:7], 1.0
	s_delay_alu instid0(VALU_DEP_1) | instskip(NEXT) | instid1(VALU_DEP_1)
	v_fma_f64 v[6:7], v[6:7], v[8:9], v[6:7]
	v_fma_f64 v[8:9], -v[2:3], v[6:7], 1.0
	s_delay_alu instid0(VALU_DEP_1) | instskip(SKIP_1) | instid1(VALU_DEP_1)
	v_fma_f64 v[6:7], v[6:7], v[8:9], v[6:7]
	v_div_scale_f64 v[8:9], vcc_lo, v[4:5], v[0:1], v[4:5]
	v_mul_f64 v[10:11], v[8:9], v[6:7]
	s_delay_alu instid0(VALU_DEP_1) | instskip(NEXT) | instid1(VALU_DEP_1)
	v_fma_f64 v[2:3], -v[2:3], v[10:11], v[8:9]
	v_div_fmas_f64 v[2:3], v[2:3], v[6:7], v[10:11]
	s_delay_alu instid0(VALU_DEP_1)
	v_div_fixup_f64 v[43:44], v[2:3], v[0:1], v[4:5]
	v_dual_mov_b32 v0, v41 :: v_dual_mov_b32 v1, v42
	s_swappc_b64 s[30:31], s[0:1]
	v_frexp_mant_f64_e32 v[2:3], v[41:42]
	s_mov_b32 s1, 0x3fe55555
	s_mov_b32 s0, 0x55555555
	v_mov_b32_e32 v4, 0
	s_mov_b32 s2, 0x6b47b09a
	s_mov_b32 s4, 0xbf559e2b
	;; [unrolled: 1-line block ×4, first 2 shown]
	v_div_scale_f64 v[18:19], null, v[41:42], v[41:42], -1.0
	s_delay_alu instid0(VALU_DEP_3) | instskip(SKIP_1) | instid1(VALU_DEP_2)
	v_cmp_gt_f64_e32 vcc_lo, s[0:1], v[2:3]
	s_mov_b32 s0, 0x55555780
	v_rcp_f64_e32 v[22:23], v[18:19]
	v_cndmask_b32_e64 v5, 0x3ff00000, 2.0, vcc_lo
	s_delay_alu instid0(VALU_DEP_1) | instskip(NEXT) | instid1(VALU_DEP_1)
	v_mul_f64 v[2:3], v[2:3], v[4:5]
	v_add_f64 v[4:5], v[2:3], 1.0
	v_add_f64 v[10:11], v[2:3], -1.0
	s_delay_alu instid0(VALU_DEP_2) | instskip(SKIP_1) | instid1(VALU_DEP_1)
	v_rcp_f64_e32 v[6:7], v[4:5]
	v_add_f64 v[12:13], v[4:5], -1.0
	v_add_f64 v[2:3], v[2:3], -v[12:13]
	s_waitcnt_depctr 0xfff
	v_fma_f64 v[8:9], -v[4:5], v[6:7], 1.0
	s_delay_alu instid0(VALU_DEP_1) | instskip(NEXT) | instid1(VALU_DEP_1)
	v_fma_f64 v[6:7], v[8:9], v[6:7], v[6:7]
	v_fma_f64 v[8:9], -v[4:5], v[6:7], 1.0
	s_delay_alu instid0(VALU_DEP_1) | instskip(NEXT) | instid1(VALU_DEP_1)
	v_fma_f64 v[6:7], v[8:9], v[6:7], v[6:7]
	v_mul_f64 v[8:9], v[10:11], v[6:7]
	s_delay_alu instid0(VALU_DEP_1) | instskip(NEXT) | instid1(VALU_DEP_1)
	v_mul_f64 v[14:15], v[4:5], v[8:9]
	v_fma_f64 v[4:5], v[8:9], v[4:5], -v[14:15]
	s_delay_alu instid0(VALU_DEP_1) | instskip(NEXT) | instid1(VALU_DEP_1)
	v_fma_f64 v[2:3], v[8:9], v[2:3], v[4:5]
	v_add_f64 v[4:5], v[14:15], v[2:3]
	s_delay_alu instid0(VALU_DEP_1) | instskip(SKIP_1) | instid1(VALU_DEP_2)
	v_add_f64 v[12:13], v[10:11], -v[4:5]
	v_add_f64 v[14:15], v[4:5], -v[14:15]
	;; [unrolled: 1-line block ×3, first 2 shown]
	s_delay_alu instid0(VALU_DEP_2) | instskip(SKIP_1) | instid1(VALU_DEP_3)
	v_add_f64 v[2:3], v[14:15], -v[2:3]
	v_frexp_exp_i32_f64_e32 v14, v[41:42]
	v_add_f64 v[4:5], v[10:11], -v[4:5]
	s_delay_alu instid0(VALU_DEP_1) | instskip(NEXT) | instid1(VALU_DEP_1)
	v_add_f64 v[2:3], v[2:3], v[4:5]
	v_add_f64 v[2:3], v[12:13], v[2:3]
	s_delay_alu instid0(VALU_DEP_1) | instskip(NEXT) | instid1(VALU_DEP_1)
	v_mul_f64 v[2:3], v[6:7], v[2:3]
	v_add_f64 v[4:5], v[8:9], v[2:3]
	s_delay_alu instid0(VALU_DEP_1) | instskip(NEXT) | instid1(VALU_DEP_1)
	v_mul_f64 v[6:7], v[4:5], v[4:5]
	v_fma_f64 v[10:11], v[6:7], s[4:5], s[2:3]
	s_mov_b32 s2, 0xd7f4df2e
	s_mov_b32 s3, 0x3fc7474d
	v_mul_f64 v[12:13], v[4:5], v[6:7]
	s_delay_alu instid0(VALU_DEP_2)
	v_fma_f64 v[10:11], v[6:7], v[10:11], s[2:3]
	s_mov_b32 s2, 0x16291751
	s_mov_b32 s3, 0x3fcc71c0
	s_delay_alu instid0(VALU_DEP_1) | instid1(SALU_CYCLE_1)
	v_fma_f64 v[10:11], v[6:7], v[10:11], s[2:3]
	s_mov_b32 s2, 0x9b27acf1
	s_mov_b32 s3, 0x3fd24924
	s_delay_alu instid0(VALU_DEP_1) | instid1(SALU_CYCLE_1)
	;; [unrolled: 4-line block ×3, first 2 shown]
	v_fma_f64 v[10:11], v[6:7], v[10:11], s[2:3]
	s_delay_alu instid0(VALU_DEP_1) | instskip(SKIP_4) | instid1(VALU_DEP_3)
	v_fma_f64 v[6:7], v[6:7], v[10:11], s[0:1]
	v_ldexp_f64 v[10:11], v[4:5], 1
	v_add_f64 v[4:5], v[4:5], -v[8:9]
	s_mov_b32 s0, 0xfefa39ef
	s_mov_b32 s1, 0x3fe62e42
	v_mul_f64 v[6:7], v[12:13], v[6:7]
	v_subrev_co_ci_u32_e32 v12, vcc_lo, 0, v14, vcc_lo
	s_delay_alu instid0(VALU_DEP_3) | instskip(NEXT) | instid1(VALU_DEP_2)
	v_add_f64 v[2:3], v[2:3], -v[4:5]
	v_cvt_f64_i32_e32 v[12:13], v12
	s_delay_alu instid0(VALU_DEP_4) | instskip(NEXT) | instid1(VALU_DEP_3)
	v_add_f64 v[8:9], v[10:11], v[6:7]
	v_ldexp_f64 v[2:3], v[2:3], 1
	s_delay_alu instid0(VALU_DEP_3) | instskip(NEXT) | instid1(VALU_DEP_3)
	v_mul_f64 v[14:15], v[12:13], s[0:1]
	v_add_f64 v[4:5], v[8:9], -v[10:11]
	s_delay_alu instid0(VALU_DEP_2) | instskip(SKIP_2) | instid1(VALU_DEP_2)
	v_fma_f64 v[10:11], v[12:13], s[0:1], -v[14:15]
	s_mov_b32 s0, 0x3b39803f
	s_mov_b32 s1, 0x3c7abc9e
	v_add_f64 v[4:5], v[6:7], -v[4:5]
	s_delay_alu instid0(VALU_DEP_2) | instskip(SKIP_2) | instid1(VALU_DEP_2)
	v_fma_f64 v[6:7], v[12:13], s[0:1], v[10:11]
	s_mov_b32 s0, 0x6dc9c883
	s_mov_b32 s1, 0x3fe45f30
	v_add_f64 v[2:3], v[2:3], v[4:5]
	s_delay_alu instid0(VALU_DEP_2) | instskip(NEXT) | instid1(VALU_DEP_2)
	v_add_f64 v[4:5], v[14:15], v[6:7]
	v_add_f64 v[10:11], v[8:9], v[2:3]
	s_delay_alu instid0(VALU_DEP_2) | instskip(NEXT) | instid1(VALU_DEP_2)
	v_add_f64 v[14:15], v[4:5], -v[14:15]
	v_add_f64 v[12:13], v[4:5], v[10:11]
	v_add_f64 v[8:9], v[10:11], -v[8:9]
	s_delay_alu instid0(VALU_DEP_3) | instskip(NEXT) | instid1(VALU_DEP_3)
	v_add_f64 v[6:7], v[6:7], -v[14:15]
	v_add_f64 v[16:17], v[12:13], -v[4:5]
	s_delay_alu instid0(VALU_DEP_3) | instskip(NEXT) | instid1(VALU_DEP_2)
	v_add_f64 v[2:3], v[2:3], -v[8:9]
	v_add_f64 v[20:21], v[12:13], -v[16:17]
	;; [unrolled: 1-line block ×3, first 2 shown]
	v_fma_f64 v[10:11], -v[18:19], v[22:23], 1.0
	s_delay_alu instid0(VALU_DEP_4) | instskip(NEXT) | instid1(VALU_DEP_4)
	v_add_f64 v[14:15], v[6:7], v[2:3]
	v_add_f64 v[4:5], v[4:5], -v[20:21]
	s_delay_alu instid0(VALU_DEP_1) | instskip(NEXT) | instid1(VALU_DEP_4)
	v_add_f64 v[4:5], v[8:9], v[4:5]
	v_fma_f64 v[8:9], v[22:23], v[10:11], v[22:23]
	s_delay_alu instid0(VALU_DEP_4) | instskip(SKIP_1) | instid1(VALU_DEP_4)
	v_add_f64 v[10:11], v[14:15], -v[6:7]
	v_div_scale_f64 v[22:23], vcc_lo, -1.0, v[41:42], -1.0
	v_add_f64 v[4:5], v[14:15], v[4:5]
	s_delay_alu instid0(VALU_DEP_4) | instskip(NEXT) | instid1(VALU_DEP_4)
	v_fma_f64 v[16:17], -v[18:19], v[8:9], 1.0
	v_add_f64 v[14:15], v[14:15], -v[10:11]
	v_add_f64 v[2:3], v[2:3], -v[10:11]
	s_delay_alu instid0(VALU_DEP_4) | instskip(NEXT) | instid1(VALU_DEP_4)
	v_add_f64 v[20:21], v[12:13], v[4:5]
	v_fma_f64 v[8:9], v[8:9], v[16:17], v[8:9]
	s_delay_alu instid0(VALU_DEP_4) | instskip(NEXT) | instid1(VALU_DEP_3)
	v_add_f64 v[6:7], v[6:7], -v[14:15]
	v_add_f64 v[10:11], v[20:21], -v[12:13]
	s_delay_alu instid0(VALU_DEP_3) | instskip(NEXT) | instid1(VALU_DEP_3)
	v_mul_f64 v[12:13], v[22:23], v[8:9]
	v_add_f64 v[2:3], v[2:3], v[6:7]
	s_delay_alu instid0(VALU_DEP_3) | instskip(NEXT) | instid1(VALU_DEP_3)
	v_add_f64 v[4:5], v[4:5], -v[10:11]
	v_fma_f64 v[6:7], -v[18:19], v[12:13], v[22:23]
	s_delay_alu instid0(VALU_DEP_2) | instskip(NEXT) | instid1(VALU_DEP_2)
	v_add_f64 v[2:3], v[2:3], v[4:5]
	v_div_fmas_f64 v[4:5], v[6:7], v[8:9], v[12:13]
	s_delay_alu instid0(VALU_DEP_2) | instskip(NEXT) | instid1(VALU_DEP_2)
	v_add_f64 v[2:3], v[20:21], v[2:3]
	v_div_fixup_f64 v[4:5], v[4:5], v[41:42], -1.0
	s_delay_alu instid0(VALU_DEP_1) | instskip(NEXT) | instid1(VALU_DEP_1)
	v_fma_f64 v[0:1], v[2:3], v[0:1], v[4:5]
	v_mul_f64 v[0:1], v[0:1], s[0:1]
	s_delay_alu instid0(VALU_DEP_1)
	v_fma_f64 v[0:1], v[41:42], v[43:44], v[0:1]
.LBB9_88:
	s_or_b32 exec_lo, exec_lo, s38
.LBB9_89:
	s_delay_alu instid0(SALU_CYCLE_1)
	s_or_b32 exec_lo, exec_lo, s37
                                        ; implicit-def: $vgpr41_vgpr42
.LBB9_90:
	s_and_not1_saveexec_b32 s3, s36
	s_cbranch_execz .LBB9_130
; %bb.91:
	s_mov_b32 s0, 0x7f3321d2
	s_mov_b32 s1, 0xc002d97c
                                        ; implicit-def: $vgpr10
                                        ; implicit-def: $vgpr2_vgpr3
                                        ; implicit-def: $vgpr4_vgpr5
	s_delay_alu instid0(SALU_CYCLE_1) | instskip(NEXT) | instid1(VALU_DEP_1)
	v_add_f64 v[0:1], v[41:42], s[0:1]
	v_cmp_ngt_f64_e64 s1, 0x41d00000, |v[0:1]|
	s_delay_alu instid0(VALU_DEP_1) | instskip(NEXT) | instid1(SALU_CYCLE_1)
	s_and_saveexec_b32 s0, s1
	s_xor_b32 s2, exec_lo, s0
	s_cbranch_execz .LBB9_123
; %bb.92:
	v_ldexp_f64 v[2:3], |v[0:1]|, 0xffffff80
	v_cmp_le_f64_e64 vcc_lo, 0x7b000000, |v[0:1]|
	v_trig_preop_f64 v[4:5], |v[0:1]|, 0
	v_and_b32_e32 v6, 0x7fffffff, v1
	v_trig_preop_f64 v[16:17], |v[0:1]|, 2
	v_mov_b32_e32 v24, 0
	s_mov_b32 s4, 0x54442d18
	s_mov_b32 s5, 0x3ff921fb
	;; [unrolled: 1-line block ×4, first 2 shown]
	v_dual_cndmask_b32 v3, v6, v3 :: v_dual_cndmask_b32 v2, v0, v2
	v_trig_preop_f64 v[6:7], |v[0:1]|, 1
	s_delay_alu instid0(VALU_DEP_2) | instskip(SKIP_1) | instid1(VALU_DEP_3)
	v_mul_f64 v[8:9], v[4:5], v[2:3]
	v_mul_f64 v[22:23], v[16:17], v[2:3]
	;; [unrolled: 1-line block ×3, first 2 shown]
	s_delay_alu instid0(VALU_DEP_3) | instskip(NEXT) | instid1(VALU_DEP_2)
	v_fma_f64 v[4:5], v[4:5], v[2:3], -v[8:9]
	v_fma_f64 v[6:7], v[6:7], v[2:3], -v[10:11]
	s_delay_alu instid0(VALU_DEP_4) | instskip(NEXT) | instid1(VALU_DEP_3)
	v_fma_f64 v[2:3], v[16:17], v[2:3], -v[22:23]
	v_add_f64 v[12:13], v[10:11], v[4:5]
	s_delay_alu instid0(VALU_DEP_1) | instskip(SKIP_1) | instid1(VALU_DEP_2)
	v_add_f64 v[14:15], v[12:13], -v[10:11]
	v_add_f64 v[20:21], v[8:9], v[12:13]
	v_add_f64 v[18:19], v[12:13], -v[14:15]
	v_add_f64 v[4:5], v[4:5], -v[14:15]
	s_delay_alu instid0(VALU_DEP_3) | instskip(SKIP_1) | instid1(VALU_DEP_4)
	v_ldexp_f64 v[14:15], v[20:21], -2
	v_add_f64 v[8:9], v[20:21], -v[8:9]
	v_add_f64 v[10:11], v[10:11], -v[18:19]
	v_add_f64 v[18:19], v[22:23], v[6:7]
	s_delay_alu instid0(VALU_DEP_4) | instskip(NEXT) | instid1(VALU_DEP_4)
	v_cmp_neq_f64_e64 vcc_lo, 0x7ff00000, |v[14:15]|
	v_add_f64 v[8:9], v[12:13], -v[8:9]
	s_delay_alu instid0(VALU_DEP_4) | instskip(SKIP_1) | instid1(VALU_DEP_2)
	v_add_f64 v[4:5], v[4:5], v[10:11]
	v_fract_f64_e32 v[10:11], v[14:15]
	v_add_f64 v[12:13], v[18:19], v[4:5]
	s_delay_alu instid0(VALU_DEP_2) | instskip(NEXT) | instid1(VALU_DEP_1)
	v_dual_cndmask_b32 v11, 0, v11 :: v_dual_cndmask_b32 v10, 0, v10
	v_ldexp_f64 v[10:11], v[10:11], 2
	s_delay_alu instid0(VALU_DEP_3) | instskip(NEXT) | instid1(VALU_DEP_1)
	v_add_f64 v[14:15], v[8:9], v[12:13]
	v_add_f64 v[20:21], v[14:15], v[10:11]
	v_add_f64 v[8:9], v[14:15], -v[8:9]
	s_delay_alu instid0(VALU_DEP_2) | instskip(SKIP_1) | instid1(VALU_DEP_3)
	v_cmp_gt_f64_e32 vcc_lo, 0, v[20:21]
	v_add_f64 v[20:21], v[18:19], -v[22:23]
	v_add_f64 v[8:9], v[12:13], -v[8:9]
	v_cndmask_b32_e64 v25, 0, 0x40100000, vcc_lo
	s_delay_alu instid0(VALU_DEP_3) | instskip(SKIP_1) | instid1(VALU_DEP_3)
	v_add_f64 v[29:30], v[18:19], -v[20:21]
	v_add_f64 v[6:7], v[6:7], -v[20:21]
	v_add_f64 v[10:11], v[10:11], v[24:25]
	v_add_f64 v[25:26], v[12:13], -v[18:19]
	s_delay_alu instid0(VALU_DEP_4) | instskip(NEXT) | instid1(VALU_DEP_3)
	v_add_f64 v[20:21], v[22:23], -v[29:30]
	v_add_f64 v[27:28], v[14:15], v[10:11]
	s_delay_alu instid0(VALU_DEP_3) | instskip(SKIP_1) | instid1(VALU_DEP_4)
	v_add_f64 v[31:32], v[12:13], -v[25:26]
	v_add_f64 v[4:5], v[4:5], -v[25:26]
	v_add_f64 v[6:7], v[6:7], v[20:21]
	s_delay_alu instid0(VALU_DEP_4) | instskip(NEXT) | instid1(VALU_DEP_4)
	v_cvt_i32_f64_e32 v27, v[27:28]
	v_add_f64 v[18:19], v[18:19], -v[31:32]
	s_delay_alu instid0(VALU_DEP_2) | instskip(NEXT) | instid1(VALU_DEP_2)
	v_cvt_f64_i32_e32 v[25:26], v27
	v_add_f64 v[4:5], v[4:5], v[18:19]
	s_delay_alu instid0(VALU_DEP_2) | instskip(NEXT) | instid1(VALU_DEP_2)
	v_add_f64 v[10:11], v[10:11], -v[25:26]
	v_add_f64 v[4:5], v[6:7], v[4:5]
	s_delay_alu instid0(VALU_DEP_2) | instskip(NEXT) | instid1(VALU_DEP_2)
	v_add_f64 v[6:7], v[14:15], v[10:11]
	v_add_f64 v[2:3], v[2:3], v[4:5]
	s_delay_alu instid0(VALU_DEP_2) | instskip(SKIP_1) | instid1(VALU_DEP_3)
	v_add_f64 v[4:5], v[6:7], -v[10:11]
	v_cmp_le_f64_e32 vcc_lo, 0.5, v[6:7]
	v_add_f64 v[2:3], v[8:9], v[2:3]
	s_delay_alu instid0(VALU_DEP_3) | instskip(SKIP_2) | instid1(VALU_DEP_3)
	v_add_f64 v[4:5], v[14:15], -v[4:5]
	v_cndmask_b32_e64 v25, 0, 0x3ff00000, vcc_lo
	v_add_co_ci_u32_e64 v10, s0, 0, v27, vcc_lo
	v_add_f64 v[2:3], v[2:3], v[4:5]
	s_delay_alu instid0(VALU_DEP_3) | instskip(NEXT) | instid1(VALU_DEP_1)
	v_add_f64 v[4:5], v[6:7], -v[24:25]
	v_add_f64 v[6:7], v[4:5], v[2:3]
	s_delay_alu instid0(VALU_DEP_1) | instskip(SKIP_1) | instid1(VALU_DEP_2)
	v_mul_f64 v[8:9], v[6:7], s[4:5]
	v_add_f64 v[4:5], v[6:7], -v[4:5]
	v_fma_f64 v[11:12], v[6:7], s[4:5], -v[8:9]
	s_delay_alu instid0(VALU_DEP_2) | instskip(NEXT) | instid1(VALU_DEP_2)
	v_add_f64 v[2:3], v[2:3], -v[4:5]
	v_fma_f64 v[4:5], v[6:7], s[6:7], v[11:12]
	s_delay_alu instid0(VALU_DEP_1) | instskip(NEXT) | instid1(VALU_DEP_1)
	v_fma_f64 v[4:5], v[2:3], s[4:5], v[4:5]
	v_add_f64 v[2:3], v[8:9], v[4:5]
	s_delay_alu instid0(VALU_DEP_1) | instskip(NEXT) | instid1(VALU_DEP_1)
	v_add_f64 v[6:7], v[2:3], -v[8:9]
	v_add_f64 v[4:5], v[4:5], -v[6:7]
	s_and_not1_saveexec_b32 s0, s2
	s_cbranch_execz .LBB9_125
	s_branch .LBB9_124
.LBB9_93:
	s_and_not1_saveexec_b32 s5, s5
	s_cbranch_execz .LBB9_37
.LBB9_94:
	s_mov_b32 s0, s4
                                        ; implicit-def: $vgpr41_vgpr42
	s_mov_b32 s1, exec_lo
	v_cmpx_lt_i16_e32 22, v2
	s_xor_b32 s3, exec_lo, s1
	s_cbranch_execz .LBB9_112
; %bb.95:
                                        ; implicit-def: $vgpr41_vgpr42
	s_mov_b32 s0, exec_lo
	v_cmpx_lt_i16_e32 23, v2
	s_xor_b32 s7, exec_lo, s0
	s_cbranch_execz .LBB9_109
; %bb.96:
	;; [unrolled: 6-line block ×3, first 2 shown]
	flat_load_u8 v2, v[0:1]
	s_mov_b32 s9, 0
	s_mov_b32 s10, exec_lo
                                        ; implicit-def: $sgpr0_sgpr1
	s_waitcnt vmcnt(0) lgkmcnt(0)
	v_cmpx_lt_i16_e32 0x7f, v2
	s_xor_b32 s10, exec_lo, s10
	s_cbranch_execz .LBB9_101
; %bb.98:
	s_mov_b32 s11, -1
	s_mov_b32 s9, exec_lo
                                        ; implicit-def: $sgpr0_sgpr1
	v_cmpx_eq_u16_e32 0x80, v2
; %bb.99:
	s_mov_b32 s1, 0x7ff80000
	s_brev_b32 s0, 4
	s_xor_b32 s11, exec_lo, -1
; %bb.100:
	s_or_b32 exec_lo, exec_lo, s9
	s_delay_alu instid0(SALU_CYCLE_1)
	s_and_b32 s9, s11, exec_lo
.LBB9_101:
	s_or_saveexec_b32 s10, s10
	v_dual_mov_b32 v42, s1 :: v_dual_mov_b32 v41, s0
	s_xor_b32 exec_lo, exec_lo, s10
; %bb.102:
	v_cmp_ne_u16_e32 vcc_lo, 0, v2
	v_mov_b32_e32 v41, 0
	v_mov_b32_e32 v42, 0
	s_and_not1_b32 s0, s9, exec_lo
	s_and_b32 s1, vcc_lo, exec_lo
	s_delay_alu instid0(SALU_CYCLE_1)
	s_or_b32 s9, s0, s1
; %bb.103:
	s_or_b32 exec_lo, exec_lo, s10
	s_and_saveexec_b32 s0, s9
	s_cbranch_execz .LBB9_105
; %bb.104:
	v_and_b32_e32 v3, 0xffff, v2
	v_lshlrev_b32_e32 v2, 24, v2
	s_delay_alu instid0(VALU_DEP_2) | instskip(NEXT) | instid1(VALU_DEP_2)
	v_and_b32_e32 v4, 3, v3
	v_and_b32_e32 v2, 0x80000000, v2
	s_delay_alu instid0(VALU_DEP_2) | instskip(NEXT) | instid1(VALU_DEP_1)
	v_clz_i32_u32_e32 v5, v4
	v_min_u32_e32 v5, 32, v5
	s_delay_alu instid0(VALU_DEP_1) | instskip(SKIP_1) | instid1(VALU_DEP_2)
	v_subrev_nc_u32_e32 v6, 29, v5
	v_sub_nc_u32_e32 v5, 30, v5
	v_lshlrev_b32_e32 v6, v6, v3
	v_bfe_u32 v3, v3, 2, 5
	s_delay_alu instid0(VALU_DEP_2) | instskip(NEXT) | instid1(VALU_DEP_2)
	v_and_b32_e32 v6, 3, v6
	v_cmp_eq_u32_e32 vcc_lo, 0, v3
	s_delay_alu instid0(VALU_DEP_2) | instskip(NEXT) | instid1(VALU_DEP_1)
	v_dual_cndmask_b32 v3, v3, v5 :: v_dual_cndmask_b32 v4, v4, v6
	v_lshl_add_u32 v3, v3, 23, 0x37800000
	s_delay_alu instid0(VALU_DEP_2) | instskip(NEXT) | instid1(VALU_DEP_1)
	v_lshlrev_b32_e32 v4, 21, v4
	v_or3_b32 v2, v2, v3, v4
	s_delay_alu instid0(VALU_DEP_1)
	v_cvt_f64_f32_e32 v[41:42], v2
.LBB9_105:
	s_or_b32 exec_lo, exec_lo, s0
.LBB9_106:
	s_and_not1_saveexec_b32 s0, s8
	s_cbranch_execz .LBB9_108
; %bb.107:
	flat_load_u8 v2, v[0:1]
	s_waitcnt vmcnt(0) lgkmcnt(0)
	v_lshlrev_b32_e32 v2, 24, v2
	s_delay_alu instid0(VALU_DEP_1) | instskip(NEXT) | instid1(VALU_DEP_1)
	v_and_b32_e32 v3, 0x7f000000, v2
	v_clz_i32_u32_e32 v4, v3
	v_add_nc_u32_e32 v6, 0x1000000, v3
	v_cmp_ne_u32_e32 vcc_lo, 0, v3
	s_delay_alu instid0(VALU_DEP_3) | instskip(NEXT) | instid1(VALU_DEP_1)
	v_min_u32_e32 v4, 32, v4
	v_sub_nc_u32_e64 v4, v4, 4 clamp
	s_delay_alu instid0(VALU_DEP_1) | instskip(SKIP_1) | instid1(VALU_DEP_2)
	v_lshlrev_b32_e32 v5, v4, v3
	v_lshlrev_b32_e32 v4, 23, v4
	v_lshrrev_b32_e32 v5, 4, v5
	s_delay_alu instid0(VALU_DEP_1) | instskip(SKIP_1) | instid1(VALU_DEP_2)
	v_sub_nc_u32_e32 v4, v5, v4
	v_ashrrev_i32_e32 v5, 8, v6
	v_add_nc_u32_e32 v4, 0x3c000000, v4
	s_delay_alu instid0(VALU_DEP_1) | instskip(NEXT) | instid1(VALU_DEP_1)
	v_and_or_b32 v4, 0x7f800000, v5, v4
	v_cndmask_b32_e32 v3, 0, v4, vcc_lo
	s_delay_alu instid0(VALU_DEP_1) | instskip(NEXT) | instid1(VALU_DEP_1)
	v_and_or_b32 v2, 0x80000000, v2, v3
	v_cvt_f64_f32_e32 v[41:42], v2
.LBB9_108:
	s_or_b32 exec_lo, exec_lo, s0
.LBB9_109:
	s_and_not1_saveexec_b32 s0, s7
	s_cbranch_execz .LBB9_111
; %bb.110:
	flat_load_u8 v2, v[0:1]
	s_waitcnt vmcnt(0) lgkmcnt(0)
	v_lshlrev_b32_e32 v3, 25, v2
	v_lshlrev_b16 v2, 8, v2
	s_delay_alu instid0(VALU_DEP_2) | instskip(NEXT) | instid1(VALU_DEP_2)
	v_lshrrev_b32_e32 v4, 4, v3
	v_and_or_b32 v5, 0x7f00, v2, 0.5
	v_bfe_i32 v2, v2, 0, 16
	s_delay_alu instid0(VALU_DEP_3) | instskip(NEXT) | instid1(VALU_DEP_1)
	v_or_b32_e32 v4, 0x70000000, v4
	v_dual_add_f32 v5, -0.5, v5 :: v_dual_mul_f32 v4, 0x7800000, v4
	v_cmp_gt_u32_e32 vcc_lo, 0x8000000, v3
	s_delay_alu instid0(VALU_DEP_2) | instskip(NEXT) | instid1(VALU_DEP_1)
	v_cndmask_b32_e32 v3, v4, v5, vcc_lo
	v_and_or_b32 v2, 0x80000000, v2, v3
	s_delay_alu instid0(VALU_DEP_1)
	v_cvt_f64_f32_e32 v[41:42], v2
.LBB9_111:
	s_or_b32 exec_lo, exec_lo, s0
	s_delay_alu instid0(SALU_CYCLE_1)
	s_or_b32 s0, s4, exec_lo
                                        ; implicit-def: $vgpr2
.LBB9_112:
	s_or_saveexec_b32 s1, s3
	s_mov_b32 s3, 0
	s_mov_b32 s7, s6
	s_xor_b32 exec_lo, exec_lo, s1
	s_cbranch_execz .LBB9_120
; %bb.113:
	s_mov_b32 s3, s6
	s_mov_b32 s7, s0
	s_mov_b32 s8, exec_lo
                                        ; implicit-def: $vgpr41_vgpr42
	v_cmpx_lt_i16_e32 14, v2
	s_xor_b32 s8, exec_lo, s8
	s_cbranch_execz .LBB9_117
; %bb.114:
	s_mov_b32 s3, -1
	s_mov_b32 s7, s0
	s_mov_b32 s9, exec_lo
                                        ; implicit-def: $vgpr41_vgpr42
	v_cmpx_eq_u16_e32 15, v2
	s_cbranch_execz .LBB9_116
; %bb.115:
	flat_load_u16 v2, v[0:1]
	s_or_b32 s7, s0, exec_lo
	s_xor_b32 s3, exec_lo, -1
	s_waitcnt vmcnt(0) lgkmcnt(0)
	v_lshlrev_b32_e32 v2, 16, v2
	s_delay_alu instid0(VALU_DEP_1)
	v_cvt_f64_f32_e32 v[41:42], v2
.LBB9_116:
	s_or_b32 exec_lo, exec_lo, s9
	s_delay_alu instid0(SALU_CYCLE_1)
	s_and_not1_b32 s9, s0, exec_lo
	s_and_b32 s7, s7, exec_lo
	s_and_not1_b32 s10, s6, exec_lo
	s_and_b32 s3, s3, exec_lo
	s_or_b32 s7, s9, s7
	s_or_b32 s3, s10, s3
                                        ; implicit-def: $vgpr2
.LBB9_117:
	s_or_saveexec_b32 s8, s8
	s_mov_b32 s9, 0
	s_xor_b32 exec_lo, exec_lo, s8
; %bb.118:
	v_cmp_ne_u16_e32 vcc_lo, 11, v2
	s_and_not1_b32 s3, s3, exec_lo
	s_mov_b32 s9, exec_lo
                                        ; implicit-def: $vgpr41_vgpr42
	s_and_b32 s10, vcc_lo, exec_lo
	s_delay_alu instid0(SALU_CYCLE_1)
	s_or_b32 s3, s3, s10
; %bb.119:
	s_or_b32 exec_lo, exec_lo, s8
	s_delay_alu instid0(SALU_CYCLE_1)
	s_and_not1_b32 s0, s0, exec_lo
	s_and_b32 s7, s7, exec_lo
	s_and_b32 s8, s3, exec_lo
	s_or_b32 s0, s0, s7
	s_and_not1_b32 s7, s6, exec_lo
	s_and_b32 s3, s9, exec_lo
	s_or_b32 s7, s7, s8
.LBB9_120:
	s_or_b32 exec_lo, exec_lo, s1
	s_delay_alu instid0(SALU_CYCLE_1)
	s_and_not1_b32 s1, s4, exec_lo
	s_and_b32 s0, s0, exec_lo
	s_and_b32 s3, s3, exec_lo
	s_or_b32 s4, s1, s0
	s_and_not1_b32 s0, s6, exec_lo
	s_and_b32 s1, s7, exec_lo
	s_delay_alu instid0(SALU_CYCLE_1)
	s_or_b32 s6, s0, s1
	s_or_b32 exec_lo, exec_lo, s5
	s_and_saveexec_b32 s0, s6
	s_cbranch_execz .LBB9_38
.LBB9_121:
	s_cbranch_execnz .LBB9_132
; %bb.122:
	; divergent unreachable
	s_and_not1_b32 s3, s3, exec_lo
                                        ; implicit-def: $vgpr41_vgpr42
	s_or_b32 exec_lo, exec_lo, s0
	s_and_saveexec_b32 s0, s3
	s_delay_alu instid0(SALU_CYCLE_1)
	s_xor_b32 s0, exec_lo, s0
	s_cbranch_execnz .LBB9_39
	s_branch .LBB9_40
.LBB9_123:
	s_and_not1_saveexec_b32 s0, s2
	s_cbranch_execz .LBB9_125
.LBB9_124:
	s_mov_b32 s4, 0x6dc9c883
	s_mov_b32 s5, 0x3fe45f30
	;; [unrolled: 1-line block ×3, first 2 shown]
	v_mul_f64 v[2:3], |v[0:1]|, s[4:5]
	s_mov_b32 s4, 0x54442d18
	s_mov_b32 s5, 0xbff921fb
	;; [unrolled: 1-line block ×3, first 2 shown]
	s_delay_alu instid0(VALU_DEP_1) | instskip(NEXT) | instid1(VALU_DEP_1)
	v_rndne_f64_e32 v[6:7], v[2:3]
	v_fma_f64 v[2:3], v[6:7], s[4:5], |v[0:1]|
	v_mul_f64 v[4:5], v[6:7], s[6:7]
	s_mov_b32 s4, 0x252049c0
	s_mov_b32 s5, 0xb97b839a
	s_delay_alu instid0(VALU_DEP_2) | instskip(NEXT) | instid1(VALU_DEP_2)
	v_fma_f64 v[10:11], v[6:7], s[6:7], v[2:3]
	v_add_f64 v[8:9], v[2:3], v[4:5]
	s_mov_b32 s7, 0x3c91a626
	s_delay_alu instid0(VALU_DEP_1) | instskip(NEXT) | instid1(VALU_DEP_3)
	v_add_f64 v[2:3], v[2:3], -v[8:9]
	v_add_f64 v[8:9], v[8:9], -v[10:11]
	s_delay_alu instid0(VALU_DEP_2) | instskip(SKIP_1) | instid1(VALU_DEP_2)
	v_add_f64 v[2:3], v[2:3], v[4:5]
	v_fma_f64 v[4:5], v[6:7], s[6:7], v[4:5]
	v_add_f64 v[2:3], v[8:9], v[2:3]
	s_delay_alu instid0(VALU_DEP_1) | instskip(NEXT) | instid1(VALU_DEP_1)
	v_add_f64 v[2:3], v[2:3], -v[4:5]
	v_fma_f64 v[4:5], v[6:7], s[4:5], v[2:3]
	s_delay_alu instid0(VALU_DEP_1) | instskip(NEXT) | instid1(VALU_DEP_1)
	v_add_f64 v[2:3], v[10:11], v[4:5]
	v_add_f64 v[8:9], v[2:3], -v[10:11]
	v_cvt_i32_f64_e32 v10, v[6:7]
	s_delay_alu instid0(VALU_DEP_2)
	v_add_f64 v[4:5], v[4:5], -v[8:9]
.LBB9_125:
	s_or_b32 exec_lo, exec_lo, s0
                                        ; implicit-def: $vgpr11
                                        ; implicit-def: $vgpr6_vgpr7
                                        ; implicit-def: $vgpr8_vgpr9
	s_and_saveexec_b32 s0, s1
	s_delay_alu instid0(SALU_CYCLE_1)
	s_xor_b32 s1, exec_lo, s0
	s_cbranch_execz .LBB9_127
; %bb.126:
	v_ldexp_f64 v[6:7], |v[0:1]|, 0xffffff80
	v_cmp_le_f64_e64 vcc_lo, 0x7b000000, |v[0:1]|
	v_trig_preop_f64 v[8:9], |v[0:1]|, 0
	v_and_b32_e32 v11, 0x7fffffff, v1
	v_trig_preop_f64 v[21:22], |v[0:1]|, 2
	v_mov_b32_e32 v29, 0
	s_mov_b32 s4, 0x54442d18
	s_mov_b32 s5, 0x3ff921fb
	;; [unrolled: 1-line block ×4, first 2 shown]
	v_dual_cndmask_b32 v6, v0, v6 :: v_dual_cndmask_b32 v7, v11, v7
	v_trig_preop_f64 v[11:12], |v[0:1]|, 1
	s_delay_alu instid0(VALU_DEP_2) | instskip(NEXT) | instid1(VALU_DEP_2)
	v_mul_f64 v[13:14], v[8:9], v[6:7]
	v_mul_f64 v[15:16], v[11:12], v[6:7]
	s_delay_alu instid0(VALU_DEP_2) | instskip(NEXT) | instid1(VALU_DEP_2)
	v_fma_f64 v[8:9], v[8:9], v[6:7], -v[13:14]
	v_fma_f64 v[11:12], v[11:12], v[6:7], -v[15:16]
	s_delay_alu instid0(VALU_DEP_2) | instskip(NEXT) | instid1(VALU_DEP_1)
	v_add_f64 v[17:18], v[15:16], v[8:9]
	v_add_f64 v[19:20], v[17:18], -v[15:16]
	v_add_f64 v[25:26], v[13:14], v[17:18]
	s_delay_alu instid0(VALU_DEP_2) | instskip(SKIP_1) | instid1(VALU_DEP_3)
	v_add_f64 v[23:24], v[17:18], -v[19:20]
	v_add_f64 v[8:9], v[8:9], -v[19:20]
	v_ldexp_f64 v[19:20], v[25:26], -2
	v_add_f64 v[13:14], v[25:26], -v[13:14]
	s_delay_alu instid0(VALU_DEP_4) | instskip(NEXT) | instid1(VALU_DEP_3)
	v_add_f64 v[15:16], v[15:16], -v[23:24]
	v_cmp_neq_f64_e64 vcc_lo, 0x7ff00000, |v[19:20]|
	s_delay_alu instid0(VALU_DEP_3) | instskip(NEXT) | instid1(VALU_DEP_3)
	v_add_f64 v[13:14], v[17:18], -v[13:14]
	v_add_f64 v[8:9], v[8:9], v[15:16]
	v_fract_f64_e32 v[15:16], v[19:20]
	s_delay_alu instid0(VALU_DEP_1) | instskip(SKIP_1) | instid1(VALU_DEP_3)
	v_cndmask_b32_e32 v16, 0, v16, vcc_lo
	v_mul_f64 v[27:28], v[21:22], v[6:7]
	v_cndmask_b32_e32 v15, 0, v15, vcc_lo
	s_delay_alu instid0(VALU_DEP_1) | instskip(NEXT) | instid1(VALU_DEP_3)
	v_ldexp_f64 v[15:16], v[15:16], 2
	v_add_f64 v[23:24], v[27:28], v[11:12]
	v_fma_f64 v[6:7], v[21:22], v[6:7], -v[27:28]
	s_delay_alu instid0(VALU_DEP_2) | instskip(NEXT) | instid1(VALU_DEP_1)
	v_add_f64 v[17:18], v[23:24], v[8:9]
	v_add_f64 v[19:20], v[13:14], v[17:18]
	s_delay_alu instid0(VALU_DEP_1) | instskip(SKIP_1) | instid1(VALU_DEP_2)
	v_add_f64 v[25:26], v[19:20], v[15:16]
	v_add_f64 v[13:14], v[19:20], -v[13:14]
	v_cmp_gt_f64_e32 vcc_lo, 0, v[25:26]
	v_add_f64 v[25:26], v[23:24], -v[27:28]
	v_cndmask_b32_e64 v30, 0, 0x40100000, vcc_lo
	s_delay_alu instid0(VALU_DEP_2) | instskip(SKIP_1) | instid1(VALU_DEP_3)
	v_add_f64 v[34:35], v[23:24], -v[25:26]
	v_add_f64 v[11:12], v[11:12], -v[25:26]
	v_add_f64 v[15:16], v[15:16], v[29:30]
	v_add_f64 v[30:31], v[17:18], -v[23:24]
	s_delay_alu instid0(VALU_DEP_4) | instskip(NEXT) | instid1(VALU_DEP_3)
	v_add_f64 v[25:26], v[27:28], -v[34:35]
	v_add_f64 v[32:33], v[19:20], v[15:16]
	s_delay_alu instid0(VALU_DEP_3) | instskip(SKIP_1) | instid1(VALU_DEP_4)
	v_add_f64 v[36:37], v[17:18], -v[30:31]
	v_add_f64 v[8:9], v[8:9], -v[30:31]
	v_add_f64 v[11:12], v[11:12], v[25:26]
	s_delay_alu instid0(VALU_DEP_4) | instskip(NEXT) | instid1(VALU_DEP_4)
	v_cvt_i32_f64_e32 v32, v[32:33]
	v_add_f64 v[23:24], v[23:24], -v[36:37]
	s_delay_alu instid0(VALU_DEP_2) | instskip(NEXT) | instid1(VALU_DEP_2)
	v_cvt_f64_i32_e32 v[30:31], v32
	v_add_f64 v[8:9], v[8:9], v[23:24]
	s_delay_alu instid0(VALU_DEP_2) | instskip(NEXT) | instid1(VALU_DEP_2)
	v_add_f64 v[15:16], v[15:16], -v[30:31]
	v_add_f64 v[8:9], v[11:12], v[8:9]
	v_add_f64 v[11:12], v[17:18], -v[13:14]
	s_delay_alu instid0(VALU_DEP_3) | instskip(NEXT) | instid1(VALU_DEP_3)
	v_add_f64 v[21:22], v[19:20], v[15:16]
	v_add_f64 v[6:7], v[6:7], v[8:9]
	s_delay_alu instid0(VALU_DEP_2) | instskip(SKIP_1) | instid1(VALU_DEP_3)
	v_add_f64 v[8:9], v[21:22], -v[15:16]
	v_cmp_le_f64_e32 vcc_lo, 0.5, v[21:22]
	v_add_f64 v[6:7], v[11:12], v[6:7]
	s_delay_alu instid0(VALU_DEP_3) | instskip(SKIP_2) | instid1(VALU_DEP_3)
	v_add_f64 v[8:9], v[19:20], -v[8:9]
	v_cndmask_b32_e64 v30, 0, 0x3ff00000, vcc_lo
	v_add_co_ci_u32_e64 v11, s0, 0, v32, vcc_lo
	v_add_f64 v[6:7], v[6:7], v[8:9]
	s_delay_alu instid0(VALU_DEP_3) | instskip(NEXT) | instid1(VALU_DEP_1)
	v_add_f64 v[8:9], v[21:22], -v[29:30]
	v_add_f64 v[12:13], v[8:9], v[6:7]
	s_delay_alu instid0(VALU_DEP_1) | instskip(SKIP_1) | instid1(VALU_DEP_2)
	v_mul_f64 v[14:15], v[12:13], s[4:5]
	v_add_f64 v[8:9], v[12:13], -v[8:9]
	v_fma_f64 v[16:17], v[12:13], s[4:5], -v[14:15]
	s_delay_alu instid0(VALU_DEP_2) | instskip(NEXT) | instid1(VALU_DEP_2)
	v_add_f64 v[6:7], v[6:7], -v[8:9]
	v_fma_f64 v[8:9], v[12:13], s[6:7], v[16:17]
	s_delay_alu instid0(VALU_DEP_1) | instskip(NEXT) | instid1(VALU_DEP_1)
	v_fma_f64 v[8:9], v[6:7], s[4:5], v[8:9]
	v_add_f64 v[6:7], v[14:15], v[8:9]
	s_delay_alu instid0(VALU_DEP_1) | instskip(NEXT) | instid1(VALU_DEP_1)
	v_add_f64 v[12:13], v[6:7], -v[14:15]
	v_add_f64 v[8:9], v[8:9], -v[12:13]
	s_and_not1_saveexec_b32 s0, s1
	s_cbranch_execnz .LBB9_128
	s_branch .LBB9_129
.LBB9_127:
	s_and_not1_saveexec_b32 s0, s1
	s_cbranch_execz .LBB9_129
.LBB9_128:
	s_mov_b32 s4, 0x6dc9c883
	s_mov_b32 s5, 0x3fe45f30
	;; [unrolled: 1-line block ×3, first 2 shown]
	v_mul_f64 v[6:7], |v[0:1]|, s[4:5]
	s_mov_b32 s4, 0x54442d18
	s_mov_b32 s5, 0xbff921fb
	;; [unrolled: 1-line block ×3, first 2 shown]
	s_delay_alu instid0(VALU_DEP_1) | instskip(NEXT) | instid1(VALU_DEP_1)
	v_rndne_f64_e32 v[11:12], v[6:7]
	v_fma_f64 v[6:7], v[11:12], s[4:5], |v[0:1]|
	v_mul_f64 v[8:9], v[11:12], s[6:7]
	s_mov_b32 s4, 0x252049c0
	s_mov_b32 s5, 0xb97b839a
	s_delay_alu instid0(VALU_DEP_2) | instskip(NEXT) | instid1(VALU_DEP_2)
	v_fma_f64 v[15:16], v[11:12], s[6:7], v[6:7]
	v_add_f64 v[13:14], v[6:7], v[8:9]
	s_mov_b32 s7, 0x3c91a626
	s_delay_alu instid0(VALU_DEP_1) | instskip(NEXT) | instid1(VALU_DEP_3)
	v_add_f64 v[6:7], v[6:7], -v[13:14]
	v_add_f64 v[13:14], v[13:14], -v[15:16]
	s_delay_alu instid0(VALU_DEP_2) | instskip(SKIP_1) | instid1(VALU_DEP_2)
	v_add_f64 v[6:7], v[6:7], v[8:9]
	v_fma_f64 v[8:9], v[11:12], s[6:7], v[8:9]
	v_add_f64 v[6:7], v[13:14], v[6:7]
	s_delay_alu instid0(VALU_DEP_1) | instskip(NEXT) | instid1(VALU_DEP_1)
	v_add_f64 v[6:7], v[6:7], -v[8:9]
	v_fma_f64 v[8:9], v[11:12], s[4:5], v[6:7]
	v_cvt_i32_f64_e32 v11, v[11:12]
	s_delay_alu instid0(VALU_DEP_2) | instskip(NEXT) | instid1(VALU_DEP_1)
	v_add_f64 v[6:7], v[15:16], v[8:9]
	v_add_f64 v[13:14], v[6:7], -v[15:16]
	s_delay_alu instid0(VALU_DEP_1)
	v_add_f64 v[8:9], v[8:9], -v[13:14]
.LBB9_129:
	s_or_b32 exec_lo, exec_lo, s0
	v_div_scale_f64 v[12:13], null, v[41:42], v[41:42], 0x40140000
	v_div_scale_f64 v[18:19], vcc_lo, 0x40140000, v[41:42], 0x40140000
	s_mov_b32 s0, 0x6b70ba40
	s_mov_b32 s1, 0x3faa27fa
	;; [unrolled: 1-line block ×6, first 2 shown]
	v_mul_f64 v[26:27], v[2:3], v[2:3]
	v_mul_f64 v[32:33], v[6:7], v[6:7]
	s_mov_b32 s8, 0x796cde01
	s_mov_b32 s9, 0x3ec71de3
	v_mul_f64 v[82:83], v[4:5], 0.5
	v_rcp_f64_e32 v[14:15], v[12:13]
	s_delay_alu instid0(VALU_DEP_3) | instskip(SKIP_1) | instid1(VALU_DEP_4)
	v_mul_f64 v[52:53], v[26:27], 0.5
	v_mul_f64 v[84:85], v[2:3], -v[26:27]
	v_mul_f64 v[98:99], v[6:7], -v[32:33]
	s_waitcnt_depctr 0xfff
	v_fma_f64 v[16:17], -v[12:13], v[14:15], 1.0
	v_add_f64 v[64:65], -v[52:53], 1.0
	s_delay_alu instid0(VALU_DEP_2) | instskip(NEXT) | instid1(VALU_DEP_2)
	v_fma_f64 v[14:15], v[14:15], v[16:17], v[14:15]
	v_add_f64 v[86:87], -v[64:65], 1.0
	s_delay_alu instid0(VALU_DEP_2) | instskip(NEXT) | instid1(VALU_DEP_2)
	v_fma_f64 v[16:17], -v[12:13], v[14:15], 1.0
	v_add_f64 v[52:53], v[86:87], -v[52:53]
	s_delay_alu instid0(VALU_DEP_2) | instskip(NEXT) | instid1(VALU_DEP_2)
	v_fma_f64 v[14:15], v[14:15], v[16:17], v[14:15]
	v_fma_f64 v[52:53], v[2:3], -v[4:5], v[52:53]
	s_delay_alu instid0(VALU_DEP_2) | instskip(NEXT) | instid1(VALU_DEP_1)
	v_mul_f64 v[16:17], v[18:19], v[14:15]
	v_fma_f64 v[12:13], -v[12:13], v[16:17], v[18:19]
	s_delay_alu instid0(VALU_DEP_1) | instskip(NEXT) | instid1(VALU_DEP_1)
	v_div_fmas_f64 v[12:13], v[12:13], v[14:15], v[16:17]
	v_div_fixup_f64 v[12:13], v[12:13], v[41:42], 0x40140000
	s_delay_alu instid0(VALU_DEP_1) | instskip(NEXT) | instid1(VALU_DEP_1)
	v_mul_f64 v[14:15], v[12:13], v[12:13]
	v_fma_f64 v[16:17], v[14:15], 0, s[0:1]
	s_mov_b32 s0, 0x4c6c651b
	s_mov_b32 s1, 0x3f48f92c
	v_fma_f64 v[18:19], v[14:15], 0, s[4:5]
	v_fma_f64 v[20:21], v[14:15], 0, s[0:1]
	s_mov_b32 s0, 0xc66d8fd6
	s_mov_b32 s1, 0x4013edb5
	v_fma_f64 v[22:23], v[14:15], 0, s[6:7]
	s_mov_b32 s4, 0x5948aa83
	s_mov_b32 s5, 0x3fb19fdd
	s_mov_b32 s6, 0xa20e5f6f
	s_mov_b32 s7, 0x409081cb
	s_delay_alu instid0(VALU_DEP_4) | instskip(SKIP_2) | instid1(VALU_DEP_4)
	v_fma_f64 v[16:17], v[14:15], v[16:17], s[0:1]
	s_mov_b32 s0, 0xa3fec4b6
	s_mov_b32 s1, 0x3fb2b948
	v_fma_f64 v[18:19], v[14:15], v[18:19], s[4:5]
	s_delay_alu instid0(VALU_DEP_4) | instskip(SKIP_2) | instid1(VALU_DEP_4)
	v_fma_f64 v[20:21], v[14:15], v[20:21], s[0:1]
	s_mov_b32 s0, 0x9acf1c67
	s_mov_b32 s1, 0x4052f4b9
	v_fma_f64 v[22:23], v[14:15], v[22:23], s[6:7]
	s_mov_b32 s4, 0xb850eed6
	s_mov_b32 s5, 0x3ff1aea9
	s_mov_b32 s6, 0x1bfdfe81
	s_mov_b32 s7, 0x40b37a69
	s_delay_alu instid0(VALU_DEP_4) | instskip(SKIP_2) | instid1(VALU_DEP_4)
	v_fma_f64 v[16:17], v[14:15], v[16:17], s[0:1]
	s_mov_b32 s0, 0xc21596d6
	s_mov_b32 s1, 0x3ff208fe
	v_fma_f64 v[18:19], v[14:15], v[18:19], s[4:5]
	s_delay_alu instid0(VALU_DEP_4) | instskip(SKIP_2) | instid1(VALU_DEP_4)
	;; [unrolled: 14-line block ×5, first 2 shown]
	v_fma_f64 v[20:21], v[14:15], v[20:21], s[0:1]
	s_mov_b32 s0, 0x4c54bb0b
	s_mov_b32 s1, 0x406a760a
	v_fma_f64 v[22:23], v[14:15], v[22:23], s[6:7]
	s_mov_b32 s4, 0x4d159eb5
	s_mov_b32 s5, 0x403934ff
	;; [unrolled: 1-line block ×4, first 2 shown]
	s_delay_alu instid0(VALU_DEP_4) | instskip(SKIP_2) | instid1(VALU_DEP_4)
	v_fma_f64 v[16:17], v[14:15], v[16:17], s[0:1]
	s_mov_b32 s0, 0x6ae75997
	s_mov_b32 s1, 0x4075017f
	v_fma_f64 v[18:19], v[14:15], v[18:19], 1.0
	s_delay_alu instid0(VALU_DEP_4) | instskip(NEXT) | instid1(VALU_DEP_4)
	v_fma_f64 v[20:21], v[14:15], v[20:21], 1.0
	v_fma_f64 v[22:23], v[14:15], v[22:23], s[0:1]
	s_mov_b32 s0, 0xb42fdfa7
	s_mov_b32 s1, 0xbe5ae600
	s_delay_alu instid0(VALU_DEP_4) | instskip(SKIP_2) | instid1(VALU_DEP_3)
	v_fma_f64 v[14:15], v[14:15], v[16:17], s[4:5]
	s_mov_b32 s4, 0xf9a43bb8
	s_mov_b32 s5, 0x3de5e0b2
	v_div_scale_f64 v[16:17], null, v[18:19], v[18:19], v[20:21]
	v_fma_f64 v[34:35], v[26:27], s[4:5], s[0:1]
	v_fma_f64 v[48:49], v[32:33], s[4:5], s[0:1]
	v_cmp_gt_f64_e64 s0, 0x10000000, v[41:42]
	s_mov_b32 s4, 0x9037ab78
	s_mov_b32 s5, 0x3e21eeb6
	v_div_scale_f64 v[96:97], vcc_lo, v[20:21], v[18:19], v[20:21]
	v_fma_f64 v[50:51], v[26:27], s[6:7], s[4:5]
	v_div_scale_f64 v[24:25], null, v[22:23], v[22:23], v[14:15]
	v_rcp_f64_e32 v[28:29], v[16:17]
	v_fma_f64 v[34:35], v[26:27], v[34:35], s[8:9]
	s_delay_alu instid0(VALU_DEP_2) | instskip(SKIP_3) | instid1(VALU_DEP_2)
	v_rcp_f64_e32 v[30:31], v[24:25]
	s_waitcnt_depctr 0xfff
	v_fma_f64 v[36:37], -v[16:17], v[28:29], 1.0
	v_fma_f64 v[38:39], -v[24:25], v[30:31], 1.0
	v_fma_f64 v[28:29], v[28:29], v[36:37], v[28:29]
	v_fma_f64 v[36:37], v[32:33], v[48:49], s[8:9]
	;; [unrolled: 1-line block ×3, first 2 shown]
	s_mov_b32 s6, 0x19e83e5c
	s_mov_b32 s7, 0xbf2a01a0
	;; [unrolled: 1-line block ×3, first 2 shown]
	v_fma_f64 v[34:35], v[26:27], v[34:35], s[6:7]
	s_mov_b32 s5, 0xbe927e4f
	s_delay_alu instid0(SALU_CYCLE_1) | instskip(SKIP_4) | instid1(VALU_DEP_3)
	v_fma_f64 v[50:51], v[26:27], v[50:51], s[4:5]
	v_fma_f64 v[30:31], v[30:31], v[38:39], v[30:31]
	v_cndmask_b32_e64 v38, 0, 1, s0
	v_fma_f64 v[66:67], -v[16:17], v[28:29], 1.0
	v_fma_f64 v[36:37], v[32:33], v[36:37], s[6:7]
	v_lshlrev_b32_e32 v54, 8, v38
	v_mul_f64 v[38:39], v[32:33], 0.5
	v_fma_f64 v[48:49], v[32:33], v[48:49], s[4:5]
	s_mov_b32 s6, 0x11110bb3
	s_mov_b32 s7, 0x3f811111
	v_ldexp_f64 v[54:55], v[41:42], v54
	v_fma_f64 v[34:35], v[26:27], v[34:35], s[6:7]
	s_mov_b32 s4, 0x19f4ec90
	s_mov_b32 s5, 0x3efa01a0
	s_delay_alu instid0(SALU_CYCLE_1)
	v_fma_f64 v[50:51], v[26:27], v[50:51], s[4:5]
	v_fma_f64 v[68:69], -v[24:25], v[30:31], 1.0
	v_fma_f64 v[28:29], v[28:29], v[66:67], v[28:29]
	v_div_scale_f64 v[66:67], s1, v[14:15], v[22:23], v[14:15]
	v_add_f64 v[70:71], -v[38:39], 1.0
	v_fma_f64 v[36:37], v[32:33], v[36:37], s[6:7]
	v_fma_f64 v[48:49], v[32:33], v[48:49], s[4:5]
	s_mov_b32 s4, 0x16c16967
	v_rsq_f64_e32 v[80:81], v[54:55]
	v_fma_f64 v[34:35], v[84:85], v[34:35], v[82:83]
	s_mov_b32 s5, 0xbf56c16c
	s_delay_alu instid0(SALU_CYCLE_1)
	v_fma_f64 v[50:51], v[26:27], v[50:51], s[4:5]
	v_fma_f64 v[30:31], v[30:31], v[68:69], v[30:31]
	v_mul_f64 v[68:69], v[8:9], 0.5
	v_mul_f64 v[82:83], v[96:97], v[28:29]
	v_add_f64 v[100:101], -v[70:71], 1.0
	v_fma_f64 v[48:49], v[32:33], v[48:49], s[4:5]
	s_mov_b32 s4, 0x55555555
	s_mov_b32 s5, 0x3fa55555
	v_fma_f64 v[4:5], v[26:27], v[34:35], -v[4:5]
	s_delay_alu instid0(TRANS32_DEP_1)
	v_mul_f64 v[102:103], v[54:55], v[80:81]
	v_mul_f64 v[80:81], v[80:81], 0.5
	v_mul_f64 v[34:35], v[32:33], v[32:33]
	v_fma_f64 v[50:51], v[26:27], v[50:51], s[4:5]
	v_mul_f64 v[86:87], v[66:67], v[30:31]
	v_fma_f64 v[36:37], v[98:99], v[36:37], v[68:69]
	v_mul_f64 v[68:69], v[26:27], v[26:27]
	v_fma_f64 v[16:17], -v[16:17], v[82:83], v[96:97]
	v_add_f64 v[38:39], v[100:101], -v[38:39]
	v_fma_f64 v[100:101], -v[80:81], v[102:103], 0.5
	v_fma_f64 v[24:25], -v[24:25], v[86:87], v[66:67]
	v_fma_f64 v[26:27], v[32:33], v[36:37], -v[8:9]
	v_fma_f64 v[32:33], v[32:33], v[48:49], s[4:5]
	s_mov_b32 s5, 0xbfc55555
	v_div_fmas_f64 v[16:17], v[16:17], v[28:29], v[82:83]
	s_mov_b32 vcc_lo, s1
	v_fma_f64 v[4:5], v[84:85], s[4:5], v[4:5]
	v_fma_f64 v[8:9], v[6:7], -v[8:9], v[38:39]
	v_fma_f64 v[38:39], v[68:69], v[50:51], v[52:53]
	v_cmp_class_f64_e64 s1, v[0:1], 0x1f8
	v_and_b32_e32 v0, 1, v11
	v_lshlrev_b32_e32 v11, 30, v11
	v_fma_f64 v[36:37], v[102:103], v[100:101], v[102:103]
	v_fma_f64 v[28:29], v[80:81], v[100:101], v[80:81]
	s_delay_alu instid0(VALU_DEP_4) | instskip(NEXT) | instid1(VALU_DEP_4)
	v_cmp_eq_u32_e64 s2, 0, v0
	v_and_b32_e32 v0, 0x80000000, v11
	v_div_fmas_f64 v[24:25], v[24:25], v[30:31], v[86:87]
	v_fma_f64 v[26:27], v[98:99], s[4:5], v[26:27]
	v_add_f64 v[2:3], v[2:3], -v[4:5]
	v_fma_f64 v[8:9], v[34:35], v[32:33], v[8:9]
	v_add_f64 v[32:33], v[64:65], v[38:39]
	v_fma_f64 v[30:31], -v[36:37], v[36:37], v[54:55]
	v_div_fixup_f64 v[4:5], v[24:25], v[22:23], v[14:15]
	v_add_f64 v[6:7], v[6:7], -v[26:27]
	v_and_b32_e32 v22, 1, v10
	v_add_f64 v[8:9], v[70:71], v[8:9]
	s_delay_alu instid0(VALU_DEP_2)
	v_cmp_eq_u32_e32 vcc_lo, 0, v22
	v_cndmask_b32_e32 v2, v32, v2, vcc_lo
	v_fma_f64 v[14:15], v[30:31], v[28:29], v[36:37]
	v_mul_f64 v[4:5], v[12:13], v[4:5]
	v_xor_b32_e32 v7, 0x80000000, v7
	v_div_fixup_f64 v[11:12], v[16:17], v[18:19], v[20:21]
	v_cndmask_b32_e64 v8, v6, v8, s2
	s_delay_alu instid0(VALU_DEP_3) | instskip(NEXT) | instid1(VALU_DEP_2)
	v_cndmask_b32_e64 v6, v7, v9, s2
	v_cndmask_b32_e64 v8, 0, v8, s1
	s_delay_alu instid0(VALU_DEP_2) | instskip(SKIP_3) | instid1(VALU_DEP_4)
	v_xor_b32_e32 v9, v6, v0
	v_fma_f64 v[6:7], -v[14:15], v[14:15], v[54:55]
	v_cndmask_b32_e64 v0, 0, v2, s1
	v_lshlrev_b32_e32 v2, 30, v10
	v_cndmask_b32_e64 v9, 0x7ff80000, v9, s1
	s_delay_alu instid0(VALU_DEP_2) | instskip(SKIP_2) | instid1(VALU_DEP_3)
	v_xor_b32_e32 v1, v2, v1
	v_cndmask_b32_e32 v2, v33, v3, vcc_lo
	v_cmp_class_f64_e64 vcc_lo, v[54:55], 0x260
	v_and_b32_e32 v1, 0x80000000, v1
	s_delay_alu instid0(VALU_DEP_1) | instskip(NEXT) | instid1(VALU_DEP_1)
	v_xor_b32_e32 v1, v2, v1
	v_cndmask_b32_e64 v1, 0x7ff80000, v1, s1
	v_mul_f64 v[4:5], v[4:5], v[8:9]
	v_fma_f64 v[2:3], v[6:7], v[28:29], v[14:15]
	s_delay_alu instid0(VALU_DEP_2) | instskip(SKIP_3) | instid1(VALU_DEP_1)
	v_fma_f64 v[0:1], v[11:12], v[0:1], v[4:5]
	v_cndmask_b32_e64 v4, 0, 0xffffff80, s0
	s_mov_b32 s0, 0x33d43651
	s_mov_b32 s1, 0x3fe98845
	v_ldexp_f64 v[2:3], v[2:3], v4
	s_delay_alu instid0(VALU_DEP_3) | instskip(NEXT) | instid1(VALU_DEP_2)
	v_mul_f64 v[0:1], v[0:1], s[0:1]
	v_dual_cndmask_b32 v3, v3, v55 :: v_dual_cndmask_b32 v2, v2, v54
	s_delay_alu instid0(VALU_DEP_1) | instskip(NEXT) | instid1(VALU_DEP_1)
	v_div_scale_f64 v[4:5], null, v[2:3], v[2:3], v[0:1]
	v_rcp_f64_e32 v[6:7], v[4:5]
	s_waitcnt_depctr 0xfff
	v_fma_f64 v[8:9], -v[4:5], v[6:7], 1.0
	s_delay_alu instid0(VALU_DEP_1) | instskip(NEXT) | instid1(VALU_DEP_1)
	v_fma_f64 v[6:7], v[6:7], v[8:9], v[6:7]
	v_fma_f64 v[8:9], -v[4:5], v[6:7], 1.0
	s_delay_alu instid0(VALU_DEP_1) | instskip(SKIP_1) | instid1(VALU_DEP_1)
	v_fma_f64 v[6:7], v[6:7], v[8:9], v[6:7]
	v_div_scale_f64 v[8:9], vcc_lo, v[0:1], v[2:3], v[0:1]
	v_mul_f64 v[10:11], v[8:9], v[6:7]
	s_delay_alu instid0(VALU_DEP_1) | instskip(NEXT) | instid1(VALU_DEP_1)
	v_fma_f64 v[4:5], -v[4:5], v[10:11], v[8:9]
	v_div_fmas_f64 v[4:5], v[4:5], v[6:7], v[10:11]
	s_delay_alu instid0(VALU_DEP_1)
	v_div_fixup_f64 v[0:1], v[4:5], v[2:3], v[0:1]
.LBB9_130:
	s_or_b32 exec_lo, exec_lo, s3
.LBB9_131:
	s_delay_alu instid0(SALU_CYCLE_1)
	s_or_b32 exec_lo, exec_lo, s35
	s_clause 0x1
	scratch_load_b32 v44, off, s33
	scratch_load_b32 v43, off, s33 offset:4
	s_waitcnt lgkmcnt(0)
	s_clause 0x2
	scratch_load_b32 v42, off, s33 offset:8
	scratch_load_b32 v41, off, s33 offset:12
	;; [unrolled: 1-line block ×3, first 2 shown]
	v_readlane_b32 s30, v45, 5
	v_readlane_b32 s31, v45, 6
	;; [unrolled: 1-line block ×8, first 2 shown]
	s_or_saveexec_b32 s1, -1
	scratch_load_b32 v45, off, s33 offset:20 ; 4-byte Folded Reload
	s_mov_b32 exec_lo, s1
	s_addk_i32 s32, 0xffe0
	s_mov_b32 s33, s0
	s_waitcnt vmcnt(0)
	s_setpc_b64 s[30:31]
.LBB9_132:
	s_trap 2
	s_sendmsg_rtn_b32 s0, sendmsg(MSG_RTN_GET_DOORBELL)
	s_mov_b32 ttmp2, m0
	s_waitcnt lgkmcnt(0)
	s_and_b32 s0, s0, 0x3ff
	s_delay_alu instid0(SALU_CYCLE_1) | instskip(NEXT) | instid1(SALU_CYCLE_1)
	s_bitset1_b32 s0, 10
	s_mov_b32 m0, s0
	s_sendmsg sendmsg(MSG_INTERRUPT)
	s_mov_b32 m0, ttmp2
.LBB9_133:                              ; =>This Inner Loop Header: Depth=1
	s_sethalt 5
	s_branch .LBB9_133
.Lfunc_end9:
	.size	_ZN2at6native6invokeIZZZNS0_12_GLOBAL__N_121bessel_y1_kernel_cudaERNS_18TensorIteratorBaseEENKUlvE_clEvENKUlvE_clEvEUldE_i15function_traitsIS7_EEENT1_11result_typeERKT_PrKPcPKT0_PKN3c1010ScalarTypeEi, .Lfunc_end9-_ZN2at6native6invokeIZZZNS0_12_GLOBAL__N_121bessel_y1_kernel_cudaERNS_18TensorIteratorBaseEENKUlvE_clEvENKUlvE_clEvEUldE_i15function_traitsIS7_EEENT1_11result_typeERKT_PrKPcPKT0_PKN3c1010ScalarTypeEi
                                        ; -- End function
	.section	.AMDGPU.csdata,"",@progbits
; Function info:
; codeLenInByte = 8400
; NumSgprs: 41
; NumVgprs: 104
; ScratchSize: 48
; MemoryBound: 1
	.section	.text._ZN2at6native32elementwise_kernel_manual_unrollILi128ELi4EZNS0_15gpu_kernel_implIZZZNS0_12_GLOBAL__N_121bessel_y1_kernel_cudaERNS_18TensorIteratorBaseEENKUlvE_clEvENKUlvE_clEvEUldE_EEvS5_RKT_EUlibE_EEviT1_,"axG",@progbits,_ZN2at6native32elementwise_kernel_manual_unrollILi128ELi4EZNS0_15gpu_kernel_implIZZZNS0_12_GLOBAL__N_121bessel_y1_kernel_cudaERNS_18TensorIteratorBaseEENKUlvE_clEvENKUlvE_clEvEUldE_EEvS5_RKT_EUlibE_EEviT1_,comdat
	.globl	_ZN2at6native32elementwise_kernel_manual_unrollILi128ELi4EZNS0_15gpu_kernel_implIZZZNS0_12_GLOBAL__N_121bessel_y1_kernel_cudaERNS_18TensorIteratorBaseEENKUlvE_clEvENKUlvE_clEvEUldE_EEvS5_RKT_EUlibE_EEviT1_ ; -- Begin function _ZN2at6native32elementwise_kernel_manual_unrollILi128ELi4EZNS0_15gpu_kernel_implIZZZNS0_12_GLOBAL__N_121bessel_y1_kernel_cudaERNS_18TensorIteratorBaseEENKUlvE_clEvENKUlvE_clEvEUldE_EEvS5_RKT_EUlibE_EEviT1_
	.p2align	8
	.type	_ZN2at6native32elementwise_kernel_manual_unrollILi128ELi4EZNS0_15gpu_kernel_implIZZZNS0_12_GLOBAL__N_121bessel_y1_kernel_cudaERNS_18TensorIteratorBaseEENKUlvE_clEvENKUlvE_clEvEUldE_EEvS5_RKT_EUlibE_EEviT1_,@function
_ZN2at6native32elementwise_kernel_manual_unrollILi128ELi4EZNS0_15gpu_kernel_implIZZZNS0_12_GLOBAL__N_121bessel_y1_kernel_cudaERNS_18TensorIteratorBaseEENKUlvE_clEvENKUlvE_clEvEUldE_EEvS5_RKT_EUlibE_EEviT1_: ; @_ZN2at6native32elementwise_kernel_manual_unrollILi128ELi4EZNS0_15gpu_kernel_implIZZZNS0_12_GLOBAL__N_121bessel_y1_kernel_cudaERNS_18TensorIteratorBaseEENKUlvE_clEvENKUlvE_clEvEUldE_EEvS5_RKT_EUlibE_EEviT1_
; %bb.0:
	v_mov_b32_e32 v1, 0
	s_clause 0x2
	s_load_b32 s48, s[0:1], 0x0
	s_load_b64 s[44:45], s[0:1], 0x18
	s_load_b128 s[40:43], s[0:1], 0x8
	v_lshl_or_b32 v40, s15, 9, v0
	s_mov_b32 s39, 0
	s_mov_b32 s47, 0
	global_load_u16 v46, v1, s[0:1] offset:33
	s_mov_b32 s32, 0
	v_or_b32_e32 v42, 0x180, v40
	s_mov_b32 s0, exec_lo
	s_waitcnt vmcnt(0)
	v_lshrrev_b16 v41, 8, v46
	s_waitcnt lgkmcnt(0)
	v_cmpx_le_i32_e64 s48, v42
	s_xor_b32 s46, exec_lo, s0
	s_cbranch_execz .LBB10_175
; %bb.1:
	s_mov_b32 s0, -1
	s_mov_b32 s50, 0
	s_mov_b32 s49, exec_lo
	v_cmpx_gt_i32_e64 s48, v40
                                        ; implicit-def: $vgpr2_vgpr3
	s_cbranch_execz .LBB10_124
; %bb.2:
	v_dual_mov_b32 v0, s42 :: v_dual_mov_b32 v1, s43
	v_dual_mov_b32 v2, s45 :: v_dual_mov_b32 v3, v41
	v_mov_b32_e32 v4, v40
	s_getpc_b64 s[0:1]
	s_add_u32 s0, s0, _ZN2at6native6invokeIZZZNS0_12_GLOBAL__N_121bessel_y1_kernel_cudaERNS_18TensorIteratorBaseEENKUlvE_clEvENKUlvE_clEvEUldE_i15function_traitsIS7_EEENT1_11result_typeERKT_PrKPcPKT0_PKN3c1010ScalarTypeEi@rel32@lo+4
	s_addc_u32 s1, s1, _ZN2at6native6invokeIZZZNS0_12_GLOBAL__N_121bessel_y1_kernel_cudaERNS_18TensorIteratorBaseEENKUlvE_clEvENKUlvE_clEvEUldE_i15function_traitsIS7_EEENT1_11result_typeERKT_PrKPcPKT0_PKN3c1010ScalarTypeEi@rel32@hi+12
	s_delay_alu instid0(SALU_CYCLE_1) | instskip(SKIP_2) | instid1(VALU_DEP_1)
	s_swappc_b64 s[30:31], s[0:1]
	v_mul_lo_u32 v2, v40, s44
	v_and_b32_e32 v6, 0xff, v46
	v_cmp_gt_i16_e32 vcc_lo, 11, v6
	s_delay_alu instid0(VALU_DEP_3) | instskip(SKIP_1) | instid1(VALU_DEP_1)
	v_ashrrev_i32_e32 v3, 31, v2
	v_add_co_u32 v4, s0, s40, v2
	v_add_co_ci_u32_e64 v5, s0, s41, v3, s0
	s_cbranch_vccnz .LBB10_9
; %bb.3:
	v_cmp_lt_i16_e32 vcc_lo, 25, v6
	s_cbranch_vccz .LBB10_12
; %bb.4:
	v_cmp_lt_i16_e32 vcc_lo, 28, v6
	s_cbranch_vccz .LBB10_13
	;; [unrolled: 3-line block ×4, first 2 shown]
; %bb.7:
	v_cmp_eq_u16_e32 vcc_lo, 46, v6
	s_mov_b32 s2, 0
	s_mov_b32 s0, -1
	s_mov_b32 s1, 0
	s_cbranch_vccz .LBB10_16
; %bb.8:
	v_cvt_f32_f64_e32 v2, v[0:1]
	s_mov_b32 s1, -1
	s_mov_b32 s0, 0
	s_delay_alu instid0(VALU_DEP_1) | instskip(SKIP_1) | instid1(VALU_DEP_2)
	v_bfe_u32 v3, v2, 16, 1
	v_cmp_o_f32_e32 vcc_lo, v2, v2
	v_add3_u32 v3, v2, v3, 0x7fff
	s_delay_alu instid0(VALU_DEP_1) | instskip(NEXT) | instid1(VALU_DEP_1)
	v_lshrrev_b32_e32 v3, 16, v3
	v_cndmask_b32_e32 v2, 0x7fc0, v3, vcc_lo
	global_store_b32 v[4:5], v2, off
	s_branch .LBB10_16
.LBB10_9:
	s_mov_b32 s0, 0
	s_mov_b32 s1, 0
	s_cbranch_execnz .LBB10_84
.LBB10_10:
	s_and_not1_b32 vcc_lo, exec_lo, s1
	s_cbranch_vccnz .LBB10_122
.LBB10_11:
	v_add_nc_u32_e32 v40, 0x80, v40
	s_mov_b32 s1, -1
	s_branch .LBB10_123
.LBB10_12:
	s_mov_b32 s0, 0
	s_mov_b32 s1, 0
	s_cbranch_execnz .LBB10_43
	s_branch .LBB10_83
.LBB10_13:
	s_mov_b32 s2, -1
	s_mov_b32 s0, 0
	s_mov_b32 s1, 0
	s_branch .LBB10_26
.LBB10_14:
	s_mov_b32 s2, -1
	s_mov_b32 s0, 0
	s_mov_b32 s1, 0
	s_branch .LBB10_22
.LBB10_15:
	s_mov_b32 s2, -1
	s_mov_b32 s0, 0
	s_mov_b32 s1, 0
.LBB10_16:
	s_and_b32 vcc_lo, exec_lo, s2
	s_cbranch_vccz .LBB10_21
; %bb.17:
	v_cmp_eq_u16_e32 vcc_lo, 44, v6
	s_mov_b32 s0, -1
	s_cbranch_vccz .LBB10_21
; %bb.18:
	v_cvt_f32_f64_e32 v2, v[0:1]
	v_mov_b32_e32 v3, 0xff
	s_mov_b32 s1, exec_lo
	s_delay_alu instid0(VALU_DEP_2) | instskip(NEXT) | instid1(VALU_DEP_1)
	v_bfe_u32 v7, v2, 23, 8
	v_cmpx_ne_u32_e32 0xff, v7
; %bb.19:
	v_and_b32_e32 v3, 0x400000, v2
	v_and_or_b32 v7, 0x3fffff, v2, v7
	v_lshrrev_b32_e32 v2, 23, v2
	s_delay_alu instid0(VALU_DEP_3) | instskip(NEXT) | instid1(VALU_DEP_3)
	v_cmp_ne_u32_e32 vcc_lo, 0, v3
	v_cmp_ne_u32_e64 s0, 0, v7
	s_delay_alu instid0(VALU_DEP_1) | instskip(NEXT) | instid1(SALU_CYCLE_1)
	s_and_b32 s0, vcc_lo, s0
	v_cndmask_b32_e64 v3, 0, 1, s0
	s_delay_alu instid0(VALU_DEP_1)
	v_add_nc_u32_e32 v3, v2, v3
; %bb.20:
	s_or_b32 exec_lo, exec_lo, s1
	s_mov_b32 s1, -1
	s_mov_b32 s0, 0
	global_store_b8 v[4:5], v3, off
.LBB10_21:
	s_mov_b32 s2, 0
.LBB10_22:
	s_delay_alu instid0(SALU_CYCLE_1)
	s_and_b32 vcc_lo, exec_lo, s2
	s_cbranch_vccz .LBB10_25
; %bb.23:
	v_cmp_eq_u16_e32 vcc_lo, 29, v6
	s_mov_b32 s0, -1
	s_cbranch_vccz .LBB10_25
; %bb.24:
	v_trunc_f64_e32 v[2:3], v[0:1]
	s_mov_b32 s1, -1
	s_mov_b32 s0, 0
	s_mov_b32 s2, 0
	s_delay_alu instid0(VALU_DEP_1) | instskip(NEXT) | instid1(VALU_DEP_1)
	v_ldexp_f64 v[7:8], v[2:3], 0xffffffe0
	v_floor_f64_e32 v[7:8], v[7:8]
	s_delay_alu instid0(VALU_DEP_1) | instskip(SKIP_1) | instid1(VALU_DEP_2)
	v_fma_f64 v[2:3], 0xc1f00000, v[7:8], v[2:3]
	v_cvt_u32_f64_e32 v8, v[7:8]
	v_cvt_u32_f64_e32 v7, v[2:3]
	global_store_b64 v[4:5], v[7:8], off
	s_branch .LBB10_26
.LBB10_25:
	s_mov_b32 s2, 0
.LBB10_26:
	s_delay_alu instid0(SALU_CYCLE_1)
	s_and_b32 vcc_lo, exec_lo, s2
	s_cbranch_vccz .LBB10_42
; %bb.27:
	v_cmp_gt_i16_e32 vcc_lo, 27, v6
	s_mov_b32 s1, -1
	s_cbranch_vccnz .LBB10_33
; %bb.28:
	v_cvt_u32_f64_e32 v2, v[0:1]
	v_cmp_lt_i16_e32 vcc_lo, 27, v6
	s_cbranch_vccz .LBB10_30
; %bb.29:
	s_mov_b32 s1, 0
	global_store_b32 v[4:5], v2, off
.LBB10_30:
	s_and_not1_b32 vcc_lo, exec_lo, s1
	s_cbranch_vccnz .LBB10_32
; %bb.31:
	global_store_b16 v[4:5], v2, off
.LBB10_32:
	s_mov_b32 s1, 0
.LBB10_33:
	s_delay_alu instid0(SALU_CYCLE_1)
	s_and_not1_b32 vcc_lo, exec_lo, s1
	s_cbranch_vccnz .LBB10_41
; %bb.34:
	v_cvt_f32_f64_e32 v2, v[0:1]
	v_mov_b32_e32 v7, 0x80
	s_mov_b32 s1, exec_lo
	s_delay_alu instid0(VALU_DEP_2) | instskip(NEXT) | instid1(VALU_DEP_1)
	v_and_b32_e32 v3, 0x7fffffff, v2
	v_cmpx_gt_u32_e32 0x43800000, v3
	s_cbranch_execz .LBB10_40
; %bb.35:
	v_cmp_lt_u32_e32 vcc_lo, 0x3bffffff, v3
	s_mov_b32 s2, 0
                                        ; implicit-def: $vgpr3
	s_and_saveexec_b32 s3, vcc_lo
	s_delay_alu instid0(SALU_CYCLE_1)
	s_xor_b32 s3, exec_lo, s3
	s_cbranch_execz .LBB10_661
; %bb.36:
	v_bfe_u32 v3, v2, 20, 1
	s_mov_b32 s2, exec_lo
	s_delay_alu instid0(VALU_DEP_1) | instskip(NEXT) | instid1(VALU_DEP_1)
	v_add3_u32 v3, v2, v3, 0x487ffff
	v_lshrrev_b32_e32 v3, 20, v3
	s_or_saveexec_b32 s3, s3
                                        ; implicit-def: $sgpr4
	s_delay_alu instid0(SALU_CYCLE_1)
	s_xor_b32 exec_lo, exec_lo, s3
	s_cbranch_execnz .LBB10_662
.LBB10_37:
	s_or_b32 exec_lo, exec_lo, s3
	v_mov_b32_e32 v7, s4
	s_and_saveexec_b32 s3, s2
.LBB10_38:
	v_lshrrev_b32_e32 v2, 24, v2
	s_delay_alu instid0(VALU_DEP_1)
	v_and_or_b32 v7, 0x80, v2, v3
.LBB10_39:
	s_or_b32 exec_lo, exec_lo, s3
.LBB10_40:
	s_delay_alu instid0(SALU_CYCLE_1)
	s_or_b32 exec_lo, exec_lo, s1
	global_store_b8 v[4:5], v7, off
.LBB10_41:
	s_mov_b32 s1, -1
.LBB10_42:
	s_branch .LBB10_83
.LBB10_43:
	v_cmp_lt_i16_e32 vcc_lo, 22, v6
	s_mov_b32 s2, -1
	s_cbranch_vccz .LBB10_75
; %bb.44:
	v_cmp_gt_i16_e32 vcc_lo, 24, v6
	s_mov_b32 s1, -1
	s_cbranch_vccnz .LBB10_64
; %bb.45:
	v_cmp_lt_i16_e32 vcc_lo, 24, v6
	s_cbranch_vccz .LBB10_53
; %bb.46:
	v_cvt_f32_f64_e32 v2, v[0:1]
	v_mov_b32_e32 v7, 0x80
	s_mov_b32 s1, exec_lo
	s_delay_alu instid0(VALU_DEP_2) | instskip(NEXT) | instid1(VALU_DEP_1)
	v_and_b32_e32 v3, 0x7fffffff, v2
	v_cmpx_gt_u32_e32 0x47800000, v3
	s_cbranch_execz .LBB10_52
; %bb.47:
	v_cmp_lt_u32_e32 vcc_lo, 0x37ffffff, v3
	s_mov_b32 s2, 0
                                        ; implicit-def: $vgpr3
	s_and_saveexec_b32 s3, vcc_lo
	s_delay_alu instid0(SALU_CYCLE_1)
	s_xor_b32 s3, exec_lo, s3
	s_cbranch_execz .LBB10_672
; %bb.48:
	v_bfe_u32 v3, v2, 21, 1
	s_mov_b32 s2, exec_lo
	s_delay_alu instid0(VALU_DEP_1) | instskip(NEXT) | instid1(VALU_DEP_1)
	v_add3_u32 v3, v2, v3, 0x88fffff
	v_lshrrev_b32_e32 v3, 21, v3
	s_or_saveexec_b32 s3, s3
                                        ; implicit-def: $sgpr4
	s_delay_alu instid0(SALU_CYCLE_1)
	s_xor_b32 exec_lo, exec_lo, s3
	s_cbranch_execnz .LBB10_673
.LBB10_49:
	s_or_b32 exec_lo, exec_lo, s3
	v_mov_b32_e32 v7, s4
	s_and_saveexec_b32 s3, s2
.LBB10_50:
	v_lshrrev_b32_e32 v2, 24, v2
	s_delay_alu instid0(VALU_DEP_1)
	v_and_or_b32 v7, 0x80, v2, v3
.LBB10_51:
	s_or_b32 exec_lo, exec_lo, s3
.LBB10_52:
	s_delay_alu instid0(SALU_CYCLE_1)
	s_or_b32 exec_lo, exec_lo, s1
	s_mov_b32 s1, 0
	global_store_b8 v[4:5], v7, off
.LBB10_53:
	s_and_b32 vcc_lo, exec_lo, s1
	s_cbranch_vccz .LBB10_63
; %bb.54:
	v_cvt_f32_f64_e32 v2, v[0:1]
	s_mov_b32 s1, exec_lo
                                        ; implicit-def: $vgpr3
	s_delay_alu instid0(VALU_DEP_1) | instskip(NEXT) | instid1(VALU_DEP_1)
	v_and_b32_e32 v7, 0x7fffffff, v2
	v_cmpx_gt_u32_e32 0x43f00000, v7
	s_xor_b32 s1, exec_lo, s1
	s_cbranch_execz .LBB10_60
; %bb.55:
	s_mov_b32 s2, exec_lo
                                        ; implicit-def: $vgpr3
	v_cmpx_lt_u32_e32 0x3c7fffff, v7
	s_xor_b32 s2, exec_lo, s2
; %bb.56:
	v_bfe_u32 v3, v2, 20, 1
	s_delay_alu instid0(VALU_DEP_1) | instskip(NEXT) | instid1(VALU_DEP_1)
	v_add3_u32 v3, v2, v3, 0x407ffff
	v_and_b32_e32 v7, 0xff00000, v3
	v_lshrrev_b32_e32 v3, 20, v3
	s_delay_alu instid0(VALU_DEP_2) | instskip(NEXT) | instid1(VALU_DEP_2)
	v_cmp_ne_u32_e32 vcc_lo, 0x7f00000, v7
	v_cndmask_b32_e32 v3, 0x7e, v3, vcc_lo
; %bb.57:
	s_and_not1_saveexec_b32 s2, s2
; %bb.58:
	v_add_f32_e64 v3, 0x46800000, |v2|
; %bb.59:
	s_or_b32 exec_lo, exec_lo, s2
                                        ; implicit-def: $vgpr7
.LBB10_60:
	s_and_not1_saveexec_b32 s1, s1
; %bb.61:
	v_mov_b32_e32 v3, 0x7f
	v_cmp_lt_u32_e32 vcc_lo, 0x7f800000, v7
	s_delay_alu instid0(VALU_DEP_2)
	v_cndmask_b32_e32 v3, 0x7e, v3, vcc_lo
; %bb.62:
	s_or_b32 exec_lo, exec_lo, s1
	v_lshrrev_b32_e32 v2, 24, v2
	s_delay_alu instid0(VALU_DEP_1)
	v_and_or_b32 v2, 0x80, v2, v3
	global_store_b8 v[4:5], v2, off
.LBB10_63:
	s_mov_b32 s1, 0
.LBB10_64:
	s_delay_alu instid0(SALU_CYCLE_1)
	s_and_not1_b32 vcc_lo, exec_lo, s1
	s_cbranch_vccnz .LBB10_74
; %bb.65:
	v_cvt_f32_f64_e32 v2, v[0:1]
	s_mov_b32 s1, exec_lo
                                        ; implicit-def: $vgpr3
	s_delay_alu instid0(VALU_DEP_1) | instskip(NEXT) | instid1(VALU_DEP_1)
	v_and_b32_e32 v7, 0x7fffffff, v2
	v_cmpx_gt_u32_e32 0x47800000, v7
	s_xor_b32 s1, exec_lo, s1
	s_cbranch_execz .LBB10_71
; %bb.66:
	s_mov_b32 s2, exec_lo
                                        ; implicit-def: $vgpr3
	v_cmpx_lt_u32_e32 0x387fffff, v7
	s_xor_b32 s2, exec_lo, s2
; %bb.67:
	v_bfe_u32 v3, v2, 21, 1
	s_delay_alu instid0(VALU_DEP_1) | instskip(NEXT) | instid1(VALU_DEP_1)
	v_add3_u32 v3, v2, v3, 0x80fffff
	v_lshrrev_b32_e32 v3, 21, v3
; %bb.68:
	s_and_not1_saveexec_b32 s2, s2
; %bb.69:
	v_add_f32_e64 v3, 0x43000000, |v2|
; %bb.70:
	s_or_b32 exec_lo, exec_lo, s2
                                        ; implicit-def: $vgpr7
.LBB10_71:
	s_and_not1_saveexec_b32 s1, s1
; %bb.72:
	v_mov_b32_e32 v3, 0x7f
	v_cmp_lt_u32_e32 vcc_lo, 0x7f800000, v7
	s_delay_alu instid0(VALU_DEP_2)
	v_cndmask_b32_e32 v3, 0x7c, v3, vcc_lo
; %bb.73:
	s_or_b32 exec_lo, exec_lo, s1
	v_lshrrev_b32_e32 v2, 24, v2
	s_delay_alu instid0(VALU_DEP_1)
	v_and_or_b32 v2, 0x80, v2, v3
	global_store_b8 v[4:5], v2, off
.LBB10_74:
	s_mov_b32 s2, 0
	s_mov_b32 s1, -1
.LBB10_75:
	s_and_not1_b32 vcc_lo, exec_lo, s2
	s_cbranch_vccnz .LBB10_83
; %bb.76:
	v_cmp_lt_i16_e32 vcc_lo, 14, v6
	s_mov_b32 s2, -1
	s_cbranch_vccz .LBB10_80
; %bb.77:
	v_cmp_eq_u16_e32 vcc_lo, 15, v6
	s_mov_b32 s0, -1
	s_cbranch_vccz .LBB10_79
; %bb.78:
	v_cvt_f32_f64_e32 v2, v[0:1]
	s_mov_b32 s1, -1
	s_mov_b32 s0, 0
	s_delay_alu instid0(VALU_DEP_1) | instskip(SKIP_1) | instid1(VALU_DEP_2)
	v_bfe_u32 v3, v2, 16, 1
	v_cmp_o_f32_e32 vcc_lo, v2, v2
	v_add3_u32 v3, v2, v3, 0x7fff
	s_delay_alu instid0(VALU_DEP_1) | instskip(NEXT) | instid1(VALU_DEP_1)
	v_lshrrev_b32_e32 v3, 16, v3
	v_cndmask_b32_e32 v2, 0x7fc0, v3, vcc_lo
	global_store_b16 v[4:5], v2, off
.LBB10_79:
	s_mov_b32 s2, 0
.LBB10_80:
	s_delay_alu instid0(SALU_CYCLE_1)
	s_and_b32 vcc_lo, exec_lo, s2
	s_cbranch_vccz .LBB10_83
; %bb.81:
	v_cmp_eq_u16_e32 vcc_lo, 11, v6
	s_mov_b32 s0, -1
	s_cbranch_vccz .LBB10_83
; %bb.82:
	v_cmp_neq_f64_e32 vcc_lo, 0, v[0:1]
	s_mov_b32 s1, -1
	s_mov_b32 s0, 0
	v_cndmask_b32_e64 v2, 0, 1, vcc_lo
	global_store_b8 v[4:5], v2, off
.LBB10_83:
	s_branch .LBB10_10
.LBB10_84:
	v_cmp_gt_i16_e32 vcc_lo, 5, v6
	s_mov_b32 s1, -1
	s_cbranch_vccnz .LBB10_105
; %bb.85:
	v_cmp_gt_i16_e32 vcc_lo, 8, v6
	s_cbranch_vccnz .LBB10_95
; %bb.86:
	v_cmp_gt_i16_e32 vcc_lo, 9, v6
	s_cbranch_vccnz .LBB10_92
; %bb.87:
	v_cmp_lt_i16_e32 vcc_lo, 9, v6
	s_cbranch_vccz .LBB10_89
; %bb.88:
	v_mov_b32_e32 v2, 0
	s_mov_b32 s1, 0
	s_delay_alu instid0(VALU_DEP_1)
	v_mov_b32_e32 v3, v2
	global_store_b128 v[4:5], v[0:3], off
.LBB10_89:
	s_and_not1_b32 vcc_lo, exec_lo, s1
	s_cbranch_vccnz .LBB10_91
; %bb.90:
	v_cvt_f32_f64_e32 v2, v[0:1]
	v_mov_b32_e32 v3, 0
	global_store_b64 v[4:5], v[2:3], off
.LBB10_91:
	s_mov_b32 s1, 0
.LBB10_92:
	s_delay_alu instid0(SALU_CYCLE_1)
	s_and_not1_b32 vcc_lo, exec_lo, s1
	s_cbranch_vccnz .LBB10_94
; %bb.93:
	v_cvt_f32_f64_e32 v2, v[0:1]
	s_delay_alu instid0(VALU_DEP_1) | instskip(NEXT) | instid1(VALU_DEP_1)
	v_cvt_f16_f32_e32 v2, v2
	v_and_b32_e32 v2, 0xffff, v2
	global_store_b32 v[4:5], v2, off
.LBB10_94:
	s_mov_b32 s1, 0
.LBB10_95:
	s_delay_alu instid0(SALU_CYCLE_1)
	s_and_not1_b32 vcc_lo, exec_lo, s1
	s_cbranch_vccnz .LBB10_104
; %bb.96:
	v_cmp_gt_i16_e32 vcc_lo, 6, v6
	s_mov_b32 s1, -1
	s_cbranch_vccnz .LBB10_102
; %bb.97:
	v_cmp_lt_i16_e32 vcc_lo, 6, v6
	s_cbranch_vccz .LBB10_99
; %bb.98:
	s_mov_b32 s1, 0
	global_store_b64 v[4:5], v[0:1], off
.LBB10_99:
	s_and_not1_b32 vcc_lo, exec_lo, s1
	s_cbranch_vccnz .LBB10_101
; %bb.100:
	v_cvt_f32_f64_e32 v2, v[0:1]
	global_store_b32 v[4:5], v2, off
.LBB10_101:
	s_mov_b32 s1, 0
.LBB10_102:
	s_delay_alu instid0(SALU_CYCLE_1)
	s_and_not1_b32 vcc_lo, exec_lo, s1
	s_cbranch_vccnz .LBB10_104
; %bb.103:
	v_cvt_f32_f64_e32 v2, v[0:1]
	s_delay_alu instid0(VALU_DEP_1)
	v_cvt_f16_f32_e32 v2, v2
	global_store_b16 v[4:5], v2, off
.LBB10_104:
	s_mov_b32 s1, 0
.LBB10_105:
	s_delay_alu instid0(SALU_CYCLE_1)
	s_and_not1_b32 vcc_lo, exec_lo, s1
	s_cbranch_vccnz .LBB10_121
; %bb.106:
	v_cmp_gt_i16_e32 vcc_lo, 2, v6
	s_mov_b32 s1, -1
	s_cbranch_vccnz .LBB10_116
; %bb.107:
	v_cmp_gt_i16_e32 vcc_lo, 3, v6
	s_cbranch_vccnz .LBB10_113
; %bb.108:
	v_cmp_lt_i16_e32 vcc_lo, 3, v6
	s_cbranch_vccz .LBB10_110
; %bb.109:
	v_trunc_f64_e32 v[2:3], v[0:1]
	s_mov_b32 s1, 0
	s_delay_alu instid0(VALU_DEP_1) | instskip(NEXT) | instid1(VALU_DEP_1)
	v_ldexp_f64 v[7:8], v[2:3], 0xffffffe0
	v_floor_f64_e32 v[7:8], v[7:8]
	s_delay_alu instid0(VALU_DEP_1) | instskip(SKIP_1) | instid1(VALU_DEP_2)
	v_fma_f64 v[2:3], 0xc1f00000, v[7:8], v[2:3]
	v_cvt_i32_f64_e32 v8, v[7:8]
	v_cvt_u32_f64_e32 v7, v[2:3]
	global_store_b64 v[4:5], v[7:8], off
.LBB10_110:
	s_and_not1_b32 vcc_lo, exec_lo, s1
	s_cbranch_vccnz .LBB10_112
; %bb.111:
	v_cvt_i32_f64_e32 v2, v[0:1]
	global_store_b32 v[4:5], v2, off
.LBB10_112:
	s_mov_b32 s1, 0
.LBB10_113:
	s_delay_alu instid0(SALU_CYCLE_1)
	s_and_not1_b32 vcc_lo, exec_lo, s1
	s_cbranch_vccnz .LBB10_115
; %bb.114:
	v_cvt_i32_f64_e32 v2, v[0:1]
	global_store_b16 v[4:5], v2, off
.LBB10_115:
	s_mov_b32 s1, 0
.LBB10_116:
	s_delay_alu instid0(SALU_CYCLE_1)
	s_and_not1_b32 vcc_lo, exec_lo, s1
	s_cbranch_vccnz .LBB10_121
; %bb.117:
	v_cmp_lt_i16_e32 vcc_lo, 0, v6
	s_mov_b32 s1, -1
	s_cbranch_vccz .LBB10_119
; %bb.118:
	v_cvt_i32_f64_e32 v2, v[0:1]
	s_mov_b32 s1, 0
	global_store_b8 v[4:5], v2, off
.LBB10_119:
	s_and_not1_b32 vcc_lo, exec_lo, s1
	s_cbranch_vccnz .LBB10_121
; %bb.120:
	v_trunc_f64_e32 v[0:1], v[0:1]
	s_delay_alu instid0(VALU_DEP_1) | instskip(NEXT) | instid1(VALU_DEP_1)
	v_ldexp_f64 v[2:3], v[0:1], 0xffffffe0
	v_floor_f64_e32 v[2:3], v[2:3]
	s_delay_alu instid0(VALU_DEP_1) | instskip(NEXT) | instid1(VALU_DEP_1)
	v_fma_f64 v[0:1], 0xc1f00000, v[2:3], v[0:1]
	v_cvt_u32_f64_e32 v0, v[0:1]
	global_store_b8 v[4:5], v0, off
.LBB10_121:
	s_branch .LBB10_11
.LBB10_122:
	s_mov_b32 s1, 0
                                        ; implicit-def: $vgpr40
.LBB10_123:
	s_and_b32 s47, s0, exec_lo
	s_or_not1_b32 s0, s1, exec_lo
.LBB10_124:
	s_or_b32 exec_lo, exec_lo, s49
	s_mov_b32 s1, 0
                                        ; implicit-def: $vgpr6
                                        ; implicit-def: $vgpr4_vgpr5
                                        ; implicit-def: $vgpr0_vgpr1
	s_and_saveexec_b32 s49, s0
	s_cbranch_execz .LBB10_133
; %bb.125:
	s_mov_b32 s2, -1
	s_mov_b32 s50, s47
	s_mov_b32 s51, exec_lo
	v_cmpx_gt_i32_e64 s48, v40
	s_cbranch_execz .LBB10_784
; %bb.126:
	v_dual_mov_b32 v0, s42 :: v_dual_mov_b32 v1, s43
	v_dual_mov_b32 v2, s45 :: v_dual_mov_b32 v3, v41
	v_mov_b32_e32 v4, v40
	s_getpc_b64 s[0:1]
	s_add_u32 s0, s0, _ZN2at6native6invokeIZZZNS0_12_GLOBAL__N_121bessel_y1_kernel_cudaERNS_18TensorIteratorBaseEENKUlvE_clEvENKUlvE_clEvEUldE_i15function_traitsIS7_EEENT1_11result_typeERKT_PrKPcPKT0_PKN3c1010ScalarTypeEi@rel32@lo+4
	s_addc_u32 s1, s1, _ZN2at6native6invokeIZZZNS0_12_GLOBAL__N_121bessel_y1_kernel_cudaERNS_18TensorIteratorBaseEENKUlvE_clEvENKUlvE_clEvEUldE_i15function_traitsIS7_EEENT1_11result_typeERKT_PrKPcPKT0_PKN3c1010ScalarTypeEi@rel32@hi+12
	s_delay_alu instid0(SALU_CYCLE_1) | instskip(SKIP_2) | instid1(VALU_DEP_1)
	s_swappc_b64 s[30:31], s[0:1]
	v_mul_lo_u32 v2, v40, s44
	v_and_b32_e32 v6, 0xff, v46
	v_cmp_gt_i16_e32 vcc_lo, 11, v6
	s_delay_alu instid0(VALU_DEP_3) | instskip(SKIP_1) | instid1(VALU_DEP_1)
	v_ashrrev_i32_e32 v3, 31, v2
	v_add_co_u32 v4, s0, s40, v2
	v_add_co_ci_u32_e64 v5, s0, s41, v3, s0
	s_cbranch_vccnz .LBB10_567
; %bb.127:
	v_cmp_lt_i16_e32 vcc_lo, 25, v6
	s_cbranch_vccz .LBB10_654
; %bb.128:
	v_cmp_lt_i16_e32 vcc_lo, 28, v6
	s_cbranch_vccz .LBB10_656
; %bb.129:
	v_cmp_lt_i16_e32 vcc_lo, 43, v6
	s_cbranch_vccz .LBB10_663
; %bb.130:
	v_cmp_lt_i16_e32 vcc_lo, 45, v6
	s_cbranch_vccz .LBB10_674
; %bb.131:
	v_cmp_eq_u16_e32 vcc_lo, 46, v6
	s_mov_b32 s2, 0
	s_mov_b32 s0, -1
	s_mov_b32 s1, 0
	s_cbranch_vccz .LBB10_675
; %bb.132:
	v_cvt_f32_f64_e32 v2, v[0:1]
	s_mov_b32 s1, -1
	s_mov_b32 s0, 0
	s_delay_alu instid0(VALU_DEP_1) | instskip(SKIP_1) | instid1(VALU_DEP_2)
	v_bfe_u32 v3, v2, 16, 1
	v_cmp_o_f32_e32 vcc_lo, v2, v2
	v_add3_u32 v3, v2, v3, 0x7fff
	s_delay_alu instid0(VALU_DEP_1) | instskip(NEXT) | instid1(VALU_DEP_1)
	v_lshrrev_b32_e32 v3, 16, v3
	v_cndmask_b32_e32 v2, 0x7fc0, v3, vcc_lo
	global_store_b32 v[4:5], v2, off
	s_branch .LBB10_675
.LBB10_133:
	s_or_b32 exec_lo, exec_lo, s49
	s_mov_b32 s0, 0
	s_and_saveexec_b32 s2, s47
	s_cbranch_execnz .LBB10_1020
.LBB10_134:
	s_or_b32 exec_lo, exec_lo, s2
	s_and_saveexec_b32 s2, s50
	s_delay_alu instid0(SALU_CYCLE_1)
	s_xor_b32 s2, exec_lo, s2
	s_cbranch_execz .LBB10_136
.LBB10_135:
	v_cmp_neq_f64_e32 vcc_lo, 0, v[0:1]
	v_cndmask_b32_e64 v2, 0, 1, vcc_lo
	global_store_b8 v[4:5], v2, off
.LBB10_136:
	s_or_b32 exec_lo, exec_lo, s2
	s_and_saveexec_b32 s2, s1
	s_delay_alu instid0(SALU_CYCLE_1)
	s_xor_b32 s1, exec_lo, s2
	s_cbranch_execz .LBB10_174
; %bb.137:
	v_cmp_gt_i16_e32 vcc_lo, 5, v6
	s_mov_b32 s2, -1
	s_cbranch_vccnz .LBB10_158
; %bb.138:
	v_cmp_gt_i16_e32 vcc_lo, 8, v6
	s_cbranch_vccnz .LBB10_148
; %bb.139:
	v_cmp_gt_i16_e32 vcc_lo, 9, v6
	s_cbranch_vccnz .LBB10_145
; %bb.140:
	v_cmp_lt_i16_e32 vcc_lo, 9, v6
	s_cbranch_vccz .LBB10_142
; %bb.141:
	v_mov_b32_e32 v2, 0
	s_mov_b32 s2, 0
	s_delay_alu instid0(VALU_DEP_1)
	v_mov_b32_e32 v3, v2
	global_store_b128 v[4:5], v[0:3], off
.LBB10_142:
	s_and_not1_b32 vcc_lo, exec_lo, s2
	s_cbranch_vccnz .LBB10_144
; %bb.143:
	v_cvt_f32_f64_e32 v2, v[0:1]
	v_mov_b32_e32 v3, 0
	global_store_b64 v[4:5], v[2:3], off
.LBB10_144:
	s_mov_b32 s2, 0
.LBB10_145:
	s_delay_alu instid0(SALU_CYCLE_1)
	s_and_not1_b32 vcc_lo, exec_lo, s2
	s_cbranch_vccnz .LBB10_147
; %bb.146:
	v_cvt_f32_f64_e32 v2, v[0:1]
	s_delay_alu instid0(VALU_DEP_1) | instskip(NEXT) | instid1(VALU_DEP_1)
	v_cvt_f16_f32_e32 v2, v2
	v_and_b32_e32 v2, 0xffff, v2
	global_store_b32 v[4:5], v2, off
.LBB10_147:
	s_mov_b32 s2, 0
.LBB10_148:
	s_delay_alu instid0(SALU_CYCLE_1)
	s_and_not1_b32 vcc_lo, exec_lo, s2
	s_cbranch_vccnz .LBB10_157
; %bb.149:
	v_cmp_gt_i16_e32 vcc_lo, 6, v6
	s_mov_b32 s2, -1
	s_cbranch_vccnz .LBB10_155
; %bb.150:
	v_cmp_lt_i16_e32 vcc_lo, 6, v6
	s_cbranch_vccz .LBB10_152
; %bb.151:
	s_mov_b32 s2, 0
	global_store_b64 v[4:5], v[0:1], off
.LBB10_152:
	s_and_not1_b32 vcc_lo, exec_lo, s2
	s_cbranch_vccnz .LBB10_154
; %bb.153:
	v_cvt_f32_f64_e32 v2, v[0:1]
	global_store_b32 v[4:5], v2, off
.LBB10_154:
	s_mov_b32 s2, 0
.LBB10_155:
	s_delay_alu instid0(SALU_CYCLE_1)
	s_and_not1_b32 vcc_lo, exec_lo, s2
	s_cbranch_vccnz .LBB10_157
; %bb.156:
	v_cvt_f32_f64_e32 v2, v[0:1]
	s_delay_alu instid0(VALU_DEP_1)
	v_cvt_f16_f32_e32 v2, v2
	global_store_b16 v[4:5], v2, off
.LBB10_157:
	s_mov_b32 s2, 0
.LBB10_158:
	s_delay_alu instid0(SALU_CYCLE_1)
	s_and_not1_b32 vcc_lo, exec_lo, s2
	s_cbranch_vccnz .LBB10_174
; %bb.159:
	v_cmp_gt_i16_e32 vcc_lo, 2, v6
	s_mov_b32 s2, -1
	s_cbranch_vccnz .LBB10_169
; %bb.160:
	v_cmp_gt_i16_e32 vcc_lo, 3, v6
	s_cbranch_vccnz .LBB10_166
; %bb.161:
	v_cmp_lt_i16_e32 vcc_lo, 3, v6
	s_cbranch_vccz .LBB10_163
; %bb.162:
	v_trunc_f64_e32 v[2:3], v[0:1]
	s_mov_b32 s2, 0
	s_delay_alu instid0(VALU_DEP_1) | instskip(NEXT) | instid1(VALU_DEP_1)
	v_ldexp_f64 v[7:8], v[2:3], 0xffffffe0
	v_floor_f64_e32 v[7:8], v[7:8]
	s_delay_alu instid0(VALU_DEP_1) | instskip(SKIP_1) | instid1(VALU_DEP_2)
	v_fma_f64 v[2:3], 0xc1f00000, v[7:8], v[2:3]
	v_cvt_i32_f64_e32 v8, v[7:8]
	v_cvt_u32_f64_e32 v7, v[2:3]
	global_store_b64 v[4:5], v[7:8], off
.LBB10_163:
	s_and_not1_b32 vcc_lo, exec_lo, s2
	s_cbranch_vccnz .LBB10_165
; %bb.164:
	v_cvt_i32_f64_e32 v2, v[0:1]
	global_store_b32 v[4:5], v2, off
.LBB10_165:
	s_mov_b32 s2, 0
.LBB10_166:
	s_delay_alu instid0(SALU_CYCLE_1)
	s_and_not1_b32 vcc_lo, exec_lo, s2
	s_cbranch_vccnz .LBB10_168
; %bb.167:
	v_cvt_i32_f64_e32 v2, v[0:1]
	global_store_b16 v[4:5], v2, off
.LBB10_168:
	s_mov_b32 s2, 0
.LBB10_169:
	s_delay_alu instid0(SALU_CYCLE_1)
	s_and_not1_b32 vcc_lo, exec_lo, s2
	s_cbranch_vccnz .LBB10_174
; %bb.170:
	v_cmp_lt_i16_e32 vcc_lo, 0, v6
	s_mov_b32 s2, -1
	s_cbranch_vccz .LBB10_172
; %bb.171:
	v_cvt_i32_f64_e32 v2, v[0:1]
	s_mov_b32 s2, 0
	global_store_b8 v[4:5], v2, off
.LBB10_172:
	s_and_not1_b32 vcc_lo, exec_lo, s2
	s_cbranch_vccnz .LBB10_174
; %bb.173:
	v_trunc_f64_e32 v[0:1], v[0:1]
	s_delay_alu instid0(VALU_DEP_1) | instskip(NEXT) | instid1(VALU_DEP_1)
	v_ldexp_f64 v[2:3], v[0:1], 0xffffffe0
	v_floor_f64_e32 v[2:3], v[2:3]
	s_delay_alu instid0(VALU_DEP_1) | instskip(NEXT) | instid1(VALU_DEP_1)
	v_fma_f64 v[0:1], 0xc1f00000, v[2:3], v[0:1]
	v_cvt_u32_f64_e32 v0, v[0:1]
	global_store_b8 v[4:5], v0, off
.LBB10_174:
	s_or_b32 exec_lo, exec_lo, s1
	s_delay_alu instid0(SALU_CYCLE_1)
	s_and_b32 s47, s0, exec_lo
                                        ; implicit-def: $vgpr40
                                        ; implicit-def: $vgpr46
                                        ; implicit-def: $vgpr41
                                        ; implicit-def: $vgpr42
.LBB10_175:
	s_or_saveexec_b32 s46, s46
	s_mov_b32 s0, 0
                                        ; implicit-def: $vgpr6
                                        ; implicit-def: $vgpr4_vgpr5
                                        ; implicit-def: $vgpr0_vgpr1
	s_xor_b32 exec_lo, exec_lo, s46
	s_cbranch_execz .LBB10_611
; %bb.176:
	v_dual_mov_b32 v0, s42 :: v_dual_add_nc_u32 v43, 0x80, v40
	v_dual_mov_b32 v1, s43 :: v_dual_add_nc_u32 v44, 0x100, v40
	v_dual_mov_b32 v2, s45 :: v_dual_mov_b32 v3, v41
	v_mov_b32_e32 v4, v40
	s_getpc_b64 s[48:49]
	s_add_u32 s48, s48, _ZN2at6native6invokeIZZZNS0_12_GLOBAL__N_121bessel_y1_kernel_cudaERNS_18TensorIteratorBaseEENKUlvE_clEvENKUlvE_clEvEUldE_i15function_traitsIS7_EEENT1_11result_typeERKT_PrKPcPKT0_PKN3c1010ScalarTypeEi@rel32@lo+4
	s_addc_u32 s49, s49, _ZN2at6native6invokeIZZZNS0_12_GLOBAL__N_121bessel_y1_kernel_cudaERNS_18TensorIteratorBaseEENKUlvE_clEvENKUlvE_clEvEUldE_i15function_traitsIS7_EEENT1_11result_typeERKT_PrKPcPKT0_PKN3c1010ScalarTypeEi@rel32@hi+12
	s_delay_alu instid0(SALU_CYCLE_1)
	s_swappc_b64 s[30:31], s[48:49]
	v_dual_mov_b32 v60, v0 :: v_dual_mov_b32 v61, v1
	v_dual_mov_b32 v0, s42 :: v_dual_mov_b32 v1, s43
	;; [unrolled: 1-line block ×3, first 2 shown]
	v_mov_b32_e32 v4, v43
	s_swappc_b64 s[30:31], s[48:49]
	s_delay_alu instid0(VALU_DEP_3) | instskip(SKIP_4) | instid1(VALU_DEP_3)
	v_dual_mov_b32 v58, v0 :: v_dual_mov_b32 v59, v1
	v_dual_mov_b32 v0, s42 :: v_dual_mov_b32 v1, s43
	;; [unrolled: 1-line block ×3, first 2 shown]
	v_mov_b32_e32 v4, v44
	s_swappc_b64 s[30:31], s[48:49]
	v_dual_mov_b32 v56, v0 :: v_dual_mov_b32 v57, v1
	v_dual_mov_b32 v0, s42 :: v_dual_mov_b32 v1, s43
	v_dual_mov_b32 v2, s45 :: v_dual_mov_b32 v3, v41
	v_mov_b32_e32 v4, v42
	s_swappc_b64 s[30:31], s[48:49]
	v_mul_lo_u32 v4, s44, v40
	v_and_b32_e32 v6, 0xff, v46
	s_delay_alu instid0(VALU_DEP_1) | instskip(NEXT) | instid1(VALU_DEP_3)
	v_cmp_gt_i16_e32 vcc_lo, 11, v6
	v_ashrrev_i32_e32 v3, 31, v4
	v_add_co_u32 v2, s0, s40, v4
	s_delay_alu instid0(VALU_DEP_1)
	v_add_co_ci_u32_e64 v3, s0, s41, v3, s0
	s_cbranch_vccnz .LBB10_255
; %bb.177:
	v_cmp_lt_i16_e32 vcc_lo, 25, v6
	s_mov_b32 s1, -1
	s_mov_b32 s2, 0
	s_mov_b32 s3, 0
	;; [unrolled: 1-line block ×3, first 2 shown]
	s_cbranch_vccz .LBB10_210
; %bb.178:
	v_cmp_lt_i16_e32 vcc_lo, 28, v6
	s_cbranch_vccz .LBB10_193
; %bb.179:
	v_cmp_lt_i16_e32 vcc_lo, 43, v6
	;; [unrolled: 3-line block ×3, first 2 shown]
	s_cbranch_vccz .LBB10_183
; %bb.181:
	v_cmp_eq_u16_e32 vcc_lo, 46, v6
	s_mov_b32 s0, -1
	s_mov_b32 s1, 0
	s_cbranch_vccz .LBB10_183
; %bb.182:
	v_cvt_f32_f64_e32 v5, v[60:61]
	s_mov_b32 s0, 0
	s_mov_b32 s3, -1
	s_delay_alu instid0(VALU_DEP_1) | instskip(SKIP_1) | instid1(VALU_DEP_2)
	v_bfe_u32 v7, v5, 16, 1
	v_cmp_o_f32_e32 vcc_lo, v5, v5
	v_add3_u32 v7, v5, v7, 0x7fff
	s_delay_alu instid0(VALU_DEP_1) | instskip(NEXT) | instid1(VALU_DEP_1)
	v_lshrrev_b32_e32 v7, 16, v7
	v_cndmask_b32_e32 v5, 0x7fc0, v7, vcc_lo
	global_store_b32 v[2:3], v5, off
.LBB10_183:
	s_and_b32 vcc_lo, exec_lo, s1
	s_cbranch_vccz .LBB10_188
; %bb.184:
	v_cmp_eq_u16_e32 vcc_lo, 44, v6
	s_mov_b32 s0, -1
	s_cbranch_vccz .LBB10_188
; %bb.185:
	v_cvt_f32_f64_e32 v5, v[60:61]
	v_mov_b32_e32 v7, 0xff
	s_mov_b32 s1, exec_lo
	s_delay_alu instid0(VALU_DEP_2) | instskip(NEXT) | instid1(VALU_DEP_1)
	v_bfe_u32 v8, v5, 23, 8
	v_cmpx_ne_u32_e32 0xff, v8
; %bb.186:
	v_and_b32_e32 v7, 0x400000, v5
	v_and_or_b32 v8, 0x3fffff, v5, v8
	v_lshrrev_b32_e32 v5, 23, v5
	s_delay_alu instid0(VALU_DEP_3) | instskip(NEXT) | instid1(VALU_DEP_3)
	v_cmp_ne_u32_e32 vcc_lo, 0, v7
	v_cmp_ne_u32_e64 s0, 0, v8
	s_delay_alu instid0(VALU_DEP_1) | instskip(NEXT) | instid1(SALU_CYCLE_1)
	s_and_b32 s0, vcc_lo, s0
	v_cndmask_b32_e64 v7, 0, 1, s0
	s_delay_alu instid0(VALU_DEP_1)
	v_add_nc_u32_e32 v7, v5, v7
; %bb.187:
	s_or_b32 exec_lo, exec_lo, s1
	s_mov_b32 s0, 0
	s_mov_b32 s3, -1
	global_store_b8 v[2:3], v7, off
.LBB10_188:
	s_mov_b32 s1, 0
.LBB10_189:
	s_delay_alu instid0(SALU_CYCLE_1)
	s_and_b32 vcc_lo, exec_lo, s1
	s_cbranch_vccz .LBB10_192
; %bb.190:
	v_cmp_eq_u16_e32 vcc_lo, 29, v6
	s_mov_b32 s0, -1
	s_cbranch_vccz .LBB10_192
; %bb.191:
	v_trunc_f64_e32 v[7:8], v[60:61]
	s_mov_b32 s0, 0
	s_mov_b32 s3, -1
	s_delay_alu instid0(VALU_DEP_1) | instskip(NEXT) | instid1(VALU_DEP_1)
	v_ldexp_f64 v[9:10], v[7:8], 0xffffffe0
	v_floor_f64_e32 v[9:10], v[9:10]
	s_delay_alu instid0(VALU_DEP_1) | instskip(SKIP_1) | instid1(VALU_DEP_2)
	v_fma_f64 v[7:8], 0xc1f00000, v[9:10], v[7:8]
	v_cvt_u32_f64_e32 v9, v[9:10]
	v_cvt_u32_f64_e32 v8, v[7:8]
	global_store_b64 v[2:3], v[8:9], off
.LBB10_192:
	s_mov_b32 s1, 0
.LBB10_193:
	s_delay_alu instid0(SALU_CYCLE_1)
	s_and_b32 vcc_lo, exec_lo, s1
	s_cbranch_vccz .LBB10_209
; %bb.194:
	v_cmp_gt_i16_e32 vcc_lo, 27, v6
	s_mov_b32 s1, -1
	s_cbranch_vccnz .LBB10_200
; %bb.195:
	v_cmp_lt_i16_e32 vcc_lo, 27, v6
	s_cbranch_vccz .LBB10_197
; %bb.196:
	v_cvt_u32_f64_e32 v5, v[60:61]
	s_mov_b32 s1, 0
	global_store_b32 v[2:3], v5, off
.LBB10_197:
	s_and_not1_b32 vcc_lo, exec_lo, s1
	s_cbranch_vccnz .LBB10_199
; %bb.198:
	v_cvt_u32_f64_e32 v5, v[60:61]
	global_store_b16 v[2:3], v5, off
.LBB10_199:
	s_mov_b32 s1, 0
.LBB10_200:
	s_delay_alu instid0(SALU_CYCLE_1)
	s_and_not1_b32 vcc_lo, exec_lo, s1
	s_cbranch_vccnz .LBB10_208
; %bb.201:
	v_cvt_f32_f64_e32 v5, v[60:61]
	v_mov_b32_e32 v8, 0x80
	s_mov_b32 s1, exec_lo
	s_delay_alu instid0(VALU_DEP_2) | instskip(NEXT) | instid1(VALU_DEP_1)
	v_and_b32_e32 v7, 0x7fffffff, v5
	v_cmpx_gt_u32_e32 0x43800000, v7
	s_cbranch_execz .LBB10_207
; %bb.202:
	v_cmp_lt_u32_e32 vcc_lo, 0x3bffffff, v7
	s_mov_b32 s3, 0
                                        ; implicit-def: $vgpr7
	s_and_saveexec_b32 s4, vcc_lo
	s_delay_alu instid0(SALU_CYCLE_1)
	s_xor_b32 s4, exec_lo, s4
	s_cbranch_execz .LBB10_657
; %bb.203:
	v_bfe_u32 v7, v5, 20, 1
	s_mov_b32 s3, exec_lo
	s_delay_alu instid0(VALU_DEP_1) | instskip(NEXT) | instid1(VALU_DEP_1)
	v_add3_u32 v7, v5, v7, 0x487ffff
	v_lshrrev_b32_e32 v7, 20, v7
	s_or_saveexec_b32 s4, s4
                                        ; implicit-def: $sgpr5
	s_delay_alu instid0(SALU_CYCLE_1)
	s_xor_b32 exec_lo, exec_lo, s4
	s_cbranch_execnz .LBB10_658
.LBB10_204:
	s_or_b32 exec_lo, exec_lo, s4
	v_mov_b32_e32 v8, s5
	s_and_saveexec_b32 s4, s3
.LBB10_205:
	v_lshrrev_b32_e32 v5, 24, v5
	s_delay_alu instid0(VALU_DEP_1)
	v_and_or_b32 v8, 0x80, v5, v7
.LBB10_206:
	s_or_b32 exec_lo, exec_lo, s4
.LBB10_207:
	s_delay_alu instid0(SALU_CYCLE_1)
	s_or_b32 exec_lo, exec_lo, s1
	global_store_b8 v[2:3], v8, off
.LBB10_208:
	s_mov_b32 s3, -1
.LBB10_209:
	s_mov_b32 s1, 0
.LBB10_210:
	s_delay_alu instid0(SALU_CYCLE_1)
	s_and_b32 vcc_lo, exec_lo, s1
	s_cbranch_vccz .LBB10_250
; %bb.211:
	v_cmp_lt_i16_e32 vcc_lo, 22, v6
	s_mov_b32 s1, -1
	s_cbranch_vccz .LBB10_243
; %bb.212:
	v_cmp_gt_i16_e32 vcc_lo, 24, v6
	s_cbranch_vccnz .LBB10_232
; %bb.213:
	v_cmp_lt_i16_e32 vcc_lo, 24, v6
	s_cbranch_vccz .LBB10_221
; %bb.214:
	v_cvt_f32_f64_e32 v5, v[60:61]
	v_mov_b32_e32 v8, 0x80
	s_mov_b32 s1, exec_lo
	s_delay_alu instid0(VALU_DEP_2) | instskip(NEXT) | instid1(VALU_DEP_1)
	v_and_b32_e32 v7, 0x7fffffff, v5
	v_cmpx_gt_u32_e32 0x47800000, v7
	s_cbranch_execz .LBB10_220
; %bb.215:
	v_cmp_lt_u32_e32 vcc_lo, 0x37ffffff, v7
                                        ; implicit-def: $vgpr7
	s_and_saveexec_b32 s3, vcc_lo
	s_delay_alu instid0(SALU_CYCLE_1)
	s_xor_b32 s3, exec_lo, s3
	s_cbranch_execz .LBB10_664
; %bb.216:
	v_bfe_u32 v7, v5, 21, 1
	s_mov_b32 s2, exec_lo
	s_delay_alu instid0(VALU_DEP_1) | instskip(NEXT) | instid1(VALU_DEP_1)
	v_add3_u32 v7, v5, v7, 0x88fffff
	v_lshrrev_b32_e32 v7, 21, v7
	s_or_saveexec_b32 s3, s3
                                        ; implicit-def: $sgpr4
	s_delay_alu instid0(SALU_CYCLE_1)
	s_xor_b32 exec_lo, exec_lo, s3
	s_cbranch_execnz .LBB10_665
.LBB10_217:
	s_or_b32 exec_lo, exec_lo, s3
	v_mov_b32_e32 v8, s4
	s_and_saveexec_b32 s3, s2
.LBB10_218:
	v_lshrrev_b32_e32 v5, 24, v5
	s_delay_alu instid0(VALU_DEP_1)
	v_and_or_b32 v8, 0x80, v5, v7
.LBB10_219:
	s_or_b32 exec_lo, exec_lo, s3
.LBB10_220:
	s_delay_alu instid0(SALU_CYCLE_1)
	s_or_b32 exec_lo, exec_lo, s1
	s_mov_b32 s1, 0
	global_store_b8 v[2:3], v8, off
.LBB10_221:
	s_and_b32 vcc_lo, exec_lo, s1
	s_cbranch_vccz .LBB10_231
; %bb.222:
	v_cvt_f32_f64_e32 v5, v[60:61]
	s_mov_b32 s1, exec_lo
                                        ; implicit-def: $vgpr7
	s_delay_alu instid0(VALU_DEP_1) | instskip(NEXT) | instid1(VALU_DEP_1)
	v_and_b32_e32 v8, 0x7fffffff, v5
	v_cmpx_gt_u32_e32 0x43f00000, v8
	s_xor_b32 s1, exec_lo, s1
	s_cbranch_execz .LBB10_228
; %bb.223:
	s_mov_b32 s2, exec_lo
                                        ; implicit-def: $vgpr7
	v_cmpx_lt_u32_e32 0x3c7fffff, v8
	s_xor_b32 s2, exec_lo, s2
; %bb.224:
	v_bfe_u32 v7, v5, 20, 1
	s_delay_alu instid0(VALU_DEP_1) | instskip(NEXT) | instid1(VALU_DEP_1)
	v_add3_u32 v7, v5, v7, 0x407ffff
	v_and_b32_e32 v8, 0xff00000, v7
	v_lshrrev_b32_e32 v7, 20, v7
	s_delay_alu instid0(VALU_DEP_2) | instskip(NEXT) | instid1(VALU_DEP_2)
	v_cmp_ne_u32_e32 vcc_lo, 0x7f00000, v8
	v_cndmask_b32_e32 v7, 0x7e, v7, vcc_lo
; %bb.225:
	s_and_not1_saveexec_b32 s2, s2
; %bb.226:
	v_add_f32_e64 v7, 0x46800000, |v5|
; %bb.227:
	s_or_b32 exec_lo, exec_lo, s2
                                        ; implicit-def: $vgpr8
.LBB10_228:
	s_and_not1_saveexec_b32 s1, s1
; %bb.229:
	v_mov_b32_e32 v7, 0x7f
	v_cmp_lt_u32_e32 vcc_lo, 0x7f800000, v8
	s_delay_alu instid0(VALU_DEP_2)
	v_cndmask_b32_e32 v7, 0x7e, v7, vcc_lo
; %bb.230:
	s_or_b32 exec_lo, exec_lo, s1
	v_lshrrev_b32_e32 v5, 24, v5
	s_delay_alu instid0(VALU_DEP_1)
	v_and_or_b32 v5, 0x80, v5, v7
	global_store_b8 v[2:3], v5, off
.LBB10_231:
	s_mov_b32 s1, 0
.LBB10_232:
	s_delay_alu instid0(SALU_CYCLE_1)
	s_and_not1_b32 vcc_lo, exec_lo, s1
	s_cbranch_vccnz .LBB10_242
; %bb.233:
	v_cvt_f32_f64_e32 v5, v[60:61]
	s_mov_b32 s1, exec_lo
                                        ; implicit-def: $vgpr7
	s_delay_alu instid0(VALU_DEP_1) | instskip(NEXT) | instid1(VALU_DEP_1)
	v_and_b32_e32 v8, 0x7fffffff, v5
	v_cmpx_gt_u32_e32 0x47800000, v8
	s_xor_b32 s1, exec_lo, s1
	s_cbranch_execz .LBB10_239
; %bb.234:
	s_mov_b32 s2, exec_lo
                                        ; implicit-def: $vgpr7
	v_cmpx_lt_u32_e32 0x387fffff, v8
	s_xor_b32 s2, exec_lo, s2
; %bb.235:
	v_bfe_u32 v7, v5, 21, 1
	s_delay_alu instid0(VALU_DEP_1) | instskip(NEXT) | instid1(VALU_DEP_1)
	v_add3_u32 v7, v5, v7, 0x80fffff
	v_lshrrev_b32_e32 v7, 21, v7
; %bb.236:
	s_and_not1_saveexec_b32 s2, s2
; %bb.237:
	v_add_f32_e64 v7, 0x43000000, |v5|
; %bb.238:
	s_or_b32 exec_lo, exec_lo, s2
                                        ; implicit-def: $vgpr8
.LBB10_239:
	s_and_not1_saveexec_b32 s1, s1
; %bb.240:
	v_mov_b32_e32 v7, 0x7f
	v_cmp_lt_u32_e32 vcc_lo, 0x7f800000, v8
	s_delay_alu instid0(VALU_DEP_2)
	v_cndmask_b32_e32 v7, 0x7c, v7, vcc_lo
; %bb.241:
	s_or_b32 exec_lo, exec_lo, s1
	v_lshrrev_b32_e32 v5, 24, v5
	s_delay_alu instid0(VALU_DEP_1)
	v_and_or_b32 v5, 0x80, v5, v7
	global_store_b8 v[2:3], v5, off
.LBB10_242:
	s_mov_b32 s1, 0
	s_mov_b32 s3, -1
.LBB10_243:
	s_and_not1_b32 vcc_lo, exec_lo, s1
	s_mov_b32 s2, 0
	s_cbranch_vccnz .LBB10_250
; %bb.244:
	v_cmp_lt_i16_e32 vcc_lo, 14, v6
	s_mov_b32 s1, -1
	s_cbranch_vccz .LBB10_248
; %bb.245:
	v_cmp_eq_u16_e32 vcc_lo, 15, v6
	s_mov_b32 s0, -1
	s_cbranch_vccz .LBB10_247
; %bb.246:
	v_cvt_f32_f64_e32 v5, v[60:61]
	s_mov_b32 s0, 0
	s_mov_b32 s3, -1
	s_delay_alu instid0(VALU_DEP_1) | instskip(SKIP_1) | instid1(VALU_DEP_2)
	v_bfe_u32 v7, v5, 16, 1
	v_cmp_o_f32_e32 vcc_lo, v5, v5
	v_add3_u32 v7, v5, v7, 0x7fff
	s_delay_alu instid0(VALU_DEP_1) | instskip(NEXT) | instid1(VALU_DEP_1)
	v_lshrrev_b32_e32 v7, 16, v7
	v_cndmask_b32_e32 v5, 0x7fc0, v7, vcc_lo
	global_store_b16 v[2:3], v5, off
.LBB10_247:
	s_mov_b32 s1, 0
.LBB10_248:
	s_delay_alu instid0(SALU_CYCLE_1)
	s_and_b32 vcc_lo, exec_lo, s1
	s_cbranch_vccz .LBB10_250
; %bb.249:
	v_cmp_ne_u16_e64 s0, 11, v6
	s_mov_b32 s2, -1
.LBB10_250:
	s_delay_alu instid0(VALU_DEP_1)
	s_and_b32 vcc_lo, exec_lo, s0
	s_mov_b32 s1, s47
	s_cbranch_vccnz .LBB10_659
; %bb.251:
	s_and_not1_b32 vcc_lo, exec_lo, s2
	s_cbranch_vccnz .LBB10_253
.LBB10_252:
	v_cmp_neq_f64_e32 vcc_lo, 0, v[60:61]
	s_mov_b32 s3, -1
	v_cndmask_b32_e64 v5, 0, 1, vcc_lo
	global_store_b8 v[2:3], v5, off
.LBB10_253:
.LBB10_254:
	s_and_not1_b32 vcc_lo, exec_lo, s3
	s_cbranch_vccz .LBB10_294
	s_branch .LBB10_609
.LBB10_255:
	s_mov_b32 s3, 0
	s_mov_b32 s1, s47
	s_cbranch_execz .LBB10_254
; %bb.256:
	v_cmp_gt_i16_e32 vcc_lo, 5, v6
	s_mov_b32 s0, -1
	s_cbranch_vccnz .LBB10_277
; %bb.257:
	v_cmp_gt_i16_e32 vcc_lo, 8, v6
	s_cbranch_vccnz .LBB10_267
; %bb.258:
	v_cmp_gt_i16_e32 vcc_lo, 9, v6
	s_cbranch_vccnz .LBB10_264
; %bb.259:
	v_cmp_lt_i16_e32 vcc_lo, 9, v6
	s_cbranch_vccz .LBB10_261
; %bb.260:
	v_mov_b32_e32 v62, 0
	s_mov_b32 s0, 0
	s_delay_alu instid0(VALU_DEP_1)
	v_mov_b32_e32 v63, v62
	global_store_b128 v[2:3], v[60:63], off
.LBB10_261:
	s_and_not1_b32 vcc_lo, exec_lo, s0
	s_cbranch_vccnz .LBB10_263
; %bb.262:
	v_cvt_f32_f64_e32 v7, v[60:61]
	v_mov_b32_e32 v8, 0
	global_store_b64 v[2:3], v[7:8], off
.LBB10_263:
	s_mov_b32 s0, 0
.LBB10_264:
	s_delay_alu instid0(SALU_CYCLE_1)
	s_and_not1_b32 vcc_lo, exec_lo, s0
	s_cbranch_vccnz .LBB10_266
; %bb.265:
	v_cvt_f32_f64_e32 v5, v[60:61]
	s_delay_alu instid0(VALU_DEP_1) | instskip(NEXT) | instid1(VALU_DEP_1)
	v_cvt_f16_f32_e32 v5, v5
	v_and_b32_e32 v5, 0xffff, v5
	global_store_b32 v[2:3], v5, off
.LBB10_266:
	s_mov_b32 s0, 0
.LBB10_267:
	s_delay_alu instid0(SALU_CYCLE_1)
	s_and_not1_b32 vcc_lo, exec_lo, s0
	s_cbranch_vccnz .LBB10_276
; %bb.268:
	v_cmp_gt_i16_e32 vcc_lo, 6, v6
	s_mov_b32 s0, -1
	s_cbranch_vccnz .LBB10_274
; %bb.269:
	v_cmp_lt_i16_e32 vcc_lo, 6, v6
	s_cbranch_vccz .LBB10_271
; %bb.270:
	s_mov_b32 s0, 0
	global_store_b64 v[2:3], v[60:61], off
.LBB10_271:
	s_and_not1_b32 vcc_lo, exec_lo, s0
	s_cbranch_vccnz .LBB10_273
; %bb.272:
	v_cvt_f32_f64_e32 v5, v[60:61]
	global_store_b32 v[2:3], v5, off
.LBB10_273:
	s_mov_b32 s0, 0
.LBB10_274:
	s_delay_alu instid0(SALU_CYCLE_1)
	s_and_not1_b32 vcc_lo, exec_lo, s0
	s_cbranch_vccnz .LBB10_276
; %bb.275:
	v_cvt_f32_f64_e32 v5, v[60:61]
	s_delay_alu instid0(VALU_DEP_1)
	v_cvt_f16_f32_e32 v5, v5
	global_store_b16 v[2:3], v5, off
.LBB10_276:
	s_mov_b32 s0, 0
.LBB10_277:
	s_delay_alu instid0(SALU_CYCLE_1)
	s_and_not1_b32 vcc_lo, exec_lo, s0
	s_cbranch_vccnz .LBB10_293
; %bb.278:
	v_cmp_gt_i16_e32 vcc_lo, 2, v6
	s_mov_b32 s0, -1
	s_cbranch_vccnz .LBB10_288
; %bb.279:
	v_cmp_gt_i16_e32 vcc_lo, 3, v6
	s_cbranch_vccnz .LBB10_285
; %bb.280:
	v_cmp_lt_i16_e32 vcc_lo, 3, v6
	s_cbranch_vccz .LBB10_282
; %bb.281:
	v_trunc_f64_e32 v[7:8], v[60:61]
	s_mov_b32 s0, 0
	s_delay_alu instid0(VALU_DEP_1) | instskip(NEXT) | instid1(VALU_DEP_1)
	v_ldexp_f64 v[9:10], v[7:8], 0xffffffe0
	v_floor_f64_e32 v[9:10], v[9:10]
	s_delay_alu instid0(VALU_DEP_1) | instskip(SKIP_1) | instid1(VALU_DEP_2)
	v_fma_f64 v[7:8], 0xc1f00000, v[9:10], v[7:8]
	v_cvt_i32_f64_e32 v9, v[9:10]
	v_cvt_u32_f64_e32 v8, v[7:8]
	global_store_b64 v[2:3], v[8:9], off
.LBB10_282:
	s_and_not1_b32 vcc_lo, exec_lo, s0
	s_cbranch_vccnz .LBB10_284
; %bb.283:
	v_cvt_i32_f64_e32 v5, v[60:61]
	global_store_b32 v[2:3], v5, off
.LBB10_284:
	s_mov_b32 s0, 0
.LBB10_285:
	s_delay_alu instid0(SALU_CYCLE_1)
	s_and_not1_b32 vcc_lo, exec_lo, s0
	s_cbranch_vccnz .LBB10_287
; %bb.286:
	v_cvt_i32_f64_e32 v5, v[60:61]
	global_store_b16 v[2:3], v5, off
.LBB10_287:
	s_mov_b32 s0, 0
.LBB10_288:
	s_delay_alu instid0(SALU_CYCLE_1)
	s_and_not1_b32 vcc_lo, exec_lo, s0
	s_cbranch_vccnz .LBB10_293
; %bb.289:
	v_cmp_lt_i16_e32 vcc_lo, 0, v6
	s_mov_b32 s0, -1
	s_cbranch_vccz .LBB10_291
; %bb.290:
	v_cvt_i32_f64_e32 v5, v[60:61]
	s_mov_b32 s0, 0
	global_store_b8 v[2:3], v5, off
.LBB10_291:
	s_and_not1_b32 vcc_lo, exec_lo, s0
	s_cbranch_vccnz .LBB10_293
; %bb.292:
	v_trunc_f64_e32 v[7:8], v[60:61]
	s_delay_alu instid0(VALU_DEP_1) | instskip(NEXT) | instid1(VALU_DEP_1)
	v_ldexp_f64 v[9:10], v[7:8], 0xffffffe0
	v_floor_f64_e32 v[9:10], v[9:10]
	s_delay_alu instid0(VALU_DEP_1) | instskip(NEXT) | instid1(VALU_DEP_1)
	v_fma_f64 v[7:8], 0xc1f00000, v[9:10], v[7:8]
	v_cvt_u32_f64_e32 v5, v[7:8]
	global_store_b8 v[2:3], v5, off
.LBB10_293:
.LBB10_294:
	s_lshl_b32 s2, s44, 7
	v_cmp_gt_i16_e32 vcc_lo, 11, v6
	v_add_nc_u32_e32 v4, s2, v4
	s_delay_alu instid0(VALU_DEP_1) | instskip(SKIP_1) | instid1(VALU_DEP_1)
	v_ashrrev_i32_e32 v3, 31, v4
	v_add_co_u32 v2, s0, s40, v4
	v_add_co_ci_u32_e64 v3, s0, s41, v3, s0
	s_cbranch_vccnz .LBB10_373
; %bb.295:
	v_cmp_lt_i16_e32 vcc_lo, 25, v6
	s_mov_b32 s5, -1
	s_mov_b32 s3, 0
	s_mov_b32 s4, 0
	;; [unrolled: 1-line block ×3, first 2 shown]
	s_cbranch_vccz .LBB10_328
; %bb.296:
	v_cmp_lt_i16_e32 vcc_lo, 28, v6
	s_cbranch_vccz .LBB10_311
; %bb.297:
	v_cmp_lt_i16_e32 vcc_lo, 43, v6
	;; [unrolled: 3-line block ×3, first 2 shown]
	s_cbranch_vccz .LBB10_301
; %bb.299:
	v_cmp_eq_u16_e32 vcc_lo, 46, v6
	s_mov_b32 s0, -1
	s_mov_b32 s5, 0
	s_cbranch_vccz .LBB10_301
; %bb.300:
	v_cvt_f32_f64_e32 v5, v[58:59]
	s_mov_b32 s0, 0
	s_mov_b32 s4, -1
	s_delay_alu instid0(VALU_DEP_1) | instskip(SKIP_1) | instid1(VALU_DEP_2)
	v_bfe_u32 v7, v5, 16, 1
	v_cmp_o_f32_e32 vcc_lo, v5, v5
	v_add3_u32 v7, v5, v7, 0x7fff
	s_delay_alu instid0(VALU_DEP_1) | instskip(NEXT) | instid1(VALU_DEP_1)
	v_lshrrev_b32_e32 v7, 16, v7
	v_cndmask_b32_e32 v5, 0x7fc0, v7, vcc_lo
	global_store_b32 v[2:3], v5, off
.LBB10_301:
	s_and_b32 vcc_lo, exec_lo, s5
	s_cbranch_vccz .LBB10_306
; %bb.302:
	v_cmp_eq_u16_e32 vcc_lo, 44, v6
	s_mov_b32 s0, -1
	s_cbranch_vccz .LBB10_306
; %bb.303:
	v_cvt_f32_f64_e32 v5, v[58:59]
	v_mov_b32_e32 v7, 0xff
	s_mov_b32 s4, exec_lo
	s_delay_alu instid0(VALU_DEP_2) | instskip(NEXT) | instid1(VALU_DEP_1)
	v_bfe_u32 v8, v5, 23, 8
	v_cmpx_ne_u32_e32 0xff, v8
; %bb.304:
	v_and_b32_e32 v7, 0x400000, v5
	v_and_or_b32 v8, 0x3fffff, v5, v8
	v_lshrrev_b32_e32 v5, 23, v5
	s_delay_alu instid0(VALU_DEP_3) | instskip(NEXT) | instid1(VALU_DEP_3)
	v_cmp_ne_u32_e32 vcc_lo, 0, v7
	v_cmp_ne_u32_e64 s0, 0, v8
	s_delay_alu instid0(VALU_DEP_1) | instskip(NEXT) | instid1(SALU_CYCLE_1)
	s_and_b32 s0, vcc_lo, s0
	v_cndmask_b32_e64 v7, 0, 1, s0
	s_delay_alu instid0(VALU_DEP_1)
	v_add_nc_u32_e32 v7, v5, v7
; %bb.305:
	s_or_b32 exec_lo, exec_lo, s4
	s_mov_b32 s0, 0
	s_mov_b32 s4, -1
	global_store_b8 v[2:3], v7, off
.LBB10_306:
	s_mov_b32 s5, 0
.LBB10_307:
	s_delay_alu instid0(SALU_CYCLE_1)
	s_and_b32 vcc_lo, exec_lo, s5
	s_cbranch_vccz .LBB10_310
; %bb.308:
	v_cmp_eq_u16_e32 vcc_lo, 29, v6
	s_mov_b32 s0, -1
	s_cbranch_vccz .LBB10_310
; %bb.309:
	v_trunc_f64_e32 v[7:8], v[58:59]
	s_mov_b32 s0, 0
	s_mov_b32 s4, -1
	s_delay_alu instid0(VALU_DEP_1) | instskip(NEXT) | instid1(VALU_DEP_1)
	v_ldexp_f64 v[9:10], v[7:8], 0xffffffe0
	v_floor_f64_e32 v[9:10], v[9:10]
	s_delay_alu instid0(VALU_DEP_1) | instskip(SKIP_1) | instid1(VALU_DEP_2)
	v_fma_f64 v[7:8], 0xc1f00000, v[9:10], v[7:8]
	v_cvt_u32_f64_e32 v9, v[9:10]
	v_cvt_u32_f64_e32 v8, v[7:8]
	global_store_b64 v[2:3], v[8:9], off
.LBB10_310:
	s_mov_b32 s5, 0
.LBB10_311:
	s_delay_alu instid0(SALU_CYCLE_1)
	s_and_b32 vcc_lo, exec_lo, s5
	s_cbranch_vccz .LBB10_327
; %bb.312:
	v_cmp_gt_i16_e32 vcc_lo, 27, v6
	s_mov_b32 s4, -1
	s_cbranch_vccnz .LBB10_318
; %bb.313:
	v_cvt_u32_f64_e32 v5, v[58:59]
	v_cmp_lt_i16_e32 vcc_lo, 27, v6
	s_cbranch_vccz .LBB10_315
; %bb.314:
	s_mov_b32 s4, 0
	global_store_b32 v[2:3], v5, off
.LBB10_315:
	s_and_not1_b32 vcc_lo, exec_lo, s4
	s_cbranch_vccnz .LBB10_317
; %bb.316:
	global_store_b16 v[2:3], v5, off
.LBB10_317:
	s_mov_b32 s4, 0
.LBB10_318:
	s_delay_alu instid0(SALU_CYCLE_1)
	s_and_not1_b32 vcc_lo, exec_lo, s4
	s_cbranch_vccnz .LBB10_326
; %bb.319:
	v_cvt_f32_f64_e32 v5, v[58:59]
	v_mov_b32_e32 v8, 0x80
	s_mov_b32 s4, exec_lo
	s_delay_alu instid0(VALU_DEP_2) | instskip(NEXT) | instid1(VALU_DEP_1)
	v_and_b32_e32 v7, 0x7fffffff, v5
	v_cmpx_gt_u32_e32 0x43800000, v7
	s_cbranch_execz .LBB10_325
; %bb.320:
	v_cmp_lt_u32_e32 vcc_lo, 0x3bffffff, v7
	s_mov_b32 s5, 0
                                        ; implicit-def: $vgpr7
	s_and_saveexec_b32 s6, vcc_lo
	s_delay_alu instid0(SALU_CYCLE_1)
	s_xor_b32 s6, exec_lo, s6
	s_cbranch_execz .LBB10_666
; %bb.321:
	v_bfe_u32 v7, v5, 20, 1
	s_mov_b32 s5, exec_lo
	s_delay_alu instid0(VALU_DEP_1) | instskip(NEXT) | instid1(VALU_DEP_1)
	v_add3_u32 v7, v5, v7, 0x487ffff
	v_lshrrev_b32_e32 v7, 20, v7
	s_or_saveexec_b32 s6, s6
                                        ; implicit-def: $sgpr7
	s_delay_alu instid0(SALU_CYCLE_1)
	s_xor_b32 exec_lo, exec_lo, s6
	s_cbranch_execnz .LBB10_667
.LBB10_322:
	s_or_b32 exec_lo, exec_lo, s6
	v_mov_b32_e32 v8, s7
	s_and_saveexec_b32 s6, s5
.LBB10_323:
	v_lshrrev_b32_e32 v5, 24, v5
	s_delay_alu instid0(VALU_DEP_1)
	v_and_or_b32 v8, 0x80, v5, v7
.LBB10_324:
	s_or_b32 exec_lo, exec_lo, s6
.LBB10_325:
	s_delay_alu instid0(SALU_CYCLE_1)
	s_or_b32 exec_lo, exec_lo, s4
	global_store_b8 v[2:3], v8, off
.LBB10_326:
	s_mov_b32 s4, -1
.LBB10_327:
	s_mov_b32 s5, 0
.LBB10_328:
	s_delay_alu instid0(SALU_CYCLE_1)
	s_and_b32 vcc_lo, exec_lo, s5
	s_cbranch_vccz .LBB10_368
; %bb.329:
	v_cmp_lt_i16_e32 vcc_lo, 22, v6
	s_mov_b32 s3, -1
	s_cbranch_vccz .LBB10_361
; %bb.330:
	v_cmp_gt_i16_e32 vcc_lo, 24, v6
	s_cbranch_vccnz .LBB10_350
; %bb.331:
	v_cmp_lt_i16_e32 vcc_lo, 24, v6
	s_cbranch_vccz .LBB10_339
; %bb.332:
	v_cvt_f32_f64_e32 v5, v[58:59]
	v_mov_b32_e32 v8, 0x80
	s_mov_b32 s3, exec_lo
	s_delay_alu instid0(VALU_DEP_2) | instskip(NEXT) | instid1(VALU_DEP_1)
	v_and_b32_e32 v7, 0x7fffffff, v5
	v_cmpx_gt_u32_e32 0x47800000, v7
	s_cbranch_execz .LBB10_338
; %bb.333:
	v_cmp_lt_u32_e32 vcc_lo, 0x37ffffff, v7
	s_mov_b32 s4, 0
                                        ; implicit-def: $vgpr7
	s_and_saveexec_b32 s5, vcc_lo
	s_delay_alu instid0(SALU_CYCLE_1)
	s_xor_b32 s5, exec_lo, s5
	s_cbranch_execz .LBB10_799
; %bb.334:
	v_bfe_u32 v7, v5, 21, 1
	s_mov_b32 s4, exec_lo
	s_delay_alu instid0(VALU_DEP_1) | instskip(NEXT) | instid1(VALU_DEP_1)
	v_add3_u32 v7, v5, v7, 0x88fffff
	v_lshrrev_b32_e32 v7, 21, v7
	s_or_saveexec_b32 s5, s5
                                        ; implicit-def: $sgpr6
	s_delay_alu instid0(SALU_CYCLE_1)
	s_xor_b32 exec_lo, exec_lo, s5
	s_cbranch_execnz .LBB10_800
.LBB10_335:
	s_or_b32 exec_lo, exec_lo, s5
	v_mov_b32_e32 v8, s6
	s_and_saveexec_b32 s5, s4
.LBB10_336:
	v_lshrrev_b32_e32 v5, 24, v5
	s_delay_alu instid0(VALU_DEP_1)
	v_and_or_b32 v8, 0x80, v5, v7
.LBB10_337:
	s_or_b32 exec_lo, exec_lo, s5
.LBB10_338:
	s_delay_alu instid0(SALU_CYCLE_1)
	s_or_b32 exec_lo, exec_lo, s3
	s_mov_b32 s3, 0
	global_store_b8 v[2:3], v8, off
.LBB10_339:
	s_and_b32 vcc_lo, exec_lo, s3
	s_cbranch_vccz .LBB10_349
; %bb.340:
	v_cvt_f32_f64_e32 v5, v[58:59]
	s_mov_b32 s3, exec_lo
                                        ; implicit-def: $vgpr7
	s_delay_alu instid0(VALU_DEP_1) | instskip(NEXT) | instid1(VALU_DEP_1)
	v_and_b32_e32 v8, 0x7fffffff, v5
	v_cmpx_gt_u32_e32 0x43f00000, v8
	s_xor_b32 s3, exec_lo, s3
	s_cbranch_execz .LBB10_346
; %bb.341:
	s_mov_b32 s4, exec_lo
                                        ; implicit-def: $vgpr7
	v_cmpx_lt_u32_e32 0x3c7fffff, v8
	s_xor_b32 s4, exec_lo, s4
; %bb.342:
	v_bfe_u32 v7, v5, 20, 1
	s_delay_alu instid0(VALU_DEP_1) | instskip(NEXT) | instid1(VALU_DEP_1)
	v_add3_u32 v7, v5, v7, 0x407ffff
	v_and_b32_e32 v8, 0xff00000, v7
	v_lshrrev_b32_e32 v7, 20, v7
	s_delay_alu instid0(VALU_DEP_2) | instskip(NEXT) | instid1(VALU_DEP_2)
	v_cmp_ne_u32_e32 vcc_lo, 0x7f00000, v8
	v_cndmask_b32_e32 v7, 0x7e, v7, vcc_lo
; %bb.343:
	s_and_not1_saveexec_b32 s4, s4
; %bb.344:
	v_add_f32_e64 v7, 0x46800000, |v5|
; %bb.345:
	s_or_b32 exec_lo, exec_lo, s4
                                        ; implicit-def: $vgpr8
.LBB10_346:
	s_and_not1_saveexec_b32 s3, s3
; %bb.347:
	v_mov_b32_e32 v7, 0x7f
	v_cmp_lt_u32_e32 vcc_lo, 0x7f800000, v8
	s_delay_alu instid0(VALU_DEP_2)
	v_cndmask_b32_e32 v7, 0x7e, v7, vcc_lo
; %bb.348:
	s_or_b32 exec_lo, exec_lo, s3
	v_lshrrev_b32_e32 v5, 24, v5
	s_delay_alu instid0(VALU_DEP_1)
	v_and_or_b32 v5, 0x80, v5, v7
	global_store_b8 v[2:3], v5, off
.LBB10_349:
	s_mov_b32 s3, 0
.LBB10_350:
	s_delay_alu instid0(SALU_CYCLE_1)
	s_and_not1_b32 vcc_lo, exec_lo, s3
	s_cbranch_vccnz .LBB10_360
; %bb.351:
	v_cvt_f32_f64_e32 v5, v[58:59]
	s_mov_b32 s3, exec_lo
                                        ; implicit-def: $vgpr7
	s_delay_alu instid0(VALU_DEP_1) | instskip(NEXT) | instid1(VALU_DEP_1)
	v_and_b32_e32 v8, 0x7fffffff, v5
	v_cmpx_gt_u32_e32 0x47800000, v8
	s_xor_b32 s3, exec_lo, s3
	s_cbranch_execz .LBB10_357
; %bb.352:
	s_mov_b32 s4, exec_lo
                                        ; implicit-def: $vgpr7
	v_cmpx_lt_u32_e32 0x387fffff, v8
	s_xor_b32 s4, exec_lo, s4
; %bb.353:
	v_bfe_u32 v7, v5, 21, 1
	s_delay_alu instid0(VALU_DEP_1) | instskip(NEXT) | instid1(VALU_DEP_1)
	v_add3_u32 v7, v5, v7, 0x80fffff
	v_lshrrev_b32_e32 v7, 21, v7
; %bb.354:
	s_and_not1_saveexec_b32 s4, s4
; %bb.355:
	v_add_f32_e64 v7, 0x43000000, |v5|
; %bb.356:
	s_or_b32 exec_lo, exec_lo, s4
                                        ; implicit-def: $vgpr8
.LBB10_357:
	s_and_not1_saveexec_b32 s3, s3
; %bb.358:
	v_mov_b32_e32 v7, 0x7f
	v_cmp_lt_u32_e32 vcc_lo, 0x7f800000, v8
	s_delay_alu instid0(VALU_DEP_2)
	v_cndmask_b32_e32 v7, 0x7c, v7, vcc_lo
; %bb.359:
	s_or_b32 exec_lo, exec_lo, s3
	v_lshrrev_b32_e32 v5, 24, v5
	s_delay_alu instid0(VALU_DEP_1)
	v_and_or_b32 v5, 0x80, v5, v7
	global_store_b8 v[2:3], v5, off
.LBB10_360:
	s_mov_b32 s3, 0
	s_mov_b32 s4, -1
.LBB10_361:
	s_and_not1_b32 vcc_lo, exec_lo, s3
	s_mov_b32 s3, 0
	s_cbranch_vccnz .LBB10_368
; %bb.362:
	v_cmp_lt_i16_e32 vcc_lo, 14, v6
	s_mov_b32 s3, -1
	s_cbranch_vccz .LBB10_366
; %bb.363:
	v_cmp_eq_u16_e32 vcc_lo, 15, v6
	s_mov_b32 s0, -1
	s_cbranch_vccz .LBB10_365
; %bb.364:
	v_cvt_f32_f64_e32 v5, v[58:59]
	s_mov_b32 s0, 0
	s_mov_b32 s4, -1
	s_delay_alu instid0(VALU_DEP_1) | instskip(SKIP_1) | instid1(VALU_DEP_2)
	v_bfe_u32 v7, v5, 16, 1
	v_cmp_o_f32_e32 vcc_lo, v5, v5
	v_add3_u32 v7, v5, v7, 0x7fff
	s_delay_alu instid0(VALU_DEP_1) | instskip(NEXT) | instid1(VALU_DEP_1)
	v_lshrrev_b32_e32 v7, 16, v7
	v_cndmask_b32_e32 v5, 0x7fc0, v7, vcc_lo
	global_store_b16 v[2:3], v5, off
.LBB10_365:
	s_mov_b32 s3, 0
.LBB10_366:
	s_delay_alu instid0(SALU_CYCLE_1)
	s_and_b32 vcc_lo, exec_lo, s3
	s_mov_b32 s3, 0
	s_cbranch_vccz .LBB10_368
; %bb.367:
	v_cmp_ne_u16_e64 s0, 11, v6
	s_mov_b32 s3, -1
.LBB10_368:
	s_delay_alu instid0(VALU_DEP_1)
	s_and_b32 vcc_lo, exec_lo, s0
	s_cbranch_vccnz .LBB10_670
; %bb.369:
	s_and_not1_b32 vcc_lo, exec_lo, s3
	s_cbranch_vccnz .LBB10_371
.LBB10_370:
	v_cmp_neq_f64_e32 vcc_lo, 0, v[58:59]
	s_mov_b32 s4, -1
	v_cndmask_b32_e64 v5, 0, 1, vcc_lo
	global_store_b8 v[2:3], v5, off
.LBB10_371:
.LBB10_372:
	s_and_not1_b32 vcc_lo, exec_lo, s4
	s_cbranch_vccz .LBB10_412
	s_branch .LBB10_609
.LBB10_373:
	s_mov_b32 s4, 0
	s_cbranch_execz .LBB10_372
; %bb.374:
	v_cmp_gt_i16_e32 vcc_lo, 5, v6
	s_mov_b32 s0, -1
	s_cbranch_vccnz .LBB10_395
; %bb.375:
	v_cmp_gt_i16_e32 vcc_lo, 8, v6
	s_cbranch_vccnz .LBB10_385
; %bb.376:
	v_cmp_gt_i16_e32 vcc_lo, 9, v6
	s_cbranch_vccnz .LBB10_382
; %bb.377:
	v_cmp_lt_i16_e32 vcc_lo, 9, v6
	s_cbranch_vccz .LBB10_379
; %bb.378:
	v_mov_b32_e32 v60, 0
	s_mov_b32 s0, 0
	s_delay_alu instid0(VALU_DEP_1)
	v_mov_b32_e32 v61, v60
	global_store_b128 v[2:3], v[58:61], off
.LBB10_379:
	s_and_not1_b32 vcc_lo, exec_lo, s0
	s_cbranch_vccnz .LBB10_381
; %bb.380:
	v_cvt_f32_f64_e32 v7, v[58:59]
	v_mov_b32_e32 v8, 0
	global_store_b64 v[2:3], v[7:8], off
.LBB10_381:
	s_mov_b32 s0, 0
.LBB10_382:
	s_delay_alu instid0(SALU_CYCLE_1)
	s_and_not1_b32 vcc_lo, exec_lo, s0
	s_cbranch_vccnz .LBB10_384
; %bb.383:
	v_cvt_f32_f64_e32 v5, v[58:59]
	s_delay_alu instid0(VALU_DEP_1) | instskip(NEXT) | instid1(VALU_DEP_1)
	v_cvt_f16_f32_e32 v5, v5
	v_and_b32_e32 v5, 0xffff, v5
	global_store_b32 v[2:3], v5, off
.LBB10_384:
	s_mov_b32 s0, 0
.LBB10_385:
	s_delay_alu instid0(SALU_CYCLE_1)
	s_and_not1_b32 vcc_lo, exec_lo, s0
	s_cbranch_vccnz .LBB10_394
; %bb.386:
	v_cmp_gt_i16_e32 vcc_lo, 6, v6
	s_mov_b32 s0, -1
	s_cbranch_vccnz .LBB10_392
; %bb.387:
	v_cmp_lt_i16_e32 vcc_lo, 6, v6
	s_cbranch_vccz .LBB10_389
; %bb.388:
	s_mov_b32 s0, 0
	global_store_b64 v[2:3], v[58:59], off
.LBB10_389:
	s_and_not1_b32 vcc_lo, exec_lo, s0
	s_cbranch_vccnz .LBB10_391
; %bb.390:
	v_cvt_f32_f64_e32 v5, v[58:59]
	global_store_b32 v[2:3], v5, off
.LBB10_391:
	s_mov_b32 s0, 0
.LBB10_392:
	s_delay_alu instid0(SALU_CYCLE_1)
	s_and_not1_b32 vcc_lo, exec_lo, s0
	s_cbranch_vccnz .LBB10_394
; %bb.393:
	v_cvt_f32_f64_e32 v5, v[58:59]
	s_delay_alu instid0(VALU_DEP_1)
	v_cvt_f16_f32_e32 v5, v5
	global_store_b16 v[2:3], v5, off
.LBB10_394:
	s_mov_b32 s0, 0
.LBB10_395:
	s_delay_alu instid0(SALU_CYCLE_1)
	s_and_not1_b32 vcc_lo, exec_lo, s0
	s_cbranch_vccnz .LBB10_411
; %bb.396:
	v_cmp_gt_i16_e32 vcc_lo, 2, v6
	s_mov_b32 s0, -1
	s_cbranch_vccnz .LBB10_406
; %bb.397:
	v_cmp_gt_i16_e32 vcc_lo, 3, v6
	s_cbranch_vccnz .LBB10_403
; %bb.398:
	v_cmp_lt_i16_e32 vcc_lo, 3, v6
	s_cbranch_vccz .LBB10_400
; %bb.399:
	v_trunc_f64_e32 v[7:8], v[58:59]
	s_mov_b32 s0, 0
	s_delay_alu instid0(VALU_DEP_1) | instskip(NEXT) | instid1(VALU_DEP_1)
	v_ldexp_f64 v[9:10], v[7:8], 0xffffffe0
	v_floor_f64_e32 v[9:10], v[9:10]
	s_delay_alu instid0(VALU_DEP_1) | instskip(SKIP_1) | instid1(VALU_DEP_2)
	v_fma_f64 v[7:8], 0xc1f00000, v[9:10], v[7:8]
	v_cvt_i32_f64_e32 v9, v[9:10]
	v_cvt_u32_f64_e32 v8, v[7:8]
	global_store_b64 v[2:3], v[8:9], off
.LBB10_400:
	s_and_not1_b32 vcc_lo, exec_lo, s0
	s_cbranch_vccnz .LBB10_402
; %bb.401:
	v_cvt_i32_f64_e32 v5, v[58:59]
	global_store_b32 v[2:3], v5, off
.LBB10_402:
	s_mov_b32 s0, 0
.LBB10_403:
	s_delay_alu instid0(SALU_CYCLE_1)
	s_and_not1_b32 vcc_lo, exec_lo, s0
	s_cbranch_vccnz .LBB10_405
; %bb.404:
	v_cvt_i32_f64_e32 v5, v[58:59]
	global_store_b16 v[2:3], v5, off
.LBB10_405:
	s_mov_b32 s0, 0
.LBB10_406:
	s_delay_alu instid0(SALU_CYCLE_1)
	s_and_not1_b32 vcc_lo, exec_lo, s0
	s_cbranch_vccnz .LBB10_411
; %bb.407:
	v_cmp_lt_i16_e32 vcc_lo, 0, v6
	s_mov_b32 s0, -1
	s_cbranch_vccz .LBB10_409
; %bb.408:
	v_cvt_i32_f64_e32 v5, v[58:59]
	s_mov_b32 s0, 0
	global_store_b8 v[2:3], v5, off
.LBB10_409:
	s_and_not1_b32 vcc_lo, exec_lo, s0
	s_cbranch_vccnz .LBB10_411
; %bb.410:
	v_trunc_f64_e32 v[7:8], v[58:59]
	s_delay_alu instid0(VALU_DEP_1) | instskip(NEXT) | instid1(VALU_DEP_1)
	v_ldexp_f64 v[9:10], v[7:8], 0xffffffe0
	v_floor_f64_e32 v[9:10], v[9:10]
	s_delay_alu instid0(VALU_DEP_1) | instskip(NEXT) | instid1(VALU_DEP_1)
	v_fma_f64 v[7:8], 0xc1f00000, v[9:10], v[7:8]
	v_cvt_u32_f64_e32 v5, v[7:8]
	global_store_b8 v[2:3], v5, off
.LBB10_411:
.LBB10_412:
	v_add_nc_u32_e32 v4, s2, v4
	v_cmp_gt_i16_e32 vcc_lo, 11, v6
	s_delay_alu instid0(VALU_DEP_2) | instskip(SKIP_1) | instid1(VALU_DEP_1)
	v_ashrrev_i32_e32 v3, 31, v4
	v_add_co_u32 v2, s0, s40, v4
	v_add_co_ci_u32_e64 v3, s0, s41, v3, s0
	s_cbranch_vccnz .LBB10_570
; %bb.413:
	v_cmp_lt_i16_e32 vcc_lo, 25, v6
	s_mov_b32 s5, -1
	s_mov_b32 s3, 0
	s_mov_b32 s4, 0
	;; [unrolled: 1-line block ×3, first 2 shown]
	s_cbranch_vccz .LBB10_446
; %bb.414:
	v_cmp_lt_i16_e32 vcc_lo, 28, v6
	s_cbranch_vccz .LBB10_429
; %bb.415:
	v_cmp_lt_i16_e32 vcc_lo, 43, v6
	;; [unrolled: 3-line block ×3, first 2 shown]
	s_cbranch_vccz .LBB10_419
; %bb.417:
	v_cmp_eq_u16_e32 vcc_lo, 46, v6
	s_mov_b32 s0, -1
	s_mov_b32 s5, 0
	s_cbranch_vccz .LBB10_419
; %bb.418:
	v_cvt_f32_f64_e32 v5, v[56:57]
	s_mov_b32 s0, 0
	s_mov_b32 s4, -1
	s_delay_alu instid0(VALU_DEP_1) | instskip(SKIP_1) | instid1(VALU_DEP_2)
	v_bfe_u32 v7, v5, 16, 1
	v_cmp_o_f32_e32 vcc_lo, v5, v5
	v_add3_u32 v7, v5, v7, 0x7fff
	s_delay_alu instid0(VALU_DEP_1) | instskip(NEXT) | instid1(VALU_DEP_1)
	v_lshrrev_b32_e32 v7, 16, v7
	v_cndmask_b32_e32 v5, 0x7fc0, v7, vcc_lo
	global_store_b32 v[2:3], v5, off
.LBB10_419:
	s_and_b32 vcc_lo, exec_lo, s5
	s_cbranch_vccz .LBB10_424
; %bb.420:
	v_cmp_eq_u16_e32 vcc_lo, 44, v6
	s_mov_b32 s0, -1
	s_cbranch_vccz .LBB10_424
; %bb.421:
	v_cvt_f32_f64_e32 v5, v[56:57]
	v_mov_b32_e32 v7, 0xff
	s_mov_b32 s4, exec_lo
	s_delay_alu instid0(VALU_DEP_2) | instskip(NEXT) | instid1(VALU_DEP_1)
	v_bfe_u32 v8, v5, 23, 8
	v_cmpx_ne_u32_e32 0xff, v8
; %bb.422:
	v_and_b32_e32 v7, 0x400000, v5
	v_and_or_b32 v8, 0x3fffff, v5, v8
	v_lshrrev_b32_e32 v5, 23, v5
	s_delay_alu instid0(VALU_DEP_3) | instskip(NEXT) | instid1(VALU_DEP_3)
	v_cmp_ne_u32_e32 vcc_lo, 0, v7
	v_cmp_ne_u32_e64 s0, 0, v8
	s_delay_alu instid0(VALU_DEP_1) | instskip(NEXT) | instid1(SALU_CYCLE_1)
	s_and_b32 s0, vcc_lo, s0
	v_cndmask_b32_e64 v7, 0, 1, s0
	s_delay_alu instid0(VALU_DEP_1)
	v_add_nc_u32_e32 v7, v5, v7
; %bb.423:
	s_or_b32 exec_lo, exec_lo, s4
	s_mov_b32 s0, 0
	s_mov_b32 s4, -1
	global_store_b8 v[2:3], v7, off
.LBB10_424:
	s_mov_b32 s5, 0
.LBB10_425:
	s_delay_alu instid0(SALU_CYCLE_1)
	s_and_b32 vcc_lo, exec_lo, s5
	s_cbranch_vccz .LBB10_428
; %bb.426:
	v_cmp_eq_u16_e32 vcc_lo, 29, v6
	s_mov_b32 s0, -1
	s_cbranch_vccz .LBB10_428
; %bb.427:
	v_trunc_f64_e32 v[7:8], v[56:57]
	s_mov_b32 s0, 0
	s_mov_b32 s4, -1
	s_delay_alu instid0(VALU_DEP_1) | instskip(NEXT) | instid1(VALU_DEP_1)
	v_ldexp_f64 v[9:10], v[7:8], 0xffffffe0
	v_floor_f64_e32 v[9:10], v[9:10]
	s_delay_alu instid0(VALU_DEP_1) | instskip(SKIP_1) | instid1(VALU_DEP_2)
	v_fma_f64 v[7:8], 0xc1f00000, v[9:10], v[7:8]
	v_cvt_u32_f64_e32 v9, v[9:10]
	v_cvt_u32_f64_e32 v8, v[7:8]
	global_store_b64 v[2:3], v[8:9], off
.LBB10_428:
	s_mov_b32 s5, 0
.LBB10_429:
	s_delay_alu instid0(SALU_CYCLE_1)
	s_and_b32 vcc_lo, exec_lo, s5
	s_cbranch_vccz .LBB10_445
; %bb.430:
	v_cmp_gt_i16_e32 vcc_lo, 27, v6
	s_mov_b32 s4, -1
	s_cbranch_vccnz .LBB10_436
; %bb.431:
	v_cvt_u32_f64_e32 v5, v[56:57]
	v_cmp_lt_i16_e32 vcc_lo, 27, v6
	s_cbranch_vccz .LBB10_433
; %bb.432:
	s_mov_b32 s4, 0
	global_store_b32 v[2:3], v5, off
.LBB10_433:
	s_and_not1_b32 vcc_lo, exec_lo, s4
	s_cbranch_vccnz .LBB10_435
; %bb.434:
	global_store_b16 v[2:3], v5, off
.LBB10_435:
	s_mov_b32 s4, 0
.LBB10_436:
	s_delay_alu instid0(SALU_CYCLE_1)
	s_and_not1_b32 vcc_lo, exec_lo, s4
	s_cbranch_vccnz .LBB10_444
; %bb.437:
	v_cvt_f32_f64_e32 v5, v[56:57]
	v_mov_b32_e32 v8, 0x80
	s_mov_b32 s4, exec_lo
	s_delay_alu instid0(VALU_DEP_2) | instskip(NEXT) | instid1(VALU_DEP_1)
	v_and_b32_e32 v7, 0x7fffffff, v5
	v_cmpx_gt_u32_e32 0x43800000, v7
	s_cbranch_execz .LBB10_443
; %bb.438:
	v_cmp_lt_u32_e32 vcc_lo, 0x3bffffff, v7
	s_mov_b32 s5, 0
                                        ; implicit-def: $vgpr7
	s_and_saveexec_b32 s6, vcc_lo
	s_delay_alu instid0(SALU_CYCLE_1)
	s_xor_b32 s6, exec_lo, s6
	s_cbranch_execz .LBB10_801
; %bb.439:
	v_bfe_u32 v7, v5, 20, 1
	s_mov_b32 s5, exec_lo
	s_delay_alu instid0(VALU_DEP_1) | instskip(NEXT) | instid1(VALU_DEP_1)
	v_add3_u32 v7, v5, v7, 0x487ffff
	v_lshrrev_b32_e32 v7, 20, v7
	s_or_saveexec_b32 s6, s6
                                        ; implicit-def: $sgpr7
	s_delay_alu instid0(SALU_CYCLE_1)
	s_xor_b32 exec_lo, exec_lo, s6
	s_cbranch_execnz .LBB10_802
.LBB10_440:
	s_or_b32 exec_lo, exec_lo, s6
	v_mov_b32_e32 v8, s7
	s_and_saveexec_b32 s6, s5
.LBB10_441:
	v_lshrrev_b32_e32 v5, 24, v5
	s_delay_alu instid0(VALU_DEP_1)
	v_and_or_b32 v8, 0x80, v5, v7
.LBB10_442:
	s_or_b32 exec_lo, exec_lo, s6
.LBB10_443:
	s_delay_alu instid0(SALU_CYCLE_1)
	s_or_b32 exec_lo, exec_lo, s4
	global_store_b8 v[2:3], v8, off
.LBB10_444:
	s_mov_b32 s4, -1
.LBB10_445:
	s_mov_b32 s5, 0
.LBB10_446:
	s_delay_alu instid0(SALU_CYCLE_1)
	s_and_b32 vcc_lo, exec_lo, s5
	s_cbranch_vccz .LBB10_486
; %bb.447:
	v_cmp_lt_i16_e32 vcc_lo, 22, v6
	s_mov_b32 s3, -1
	s_cbranch_vccz .LBB10_479
; %bb.448:
	v_cmp_gt_i16_e32 vcc_lo, 24, v6
	s_cbranch_vccnz .LBB10_468
; %bb.449:
	v_cmp_lt_i16_e32 vcc_lo, 24, v6
	s_cbranch_vccz .LBB10_457
; %bb.450:
	v_cvt_f32_f64_e32 v5, v[56:57]
	v_mov_b32_e32 v8, 0x80
	s_mov_b32 s3, exec_lo
	s_delay_alu instid0(VALU_DEP_2) | instskip(NEXT) | instid1(VALU_DEP_1)
	v_and_b32_e32 v7, 0x7fffffff, v5
	v_cmpx_gt_u32_e32 0x47800000, v7
	s_cbranch_execz .LBB10_456
; %bb.451:
	v_cmp_lt_u32_e32 vcc_lo, 0x37ffffff, v7
	s_mov_b32 s4, 0
                                        ; implicit-def: $vgpr7
	s_and_saveexec_b32 s5, vcc_lo
	s_delay_alu instid0(SALU_CYCLE_1)
	s_xor_b32 s5, exec_lo, s5
	s_cbranch_execz .LBB10_934
; %bb.452:
	v_bfe_u32 v7, v5, 21, 1
	s_mov_b32 s4, exec_lo
	s_delay_alu instid0(VALU_DEP_1) | instskip(NEXT) | instid1(VALU_DEP_1)
	v_add3_u32 v7, v5, v7, 0x88fffff
	v_lshrrev_b32_e32 v7, 21, v7
	s_or_saveexec_b32 s5, s5
                                        ; implicit-def: $sgpr6
	s_delay_alu instid0(SALU_CYCLE_1)
	s_xor_b32 exec_lo, exec_lo, s5
	s_cbranch_execnz .LBB10_935
.LBB10_453:
	s_or_b32 exec_lo, exec_lo, s5
	v_mov_b32_e32 v8, s6
	s_and_saveexec_b32 s5, s4
.LBB10_454:
	v_lshrrev_b32_e32 v5, 24, v5
	s_delay_alu instid0(VALU_DEP_1)
	v_and_or_b32 v8, 0x80, v5, v7
.LBB10_455:
	s_or_b32 exec_lo, exec_lo, s5
.LBB10_456:
	s_delay_alu instid0(SALU_CYCLE_1)
	s_or_b32 exec_lo, exec_lo, s3
	s_mov_b32 s3, 0
	global_store_b8 v[2:3], v8, off
.LBB10_457:
	s_and_b32 vcc_lo, exec_lo, s3
	s_cbranch_vccz .LBB10_467
; %bb.458:
	v_cvt_f32_f64_e32 v5, v[56:57]
	s_mov_b32 s3, exec_lo
                                        ; implicit-def: $vgpr7
	s_delay_alu instid0(VALU_DEP_1) | instskip(NEXT) | instid1(VALU_DEP_1)
	v_and_b32_e32 v8, 0x7fffffff, v5
	v_cmpx_gt_u32_e32 0x43f00000, v8
	s_xor_b32 s3, exec_lo, s3
	s_cbranch_execz .LBB10_464
; %bb.459:
	s_mov_b32 s4, exec_lo
                                        ; implicit-def: $vgpr7
	v_cmpx_lt_u32_e32 0x3c7fffff, v8
	s_xor_b32 s4, exec_lo, s4
; %bb.460:
	v_bfe_u32 v7, v5, 20, 1
	s_delay_alu instid0(VALU_DEP_1) | instskip(NEXT) | instid1(VALU_DEP_1)
	v_add3_u32 v7, v5, v7, 0x407ffff
	v_and_b32_e32 v8, 0xff00000, v7
	v_lshrrev_b32_e32 v7, 20, v7
	s_delay_alu instid0(VALU_DEP_2) | instskip(NEXT) | instid1(VALU_DEP_2)
	v_cmp_ne_u32_e32 vcc_lo, 0x7f00000, v8
	v_cndmask_b32_e32 v7, 0x7e, v7, vcc_lo
; %bb.461:
	s_and_not1_saveexec_b32 s4, s4
; %bb.462:
	v_add_f32_e64 v7, 0x46800000, |v5|
; %bb.463:
	s_or_b32 exec_lo, exec_lo, s4
                                        ; implicit-def: $vgpr8
.LBB10_464:
	s_and_not1_saveexec_b32 s3, s3
; %bb.465:
	v_mov_b32_e32 v7, 0x7f
	v_cmp_lt_u32_e32 vcc_lo, 0x7f800000, v8
	s_delay_alu instid0(VALU_DEP_2)
	v_cndmask_b32_e32 v7, 0x7e, v7, vcc_lo
; %bb.466:
	s_or_b32 exec_lo, exec_lo, s3
	v_lshrrev_b32_e32 v5, 24, v5
	s_delay_alu instid0(VALU_DEP_1)
	v_and_or_b32 v5, 0x80, v5, v7
	global_store_b8 v[2:3], v5, off
.LBB10_467:
	s_mov_b32 s3, 0
.LBB10_468:
	s_delay_alu instid0(SALU_CYCLE_1)
	s_and_not1_b32 vcc_lo, exec_lo, s3
	s_cbranch_vccnz .LBB10_478
; %bb.469:
	v_cvt_f32_f64_e32 v5, v[56:57]
	s_mov_b32 s3, exec_lo
                                        ; implicit-def: $vgpr7
	s_delay_alu instid0(VALU_DEP_1) | instskip(NEXT) | instid1(VALU_DEP_1)
	v_and_b32_e32 v8, 0x7fffffff, v5
	v_cmpx_gt_u32_e32 0x47800000, v8
	s_xor_b32 s3, exec_lo, s3
	s_cbranch_execz .LBB10_475
; %bb.470:
	s_mov_b32 s4, exec_lo
                                        ; implicit-def: $vgpr7
	v_cmpx_lt_u32_e32 0x387fffff, v8
	s_xor_b32 s4, exec_lo, s4
; %bb.471:
	v_bfe_u32 v7, v5, 21, 1
	s_delay_alu instid0(VALU_DEP_1) | instskip(NEXT) | instid1(VALU_DEP_1)
	v_add3_u32 v7, v5, v7, 0x80fffff
	v_lshrrev_b32_e32 v7, 21, v7
; %bb.472:
	s_and_not1_saveexec_b32 s4, s4
; %bb.473:
	v_add_f32_e64 v7, 0x43000000, |v5|
; %bb.474:
	s_or_b32 exec_lo, exec_lo, s4
                                        ; implicit-def: $vgpr8
.LBB10_475:
	s_and_not1_saveexec_b32 s3, s3
; %bb.476:
	v_mov_b32_e32 v7, 0x7f
	v_cmp_lt_u32_e32 vcc_lo, 0x7f800000, v8
	s_delay_alu instid0(VALU_DEP_2)
	v_cndmask_b32_e32 v7, 0x7c, v7, vcc_lo
; %bb.477:
	s_or_b32 exec_lo, exec_lo, s3
	v_lshrrev_b32_e32 v5, 24, v5
	s_delay_alu instid0(VALU_DEP_1)
	v_and_or_b32 v5, 0x80, v5, v7
	global_store_b8 v[2:3], v5, off
.LBB10_478:
	s_mov_b32 s3, 0
	s_mov_b32 s4, -1
.LBB10_479:
	s_and_not1_b32 vcc_lo, exec_lo, s3
	s_mov_b32 s3, 0
	s_cbranch_vccnz .LBB10_486
; %bb.480:
	v_cmp_lt_i16_e32 vcc_lo, 14, v6
	s_mov_b32 s3, -1
	s_cbranch_vccz .LBB10_484
; %bb.481:
	v_cmp_eq_u16_e32 vcc_lo, 15, v6
	s_mov_b32 s0, -1
	s_cbranch_vccz .LBB10_483
; %bb.482:
	v_cvt_f32_f64_e32 v5, v[56:57]
	s_mov_b32 s0, 0
	s_mov_b32 s4, -1
	s_delay_alu instid0(VALU_DEP_1) | instskip(SKIP_1) | instid1(VALU_DEP_2)
	v_bfe_u32 v7, v5, 16, 1
	v_cmp_o_f32_e32 vcc_lo, v5, v5
	v_add3_u32 v7, v5, v7, 0x7fff
	s_delay_alu instid0(VALU_DEP_1) | instskip(NEXT) | instid1(VALU_DEP_1)
	v_lshrrev_b32_e32 v7, 16, v7
	v_cndmask_b32_e32 v5, 0x7fc0, v7, vcc_lo
	global_store_b16 v[2:3], v5, off
.LBB10_483:
	s_mov_b32 s3, 0
.LBB10_484:
	s_delay_alu instid0(SALU_CYCLE_1)
	s_and_b32 vcc_lo, exec_lo, s3
	s_mov_b32 s3, 0
	s_cbranch_vccz .LBB10_486
; %bb.485:
	v_cmp_ne_u16_e64 s0, 11, v6
	s_mov_b32 s3, -1
.LBB10_486:
	s_delay_alu instid0(VALU_DEP_1)
	s_and_b32 vcc_lo, exec_lo, s0
	s_cbranch_vccnz .LBB10_805
; %bb.487:
	s_and_not1_b32 vcc_lo, exec_lo, s3
	s_cbranch_vccnz .LBB10_489
.LBB10_488:
	v_cmp_neq_f64_e32 vcc_lo, 0, v[56:57]
	s_mov_b32 s4, -1
	v_cndmask_b32_e64 v5, 0, 1, vcc_lo
	global_store_b8 v[2:3], v5, off
.LBB10_489:
.LBB10_490:
	s_and_not1_b32 vcc_lo, exec_lo, s4
	s_cbranch_vccnz .LBB10_609
.LBB10_491:
	v_add_nc_u32_e32 v2, s2, v4
	v_cmp_gt_i16_e32 vcc_lo, 11, v6
	s_delay_alu instid0(VALU_DEP_2) | instskip(SKIP_1) | instid1(VALU_DEP_1)
	v_ashrrev_i32_e32 v3, 31, v2
	v_add_co_u32 v4, s0, s40, v2
	v_add_co_ci_u32_e64 v5, s0, s41, v3, s0
	s_cbranch_vccnz .LBB10_655
; %bb.492:
	v_cmp_lt_i16_e32 vcc_lo, 25, v6
	s_mov_b32 s3, -1
	s_mov_b32 s2, 0
	s_mov_b32 s0, 0
	s_cbranch_vccz .LBB10_525
; %bb.493:
	v_cmp_lt_i16_e32 vcc_lo, 28, v6
	s_cbranch_vccz .LBB10_509
; %bb.494:
	v_cmp_lt_i16_e32 vcc_lo, 43, v6
	;; [unrolled: 3-line block ×3, first 2 shown]
	s_cbranch_vccz .LBB10_499
; %bb.496:
	v_cmp_eq_u16_e32 vcc_lo, 46, v6
	s_mov_b32 s0, -1
	s_cbranch_vccz .LBB10_498
; %bb.497:
	v_cvt_f32_f64_e32 v2, v[0:1]
	s_mov_b32 s0, 0
	s_delay_alu instid0(VALU_DEP_1) | instskip(SKIP_1) | instid1(VALU_DEP_2)
	v_bfe_u32 v3, v2, 16, 1
	v_cmp_o_f32_e32 vcc_lo, v2, v2
	v_add3_u32 v3, v2, v3, 0x7fff
	s_delay_alu instid0(VALU_DEP_1) | instskip(NEXT) | instid1(VALU_DEP_1)
	v_lshrrev_b32_e32 v3, 16, v3
	v_cndmask_b32_e32 v2, 0x7fc0, v3, vcc_lo
	global_store_b32 v[4:5], v2, off
.LBB10_498:
	s_mov_b32 s3, 0
.LBB10_499:
	s_delay_alu instid0(SALU_CYCLE_1)
	s_and_b32 vcc_lo, exec_lo, s3
	s_cbranch_vccz .LBB10_504
; %bb.500:
	v_cmp_eq_u16_e32 vcc_lo, 44, v6
	s_mov_b32 s0, -1
	s_cbranch_vccz .LBB10_504
; %bb.501:
	v_cvt_f32_f64_e32 v2, v[0:1]
	v_mov_b32_e32 v3, 0xff
	s_mov_b32 s3, exec_lo
	s_delay_alu instid0(VALU_DEP_2) | instskip(NEXT) | instid1(VALU_DEP_1)
	v_bfe_u32 v7, v2, 23, 8
	v_cmpx_ne_u32_e32 0xff, v7
; %bb.502:
	v_and_b32_e32 v3, 0x400000, v2
	v_and_or_b32 v7, 0x3fffff, v2, v7
	v_lshrrev_b32_e32 v2, 23, v2
	s_delay_alu instid0(VALU_DEP_3) | instskip(NEXT) | instid1(VALU_DEP_3)
	v_cmp_ne_u32_e32 vcc_lo, 0, v3
	v_cmp_ne_u32_e64 s0, 0, v7
	s_delay_alu instid0(VALU_DEP_1) | instskip(NEXT) | instid1(SALU_CYCLE_1)
	s_and_b32 s0, vcc_lo, s0
	v_cndmask_b32_e64 v3, 0, 1, s0
	s_delay_alu instid0(VALU_DEP_1)
	v_add_nc_u32_e32 v3, v2, v3
; %bb.503:
	s_or_b32 exec_lo, exec_lo, s3
	s_mov_b32 s0, 0
	global_store_b8 v[4:5], v3, off
.LBB10_504:
	s_mov_b32 s3, 0
.LBB10_505:
	s_delay_alu instid0(SALU_CYCLE_1)
	s_and_b32 vcc_lo, exec_lo, s3
	s_cbranch_vccz .LBB10_508
; %bb.506:
	v_cmp_eq_u16_e32 vcc_lo, 29, v6
	s_mov_b32 s0, -1
	s_cbranch_vccz .LBB10_508
; %bb.507:
	v_trunc_f64_e32 v[2:3], v[0:1]
	s_mov_b32 s0, 0
	s_delay_alu instid0(VALU_DEP_1) | instskip(NEXT) | instid1(VALU_DEP_1)
	v_ldexp_f64 v[7:8], v[2:3], 0xffffffe0
	v_floor_f64_e32 v[7:8], v[7:8]
	s_delay_alu instid0(VALU_DEP_1) | instskip(SKIP_1) | instid1(VALU_DEP_2)
	v_fma_f64 v[2:3], 0xc1f00000, v[7:8], v[2:3]
	v_cvt_u32_f64_e32 v8, v[7:8]
	v_cvt_u32_f64_e32 v7, v[2:3]
	global_store_b64 v[4:5], v[7:8], off
.LBB10_508:
	s_mov_b32 s3, 0
.LBB10_509:
	s_delay_alu instid0(SALU_CYCLE_1)
	s_and_b32 vcc_lo, exec_lo, s3
	s_cbranch_vccz .LBB10_524
; %bb.510:
	v_cmp_gt_i16_e32 vcc_lo, 27, v6
	s_mov_b32 s3, -1
	s_cbranch_vccnz .LBB10_516
; %bb.511:
	v_cvt_u32_f64_e32 v2, v[0:1]
	v_cmp_lt_i16_e32 vcc_lo, 27, v6
	s_cbranch_vccz .LBB10_513
; %bb.512:
	s_mov_b32 s3, 0
	global_store_b32 v[4:5], v2, off
.LBB10_513:
	s_and_not1_b32 vcc_lo, exec_lo, s3
	s_cbranch_vccnz .LBB10_515
; %bb.514:
	global_store_b16 v[4:5], v2, off
.LBB10_515:
	s_mov_b32 s3, 0
.LBB10_516:
	s_delay_alu instid0(SALU_CYCLE_1)
	s_and_not1_b32 vcc_lo, exec_lo, s3
	s_cbranch_vccnz .LBB10_524
; %bb.517:
	v_cvt_f32_f64_e32 v2, v[0:1]
	v_mov_b32_e32 v7, 0x80
	s_mov_b32 s3, exec_lo
	s_delay_alu instid0(VALU_DEP_2) | instskip(NEXT) | instid1(VALU_DEP_1)
	v_and_b32_e32 v3, 0x7fffffff, v2
	v_cmpx_gt_u32_e32 0x43800000, v3
	s_cbranch_execz .LBB10_523
; %bb.518:
	v_cmp_lt_u32_e32 vcc_lo, 0x3bffffff, v3
	s_mov_b32 s4, 0
                                        ; implicit-def: $vgpr3
	s_and_saveexec_b32 s5, vcc_lo
	s_delay_alu instid0(SALU_CYCLE_1)
	s_xor_b32 s5, exec_lo, s5
	s_cbranch_execz .LBB10_936
; %bb.519:
	v_bfe_u32 v3, v2, 20, 1
	s_mov_b32 s4, exec_lo
	s_delay_alu instid0(VALU_DEP_1) | instskip(NEXT) | instid1(VALU_DEP_1)
	v_add3_u32 v3, v2, v3, 0x487ffff
	v_lshrrev_b32_e32 v3, 20, v3
	s_or_saveexec_b32 s5, s5
                                        ; implicit-def: $sgpr6
	s_delay_alu instid0(SALU_CYCLE_1)
	s_xor_b32 exec_lo, exec_lo, s5
	s_cbranch_execnz .LBB10_937
.LBB10_520:
	s_or_b32 exec_lo, exec_lo, s5
	v_mov_b32_e32 v7, s6
	s_and_saveexec_b32 s5, s4
.LBB10_521:
	v_lshrrev_b32_e32 v2, 24, v2
	s_delay_alu instid0(VALU_DEP_1)
	v_and_or_b32 v7, 0x80, v2, v3
.LBB10_522:
	s_or_b32 exec_lo, exec_lo, s5
.LBB10_523:
	s_delay_alu instid0(SALU_CYCLE_1)
	s_or_b32 exec_lo, exec_lo, s3
	global_store_b8 v[4:5], v7, off
.LBB10_524:
	s_mov_b32 s3, 0
.LBB10_525:
	s_delay_alu instid0(SALU_CYCLE_1)
	s_and_b32 vcc_lo, exec_lo, s3
	s_cbranch_vccz .LBB10_565
; %bb.526:
	v_cmp_lt_i16_e32 vcc_lo, 22, v6
	s_mov_b32 s2, -1
	s_cbranch_vccz .LBB10_558
; %bb.527:
	v_cmp_gt_i16_e32 vcc_lo, 24, v6
	s_cbranch_vccnz .LBB10_547
; %bb.528:
	v_cmp_lt_i16_e32 vcc_lo, 24, v6
	s_cbranch_vccz .LBB10_536
; %bb.529:
	v_cvt_f32_f64_e32 v2, v[0:1]
	v_mov_b32_e32 v7, 0x80
	s_mov_b32 s2, exec_lo
	s_delay_alu instid0(VALU_DEP_2) | instskip(NEXT) | instid1(VALU_DEP_1)
	v_and_b32_e32 v3, 0x7fffffff, v2
	v_cmpx_gt_u32_e32 0x47800000, v3
	s_cbranch_execz .LBB10_535
; %bb.530:
	v_cmp_lt_u32_e32 vcc_lo, 0x37ffffff, v3
	s_mov_b32 s3, 0
                                        ; implicit-def: $vgpr3
	s_and_saveexec_b32 s4, vcc_lo
	s_delay_alu instid0(SALU_CYCLE_1)
	s_xor_b32 s4, exec_lo, s4
	s_cbranch_execz .LBB10_944
; %bb.531:
	v_bfe_u32 v3, v2, 21, 1
	s_mov_b32 s3, exec_lo
	s_delay_alu instid0(VALU_DEP_1) | instskip(NEXT) | instid1(VALU_DEP_1)
	v_add3_u32 v3, v2, v3, 0x88fffff
	v_lshrrev_b32_e32 v3, 21, v3
	s_or_saveexec_b32 s4, s4
                                        ; implicit-def: $sgpr5
	s_delay_alu instid0(SALU_CYCLE_1)
	s_xor_b32 exec_lo, exec_lo, s4
	s_cbranch_execnz .LBB10_945
.LBB10_532:
	s_or_b32 exec_lo, exec_lo, s4
	v_mov_b32_e32 v7, s5
	s_and_saveexec_b32 s4, s3
.LBB10_533:
	v_lshrrev_b32_e32 v2, 24, v2
	s_delay_alu instid0(VALU_DEP_1)
	v_and_or_b32 v7, 0x80, v2, v3
.LBB10_534:
	s_or_b32 exec_lo, exec_lo, s4
.LBB10_535:
	s_delay_alu instid0(SALU_CYCLE_1)
	s_or_b32 exec_lo, exec_lo, s2
	s_mov_b32 s2, 0
	global_store_b8 v[4:5], v7, off
.LBB10_536:
	s_and_b32 vcc_lo, exec_lo, s2
	s_cbranch_vccz .LBB10_546
; %bb.537:
	v_cvt_f32_f64_e32 v2, v[0:1]
	s_mov_b32 s2, exec_lo
                                        ; implicit-def: $vgpr3
	s_delay_alu instid0(VALU_DEP_1) | instskip(NEXT) | instid1(VALU_DEP_1)
	v_and_b32_e32 v7, 0x7fffffff, v2
	v_cmpx_gt_u32_e32 0x43f00000, v7
	s_xor_b32 s2, exec_lo, s2
	s_cbranch_execz .LBB10_543
; %bb.538:
	s_mov_b32 s3, exec_lo
                                        ; implicit-def: $vgpr3
	v_cmpx_lt_u32_e32 0x3c7fffff, v7
	s_xor_b32 s3, exec_lo, s3
; %bb.539:
	v_bfe_u32 v3, v2, 20, 1
	s_delay_alu instid0(VALU_DEP_1) | instskip(NEXT) | instid1(VALU_DEP_1)
	v_add3_u32 v3, v2, v3, 0x407ffff
	v_and_b32_e32 v7, 0xff00000, v3
	v_lshrrev_b32_e32 v3, 20, v3
	s_delay_alu instid0(VALU_DEP_2) | instskip(NEXT) | instid1(VALU_DEP_2)
	v_cmp_ne_u32_e32 vcc_lo, 0x7f00000, v7
	v_cndmask_b32_e32 v3, 0x7e, v3, vcc_lo
; %bb.540:
	s_and_not1_saveexec_b32 s3, s3
; %bb.541:
	v_add_f32_e64 v3, 0x46800000, |v2|
; %bb.542:
	s_or_b32 exec_lo, exec_lo, s3
                                        ; implicit-def: $vgpr7
.LBB10_543:
	s_and_not1_saveexec_b32 s2, s2
; %bb.544:
	v_mov_b32_e32 v3, 0x7f
	v_cmp_lt_u32_e32 vcc_lo, 0x7f800000, v7
	s_delay_alu instid0(VALU_DEP_2)
	v_cndmask_b32_e32 v3, 0x7e, v3, vcc_lo
; %bb.545:
	s_or_b32 exec_lo, exec_lo, s2
	v_lshrrev_b32_e32 v2, 24, v2
	s_delay_alu instid0(VALU_DEP_1)
	v_and_or_b32 v2, 0x80, v2, v3
	global_store_b8 v[4:5], v2, off
.LBB10_546:
	s_mov_b32 s2, 0
.LBB10_547:
	s_delay_alu instid0(SALU_CYCLE_1)
	s_and_not1_b32 vcc_lo, exec_lo, s2
	s_cbranch_vccnz .LBB10_557
; %bb.548:
	v_cvt_f32_f64_e32 v2, v[0:1]
	s_mov_b32 s2, exec_lo
                                        ; implicit-def: $vgpr3
	s_delay_alu instid0(VALU_DEP_1) | instskip(NEXT) | instid1(VALU_DEP_1)
	v_and_b32_e32 v7, 0x7fffffff, v2
	v_cmpx_gt_u32_e32 0x47800000, v7
	s_xor_b32 s2, exec_lo, s2
	s_cbranch_execz .LBB10_554
; %bb.549:
	s_mov_b32 s3, exec_lo
                                        ; implicit-def: $vgpr3
	v_cmpx_lt_u32_e32 0x387fffff, v7
	s_xor_b32 s3, exec_lo, s3
; %bb.550:
	v_bfe_u32 v3, v2, 21, 1
	s_delay_alu instid0(VALU_DEP_1) | instskip(NEXT) | instid1(VALU_DEP_1)
	v_add3_u32 v3, v2, v3, 0x80fffff
	v_lshrrev_b32_e32 v3, 21, v3
; %bb.551:
	s_and_not1_saveexec_b32 s3, s3
; %bb.552:
	v_add_f32_e64 v3, 0x43000000, |v2|
; %bb.553:
	s_or_b32 exec_lo, exec_lo, s3
                                        ; implicit-def: $vgpr7
.LBB10_554:
	s_and_not1_saveexec_b32 s2, s2
; %bb.555:
	v_mov_b32_e32 v3, 0x7f
	v_cmp_lt_u32_e32 vcc_lo, 0x7f800000, v7
	s_delay_alu instid0(VALU_DEP_2)
	v_cndmask_b32_e32 v3, 0x7c, v3, vcc_lo
; %bb.556:
	s_or_b32 exec_lo, exec_lo, s2
	v_lshrrev_b32_e32 v2, 24, v2
	s_delay_alu instid0(VALU_DEP_1)
	v_and_or_b32 v2, 0x80, v2, v3
	global_store_b8 v[4:5], v2, off
.LBB10_557:
	s_mov_b32 s2, 0
.LBB10_558:
	s_delay_alu instid0(SALU_CYCLE_1)
	s_and_not1_b32 vcc_lo, exec_lo, s2
	s_mov_b32 s2, 0
	s_cbranch_vccnz .LBB10_565
; %bb.559:
	v_cmp_lt_i16_e32 vcc_lo, 14, v6
	s_mov_b32 s2, -1
	s_cbranch_vccz .LBB10_563
; %bb.560:
	v_cmp_eq_u16_e32 vcc_lo, 15, v6
	s_mov_b32 s0, -1
	s_cbranch_vccz .LBB10_562
; %bb.561:
	v_cvt_f32_f64_e32 v2, v[0:1]
	s_mov_b32 s0, 0
	s_delay_alu instid0(VALU_DEP_1) | instskip(SKIP_1) | instid1(VALU_DEP_2)
	v_bfe_u32 v3, v2, 16, 1
	v_cmp_o_f32_e32 vcc_lo, v2, v2
	v_add3_u32 v3, v2, v3, 0x7fff
	s_delay_alu instid0(VALU_DEP_1) | instskip(NEXT) | instid1(VALU_DEP_1)
	v_lshrrev_b32_e32 v3, 16, v3
	v_cndmask_b32_e32 v2, 0x7fc0, v3, vcc_lo
	global_store_b16 v[4:5], v2, off
.LBB10_562:
	s_mov_b32 s2, 0
.LBB10_563:
	s_delay_alu instid0(SALU_CYCLE_1)
	s_and_b32 vcc_lo, exec_lo, s2
	s_mov_b32 s2, 0
	s_cbranch_vccz .LBB10_565
; %bb.564:
	v_cmp_ne_u16_e64 s0, 11, v6
	s_mov_b32 s2, -1
.LBB10_565:
	s_delay_alu instid0(VALU_DEP_1)
	s_and_b32 vcc_lo, exec_lo, s0
	s_cbranch_vccnz .LBB10_940
.LBB10_566:
	s_mov_b32 s0, 0
	s_branch .LBB10_610
.LBB10_567:
	s_mov_b32 s1, 0
	s_mov_b32 s0, s47
	s_cbranch_execnz .LBB10_744
.LBB10_568:
	s_and_not1_b32 vcc_lo, exec_lo, s1
	s_cbranch_vccnz .LBB10_782
.LBB10_569:
	v_add_nc_u32_e32 v40, 0x80, v40
	s_mov_b32 s1, -1
	s_branch .LBB10_783
.LBB10_570:
	s_mov_b32 s4, 0
	s_cbranch_execz .LBB10_490
; %bb.571:
	v_cmp_gt_i16_e32 vcc_lo, 5, v6
	s_mov_b32 s0, -1
	s_cbranch_vccnz .LBB10_592
; %bb.572:
	v_cmp_gt_i16_e32 vcc_lo, 8, v6
	s_cbranch_vccnz .LBB10_582
; %bb.573:
	v_cmp_gt_i16_e32 vcc_lo, 9, v6
	s_cbranch_vccnz .LBB10_579
; %bb.574:
	v_cmp_lt_i16_e32 vcc_lo, 9, v6
	s_cbranch_vccz .LBB10_576
; %bb.575:
	v_mov_b32_e32 v58, 0
	s_mov_b32 s0, 0
	s_delay_alu instid0(VALU_DEP_1)
	v_mov_b32_e32 v59, v58
	global_store_b128 v[2:3], v[56:59], off
.LBB10_576:
	s_and_not1_b32 vcc_lo, exec_lo, s0
	s_cbranch_vccnz .LBB10_578
; %bb.577:
	v_cvt_f32_f64_e32 v7, v[56:57]
	v_mov_b32_e32 v8, 0
	global_store_b64 v[2:3], v[7:8], off
.LBB10_578:
	s_mov_b32 s0, 0
.LBB10_579:
	s_delay_alu instid0(SALU_CYCLE_1)
	s_and_not1_b32 vcc_lo, exec_lo, s0
	s_cbranch_vccnz .LBB10_581
; %bb.580:
	v_cvt_f32_f64_e32 v5, v[56:57]
	s_delay_alu instid0(VALU_DEP_1) | instskip(NEXT) | instid1(VALU_DEP_1)
	v_cvt_f16_f32_e32 v5, v5
	v_and_b32_e32 v5, 0xffff, v5
	global_store_b32 v[2:3], v5, off
.LBB10_581:
	s_mov_b32 s0, 0
.LBB10_582:
	s_delay_alu instid0(SALU_CYCLE_1)
	s_and_not1_b32 vcc_lo, exec_lo, s0
	s_cbranch_vccnz .LBB10_591
; %bb.583:
	v_cmp_gt_i16_e32 vcc_lo, 6, v6
	s_mov_b32 s0, -1
	s_cbranch_vccnz .LBB10_589
; %bb.584:
	v_cmp_lt_i16_e32 vcc_lo, 6, v6
	s_cbranch_vccz .LBB10_586
; %bb.585:
	s_mov_b32 s0, 0
	global_store_b64 v[2:3], v[56:57], off
.LBB10_586:
	s_and_not1_b32 vcc_lo, exec_lo, s0
	s_cbranch_vccnz .LBB10_588
; %bb.587:
	v_cvt_f32_f64_e32 v5, v[56:57]
	global_store_b32 v[2:3], v5, off
.LBB10_588:
	s_mov_b32 s0, 0
.LBB10_589:
	s_delay_alu instid0(SALU_CYCLE_1)
	s_and_not1_b32 vcc_lo, exec_lo, s0
	s_cbranch_vccnz .LBB10_591
; %bb.590:
	v_cvt_f32_f64_e32 v5, v[56:57]
	s_delay_alu instid0(VALU_DEP_1)
	v_cvt_f16_f32_e32 v5, v5
	global_store_b16 v[2:3], v5, off
.LBB10_591:
	s_mov_b32 s0, 0
.LBB10_592:
	s_delay_alu instid0(SALU_CYCLE_1)
	s_and_not1_b32 vcc_lo, exec_lo, s0
	s_cbranch_vccnz .LBB10_608
; %bb.593:
	v_cmp_gt_i16_e32 vcc_lo, 2, v6
	s_mov_b32 s0, -1
	s_cbranch_vccnz .LBB10_603
; %bb.594:
	v_cmp_gt_i16_e32 vcc_lo, 3, v6
	s_cbranch_vccnz .LBB10_600
; %bb.595:
	v_cmp_lt_i16_e32 vcc_lo, 3, v6
	s_cbranch_vccz .LBB10_597
; %bb.596:
	v_trunc_f64_e32 v[7:8], v[56:57]
	s_mov_b32 s0, 0
	s_delay_alu instid0(VALU_DEP_1) | instskip(NEXT) | instid1(VALU_DEP_1)
	v_ldexp_f64 v[9:10], v[7:8], 0xffffffe0
	v_floor_f64_e32 v[9:10], v[9:10]
	s_delay_alu instid0(VALU_DEP_1) | instskip(SKIP_1) | instid1(VALU_DEP_2)
	v_fma_f64 v[7:8], 0xc1f00000, v[9:10], v[7:8]
	v_cvt_i32_f64_e32 v9, v[9:10]
	v_cvt_u32_f64_e32 v8, v[7:8]
	global_store_b64 v[2:3], v[8:9], off
.LBB10_597:
	s_and_not1_b32 vcc_lo, exec_lo, s0
	s_cbranch_vccnz .LBB10_599
; %bb.598:
	v_cvt_i32_f64_e32 v5, v[56:57]
	global_store_b32 v[2:3], v5, off
.LBB10_599:
	s_mov_b32 s0, 0
.LBB10_600:
	s_delay_alu instid0(SALU_CYCLE_1)
	s_and_not1_b32 vcc_lo, exec_lo, s0
	s_cbranch_vccnz .LBB10_602
; %bb.601:
	v_cvt_i32_f64_e32 v5, v[56:57]
	global_store_b16 v[2:3], v5, off
.LBB10_602:
	s_mov_b32 s0, 0
.LBB10_603:
	s_delay_alu instid0(SALU_CYCLE_1)
	s_and_not1_b32 vcc_lo, exec_lo, s0
	s_cbranch_vccnz .LBB10_608
; %bb.604:
	v_cmp_lt_i16_e32 vcc_lo, 0, v6
	s_mov_b32 s0, -1
	s_cbranch_vccz .LBB10_606
; %bb.605:
	v_cvt_i32_f64_e32 v5, v[56:57]
	s_mov_b32 s0, 0
	global_store_b8 v[2:3], v5, off
.LBB10_606:
	s_and_not1_b32 vcc_lo, exec_lo, s0
	s_cbranch_vccnz .LBB10_608
; %bb.607:
	v_trunc_f64_e32 v[7:8], v[56:57]
	s_delay_alu instid0(VALU_DEP_1) | instskip(NEXT) | instid1(VALU_DEP_1)
	v_ldexp_f64 v[9:10], v[7:8], 0xffffffe0
	v_floor_f64_e32 v[9:10], v[9:10]
	s_delay_alu instid0(VALU_DEP_1) | instskip(NEXT) | instid1(VALU_DEP_1)
	v_fma_f64 v[7:8], 0xc1f00000, v[9:10], v[7:8]
	v_cvt_u32_f64_e32 v5, v[7:8]
	global_store_b8 v[2:3], v5, off
.LBB10_608:
	s_branch .LBB10_491
.LBB10_609:
	s_mov_b32 s0, 0
	s_mov_b32 s2, 0
                                        ; implicit-def: $vgpr6
                                        ; implicit-def: $vgpr4_vgpr5
.LBB10_610:
	s_and_not1_b32 s3, s47, exec_lo
	s_and_b32 s1, s1, exec_lo
	s_and_b32 s0, s0, exec_lo
	;; [unrolled: 1-line block ×3, first 2 shown]
	s_or_b32 s47, s3, s1
.LBB10_611:
	s_or_b32 exec_lo, exec_lo, s46
	s_and_saveexec_b32 s1, s47
	s_cbranch_execz .LBB10_614
; %bb.612:
	; divergent unreachable
	s_or_b32 exec_lo, exec_lo, s1
	s_and_saveexec_b32 s1, s39
	s_delay_alu instid0(SALU_CYCLE_1)
	s_xor_b32 s1, exec_lo, s1
	s_cbranch_execnz .LBB10_615
.LBB10_613:
	s_or_b32 exec_lo, exec_lo, s1
	s_and_saveexec_b32 s1, s0
	s_cbranch_execnz .LBB10_616
	s_branch .LBB10_653
.LBB10_614:
	s_or_b32 exec_lo, exec_lo, s1
	s_and_saveexec_b32 s1, s39
	s_delay_alu instid0(SALU_CYCLE_1)
	s_xor_b32 s1, exec_lo, s1
	s_cbranch_execz .LBB10_613
.LBB10_615:
	v_cmp_neq_f64_e32 vcc_lo, 0, v[0:1]
	v_cndmask_b32_e64 v2, 0, 1, vcc_lo
	global_store_b8 v[4:5], v2, off
	s_or_b32 exec_lo, exec_lo, s1
	s_and_saveexec_b32 s1, s0
	s_cbranch_execz .LBB10_653
.LBB10_616:
	v_cmp_gt_i16_e32 vcc_lo, 5, v6
	s_mov_b32 s0, -1
	s_cbranch_vccnz .LBB10_637
; %bb.617:
	v_cmp_gt_i16_e32 vcc_lo, 8, v6
	s_cbranch_vccnz .LBB10_627
; %bb.618:
	v_cmp_gt_i16_e32 vcc_lo, 9, v6
	s_cbranch_vccnz .LBB10_624
; %bb.619:
	v_cmp_lt_i16_e32 vcc_lo, 9, v6
	s_cbranch_vccz .LBB10_621
; %bb.620:
	v_mov_b32_e32 v2, 0
	s_mov_b32 s0, 0
	s_delay_alu instid0(VALU_DEP_1)
	v_mov_b32_e32 v3, v2
	global_store_b128 v[4:5], v[0:3], off
.LBB10_621:
	s_and_not1_b32 vcc_lo, exec_lo, s0
	s_cbranch_vccnz .LBB10_623
; %bb.622:
	v_cvt_f32_f64_e32 v2, v[0:1]
	v_mov_b32_e32 v3, 0
	global_store_b64 v[4:5], v[2:3], off
.LBB10_623:
	s_mov_b32 s0, 0
.LBB10_624:
	s_delay_alu instid0(SALU_CYCLE_1)
	s_and_not1_b32 vcc_lo, exec_lo, s0
	s_cbranch_vccnz .LBB10_626
; %bb.625:
	v_cvt_f32_f64_e32 v2, v[0:1]
	s_delay_alu instid0(VALU_DEP_1) | instskip(NEXT) | instid1(VALU_DEP_1)
	v_cvt_f16_f32_e32 v2, v2
	v_and_b32_e32 v2, 0xffff, v2
	global_store_b32 v[4:5], v2, off
.LBB10_626:
	s_mov_b32 s0, 0
.LBB10_627:
	s_delay_alu instid0(SALU_CYCLE_1)
	s_and_not1_b32 vcc_lo, exec_lo, s0
	s_cbranch_vccnz .LBB10_636
; %bb.628:
	v_cmp_gt_i16_e32 vcc_lo, 6, v6
	s_mov_b32 s0, -1
	s_cbranch_vccnz .LBB10_634
; %bb.629:
	v_cmp_lt_i16_e32 vcc_lo, 6, v6
	s_cbranch_vccz .LBB10_631
; %bb.630:
	s_mov_b32 s0, 0
	global_store_b64 v[4:5], v[0:1], off
.LBB10_631:
	s_and_not1_b32 vcc_lo, exec_lo, s0
	s_cbranch_vccnz .LBB10_633
; %bb.632:
	v_cvt_f32_f64_e32 v2, v[0:1]
	global_store_b32 v[4:5], v2, off
.LBB10_633:
	s_mov_b32 s0, 0
.LBB10_634:
	s_delay_alu instid0(SALU_CYCLE_1)
	s_and_not1_b32 vcc_lo, exec_lo, s0
	s_cbranch_vccnz .LBB10_636
; %bb.635:
	v_cvt_f32_f64_e32 v2, v[0:1]
	s_delay_alu instid0(VALU_DEP_1)
	v_cvt_f16_f32_e32 v2, v2
	global_store_b16 v[4:5], v2, off
.LBB10_636:
	s_mov_b32 s0, 0
.LBB10_637:
	s_delay_alu instid0(SALU_CYCLE_1)
	s_and_not1_b32 vcc_lo, exec_lo, s0
	s_cbranch_vccnz .LBB10_653
; %bb.638:
	v_cmp_gt_i16_e32 vcc_lo, 2, v6
	s_mov_b32 s0, -1
	s_cbranch_vccnz .LBB10_648
; %bb.639:
	v_cmp_gt_i16_e32 vcc_lo, 3, v6
	s_cbranch_vccnz .LBB10_645
; %bb.640:
	v_cmp_lt_i16_e32 vcc_lo, 3, v6
	s_cbranch_vccz .LBB10_642
; %bb.641:
	v_trunc_f64_e32 v[2:3], v[0:1]
	s_mov_b32 s0, 0
	s_delay_alu instid0(VALU_DEP_1) | instskip(NEXT) | instid1(VALU_DEP_1)
	v_ldexp_f64 v[7:8], v[2:3], 0xffffffe0
	v_floor_f64_e32 v[7:8], v[7:8]
	s_delay_alu instid0(VALU_DEP_1) | instskip(SKIP_1) | instid1(VALU_DEP_2)
	v_fma_f64 v[2:3], 0xc1f00000, v[7:8], v[2:3]
	v_cvt_i32_f64_e32 v8, v[7:8]
	v_cvt_u32_f64_e32 v7, v[2:3]
	global_store_b64 v[4:5], v[7:8], off
.LBB10_642:
	s_and_not1_b32 vcc_lo, exec_lo, s0
	s_cbranch_vccnz .LBB10_644
; %bb.643:
	v_cvt_i32_f64_e32 v2, v[0:1]
	global_store_b32 v[4:5], v2, off
.LBB10_644:
	s_mov_b32 s0, 0
.LBB10_645:
	s_delay_alu instid0(SALU_CYCLE_1)
	s_and_not1_b32 vcc_lo, exec_lo, s0
	s_cbranch_vccnz .LBB10_647
; %bb.646:
	v_cvt_i32_f64_e32 v2, v[0:1]
	global_store_b16 v[4:5], v2, off
.LBB10_647:
	s_mov_b32 s0, 0
.LBB10_648:
	s_delay_alu instid0(SALU_CYCLE_1)
	s_and_not1_b32 vcc_lo, exec_lo, s0
	s_cbranch_vccnz .LBB10_653
; %bb.649:
	v_cmp_lt_i16_e32 vcc_lo, 0, v6
	s_mov_b32 s0, -1
	s_cbranch_vccz .LBB10_651
; %bb.650:
	v_cvt_i32_f64_e32 v2, v[0:1]
	s_mov_b32 s0, 0
	global_store_b8 v[4:5], v2, off
.LBB10_651:
	s_and_not1_b32 vcc_lo, exec_lo, s0
	s_cbranch_vccnz .LBB10_653
; %bb.652:
	v_trunc_f64_e32 v[0:1], v[0:1]
	s_delay_alu instid0(VALU_DEP_1) | instskip(NEXT) | instid1(VALU_DEP_1)
	v_ldexp_f64 v[2:3], v[0:1], 0xffffffe0
	v_floor_f64_e32 v[2:3], v[2:3]
	s_delay_alu instid0(VALU_DEP_1) | instskip(NEXT) | instid1(VALU_DEP_1)
	v_fma_f64 v[0:1], 0xc1f00000, v[2:3], v[0:1]
	v_cvt_u32_f64_e32 v0, v[0:1]
	global_store_b8 v[4:5], v0, off
	s_endpgm
.LBB10_653:
	s_endpgm
.LBB10_654:
	s_mov_b32 s2, -1
	s_mov_b32 s1, 0
	s_mov_b32 s0, s47
	s_branch .LBB10_702
.LBB10_655:
	s_mov_b32 s2, 0
	s_mov_b32 s0, -1
	s_branch .LBB10_610
.LBB10_656:
	s_mov_b32 s2, -1
	s_mov_b32 s1, 0
	s_mov_b32 s0, s47
	s_branch .LBB10_685
.LBB10_657:
	s_or_saveexec_b32 s4, s4
                                        ; implicit-def: $sgpr5
	s_delay_alu instid0(SALU_CYCLE_1)
	s_xor_b32 exec_lo, exec_lo, s4
	s_cbranch_execz .LBB10_204
.LBB10_658:
	v_add_f32_e64 v7, 0x46000000, |v5|
	s_and_not1_b32 s3, s3, exec_lo
	s_mov_b32 s5, 0
	s_delay_alu instid0(VALU_DEP_1) | instskip(NEXT) | instid1(VALU_DEP_1)
	v_and_b32_e32 v7, 0xff, v7
	v_cmp_ne_u32_e32 vcc_lo, 0, v7
	s_and_b32 s6, vcc_lo, exec_lo
	s_delay_alu instid0(SALU_CYCLE_1)
	s_or_b32 s3, s3, s6
	s_or_b32 exec_lo, exec_lo, s4
	v_mov_b32_e32 v8, s5
	s_and_saveexec_b32 s4, s3
	s_cbranch_execnz .LBB10_205
	s_branch .LBB10_206
.LBB10_659:
	s_cbranch_execnz .LBB10_668
; %bb.660:
	s_or_b32 s1, s47, exec_lo
	s_cbranch_execz .LBB10_252
	s_branch .LBB10_253
.LBB10_661:
	s_or_saveexec_b32 s3, s3
                                        ; implicit-def: $sgpr4
	s_delay_alu instid0(SALU_CYCLE_1)
	s_xor_b32 exec_lo, exec_lo, s3
	s_cbranch_execz .LBB10_37
.LBB10_662:
	v_add_f32_e64 v3, 0x46000000, |v2|
	s_and_not1_b32 s2, s2, exec_lo
	s_mov_b32 s4, 0
	s_delay_alu instid0(VALU_DEP_1) | instskip(NEXT) | instid1(VALU_DEP_1)
	v_and_b32_e32 v3, 0xff, v3
	v_cmp_ne_u32_e32 vcc_lo, 0, v3
	s_and_b32 s5, vcc_lo, exec_lo
	s_delay_alu instid0(SALU_CYCLE_1)
	s_or_b32 s2, s2, s5
	s_or_b32 exec_lo, exec_lo, s3
	v_mov_b32_e32 v7, s4
	s_and_saveexec_b32 s3, s2
	s_cbranch_execnz .LBB10_38
	s_branch .LBB10_39
.LBB10_663:
	s_mov_b32 s2, -1
	s_mov_b32 s1, 0
	s_mov_b32 s0, s47
	s_branch .LBB10_681
.LBB10_664:
	s_or_saveexec_b32 s3, s3
                                        ; implicit-def: $sgpr4
	s_delay_alu instid0(SALU_CYCLE_1)
	s_xor_b32 exec_lo, exec_lo, s3
	s_cbranch_execz .LBB10_217
.LBB10_665:
	v_add_f32_e64 v7, 0x42800000, |v5|
	s_and_not1_b32 s2, s2, exec_lo
	s_mov_b32 s4, 0
	s_delay_alu instid0(VALU_DEP_1) | instskip(NEXT) | instid1(VALU_DEP_1)
	v_and_b32_e32 v7, 0xff, v7
	v_cmp_ne_u32_e32 vcc_lo, 0, v7
	s_and_b32 s5, vcc_lo, exec_lo
	s_delay_alu instid0(SALU_CYCLE_1)
	s_or_b32 s2, s2, s5
	s_or_b32 exec_lo, exec_lo, s3
	v_mov_b32_e32 v8, s4
	s_and_saveexec_b32 s3, s2
	s_cbranch_execnz .LBB10_218
	s_branch .LBB10_219
.LBB10_666:
	s_or_saveexec_b32 s6, s6
                                        ; implicit-def: $sgpr7
	s_delay_alu instid0(SALU_CYCLE_1)
	s_xor_b32 exec_lo, exec_lo, s6
	s_cbranch_execz .LBB10_322
.LBB10_667:
	v_add_f32_e64 v7, 0x46000000, |v5|
	s_and_not1_b32 s5, s5, exec_lo
	s_mov_b32 s7, 0
	s_delay_alu instid0(VALU_DEP_1) | instskip(NEXT) | instid1(VALU_DEP_1)
	v_and_b32_e32 v7, 0xff, v7
	v_cmp_ne_u32_e32 vcc_lo, 0, v7
	s_and_b32 s8, vcc_lo, exec_lo
	s_delay_alu instid0(SALU_CYCLE_1)
	s_or_b32 s5, s5, s8
	s_or_b32 exec_lo, exec_lo, s6
	v_mov_b32_e32 v8, s7
	s_and_saveexec_b32 s6, s5
	s_cbranch_execnz .LBB10_323
	s_branch .LBB10_324
.LBB10_668:
	s_trap 2
	s_sendmsg_rtn_b32 s0, sendmsg(MSG_RTN_GET_DOORBELL)
	s_mov_b32 ttmp2, m0
	s_waitcnt lgkmcnt(0)
	s_and_b32 s0, s0, 0x3ff
	s_delay_alu instid0(SALU_CYCLE_1) | instskip(NEXT) | instid1(SALU_CYCLE_1)
	s_bitset1_b32 s0, 10
	s_mov_b32 m0, s0
	s_sendmsg sendmsg(MSG_INTERRUPT)
	s_mov_b32 m0, ttmp2
.LBB10_669:                             ; =>This Inner Loop Header: Depth=1
	s_sethalt 5
	s_branch .LBB10_669
.LBB10_670:
	s_cbranch_execnz .LBB10_803
; %bb.671:
	s_or_b32 s1, s1, exec_lo
	s_cbranch_execz .LBB10_370
	s_branch .LBB10_371
.LBB10_672:
	s_or_saveexec_b32 s3, s3
                                        ; implicit-def: $sgpr4
	s_delay_alu instid0(SALU_CYCLE_1)
	s_xor_b32 exec_lo, exec_lo, s3
	s_cbranch_execz .LBB10_49
.LBB10_673:
	v_add_f32_e64 v3, 0x42800000, |v2|
	s_and_not1_b32 s2, s2, exec_lo
	s_mov_b32 s4, 0
	s_delay_alu instid0(VALU_DEP_1) | instskip(NEXT) | instid1(VALU_DEP_1)
	v_and_b32_e32 v3, 0xff, v3
	v_cmp_ne_u32_e32 vcc_lo, 0, v3
	s_and_b32 s5, vcc_lo, exec_lo
	s_delay_alu instid0(SALU_CYCLE_1)
	s_or_b32 s2, s2, s5
	s_or_b32 exec_lo, exec_lo, s3
	v_mov_b32_e32 v7, s4
	s_and_saveexec_b32 s3, s2
	s_cbranch_execnz .LBB10_50
	s_branch .LBB10_51
.LBB10_674:
	s_mov_b32 s2, -1
	s_mov_b32 s1, 0
	s_mov_b32 s0, s47
.LBB10_675:
	s_and_b32 vcc_lo, exec_lo, s2
	s_cbranch_vccz .LBB10_680
; %bb.676:
	v_cmp_eq_u16_e32 vcc_lo, 44, v6
	s_mov_b32 s0, -1
	s_cbranch_vccz .LBB10_680
; %bb.677:
	v_cvt_f32_f64_e32 v2, v[0:1]
	v_mov_b32_e32 v3, 0xff
	s_mov_b32 s1, exec_lo
	s_delay_alu instid0(VALU_DEP_2) | instskip(NEXT) | instid1(VALU_DEP_1)
	v_bfe_u32 v7, v2, 23, 8
	v_cmpx_ne_u32_e32 0xff, v7
; %bb.678:
	v_and_b32_e32 v3, 0x400000, v2
	v_and_or_b32 v7, 0x3fffff, v2, v7
	v_lshrrev_b32_e32 v2, 23, v2
	s_delay_alu instid0(VALU_DEP_3) | instskip(NEXT) | instid1(VALU_DEP_3)
	v_cmp_ne_u32_e32 vcc_lo, 0, v3
	v_cmp_ne_u32_e64 s0, 0, v7
	s_delay_alu instid0(VALU_DEP_1) | instskip(NEXT) | instid1(SALU_CYCLE_1)
	s_and_b32 s0, vcc_lo, s0
	v_cndmask_b32_e64 v3, 0, 1, s0
	s_delay_alu instid0(VALU_DEP_1)
	v_add_nc_u32_e32 v3, v2, v3
; %bb.679:
	s_or_b32 exec_lo, exec_lo, s1
	s_mov_b32 s1, -1
	s_mov_b32 s0, 0
	global_store_b8 v[4:5], v3, off
.LBB10_680:
	s_mov_b32 s2, 0
.LBB10_681:
	s_delay_alu instid0(SALU_CYCLE_1)
	s_and_b32 vcc_lo, exec_lo, s2
	s_cbranch_vccz .LBB10_684
; %bb.682:
	v_cmp_eq_u16_e32 vcc_lo, 29, v6
	s_mov_b32 s0, -1
	s_cbranch_vccz .LBB10_684
; %bb.683:
	v_trunc_f64_e32 v[2:3], v[0:1]
	s_mov_b32 s1, -1
	s_mov_b32 s0, 0
	s_mov_b32 s2, 0
	s_delay_alu instid0(VALU_DEP_1) | instskip(NEXT) | instid1(VALU_DEP_1)
	v_ldexp_f64 v[7:8], v[2:3], 0xffffffe0
	v_floor_f64_e32 v[7:8], v[7:8]
	s_delay_alu instid0(VALU_DEP_1) | instskip(SKIP_1) | instid1(VALU_DEP_2)
	v_fma_f64 v[2:3], 0xc1f00000, v[7:8], v[2:3]
	v_cvt_u32_f64_e32 v8, v[7:8]
	v_cvt_u32_f64_e32 v7, v[2:3]
	global_store_b64 v[4:5], v[7:8], off
	s_branch .LBB10_685
.LBB10_684:
	s_mov_b32 s2, 0
.LBB10_685:
	s_delay_alu instid0(SALU_CYCLE_1)
	s_and_b32 vcc_lo, exec_lo, s2
	s_cbranch_vccz .LBB10_701
; %bb.686:
	v_cmp_gt_i16_e32 vcc_lo, 27, v6
	s_mov_b32 s1, -1
	s_cbranch_vccnz .LBB10_692
; %bb.687:
	v_cmp_lt_i16_e32 vcc_lo, 27, v6
	s_cbranch_vccz .LBB10_689
; %bb.688:
	v_cvt_u32_f64_e32 v2, v[0:1]
	s_mov_b32 s1, 0
	global_store_b32 v[4:5], v2, off
.LBB10_689:
	s_and_not1_b32 vcc_lo, exec_lo, s1
	s_cbranch_vccnz .LBB10_691
; %bb.690:
	v_cvt_u32_f64_e32 v2, v[0:1]
	global_store_b16 v[4:5], v2, off
.LBB10_691:
	s_mov_b32 s1, 0
.LBB10_692:
	s_delay_alu instid0(SALU_CYCLE_1)
	s_and_not1_b32 vcc_lo, exec_lo, s1
	s_cbranch_vccnz .LBB10_700
; %bb.693:
	v_cvt_f32_f64_e32 v2, v[0:1]
	v_mov_b32_e32 v7, 0x80
	s_mov_b32 s1, exec_lo
	s_delay_alu instid0(VALU_DEP_2) | instskip(NEXT) | instid1(VALU_DEP_1)
	v_and_b32_e32 v3, 0x7fffffff, v2
	v_cmpx_gt_u32_e32 0x43800000, v3
	s_cbranch_execz .LBB10_699
; %bb.694:
	v_cmp_lt_u32_e32 vcc_lo, 0x3bffffff, v3
	s_mov_b32 s2, 0
                                        ; implicit-def: $vgpr3
	s_and_saveexec_b32 s3, vcc_lo
	s_delay_alu instid0(SALU_CYCLE_1)
	s_xor_b32 s3, exec_lo, s3
	s_cbranch_execz .LBB10_796
; %bb.695:
	v_bfe_u32 v3, v2, 20, 1
	s_mov_b32 s2, exec_lo
	s_delay_alu instid0(VALU_DEP_1) | instskip(NEXT) | instid1(VALU_DEP_1)
	v_add3_u32 v3, v2, v3, 0x487ffff
	v_lshrrev_b32_e32 v3, 20, v3
	s_or_saveexec_b32 s3, s3
                                        ; implicit-def: $sgpr4
	s_delay_alu instid0(SALU_CYCLE_1)
	s_xor_b32 exec_lo, exec_lo, s3
	s_cbranch_execnz .LBB10_797
.LBB10_696:
	s_or_b32 exec_lo, exec_lo, s3
	v_mov_b32_e32 v7, s4
	s_and_saveexec_b32 s3, s2
.LBB10_697:
	v_lshrrev_b32_e32 v2, 24, v2
	s_delay_alu instid0(VALU_DEP_1)
	v_and_or_b32 v7, 0x80, v2, v3
.LBB10_698:
	s_or_b32 exec_lo, exec_lo, s3
.LBB10_699:
	s_delay_alu instid0(SALU_CYCLE_1)
	s_or_b32 exec_lo, exec_lo, s1
	global_store_b8 v[4:5], v7, off
.LBB10_700:
	s_mov_b32 s1, -1
.LBB10_701:
	s_mov_b32 s2, 0
.LBB10_702:
	s_delay_alu instid0(SALU_CYCLE_1)
	s_and_b32 vcc_lo, exec_lo, s2
	s_cbranch_vccz .LBB10_743
; %bb.703:
	v_cmp_lt_i16_e32 vcc_lo, 22, v6
	s_mov_b32 s2, -1
	s_cbranch_vccz .LBB10_735
; %bb.704:
	v_cmp_gt_i16_e32 vcc_lo, 24, v6
	s_mov_b32 s1, -1
	s_cbranch_vccnz .LBB10_724
; %bb.705:
	v_cmp_lt_i16_e32 vcc_lo, 24, v6
	s_cbranch_vccz .LBB10_713
; %bb.706:
	v_cvt_f32_f64_e32 v2, v[0:1]
	v_mov_b32_e32 v7, 0x80
	s_mov_b32 s1, exec_lo
	s_delay_alu instid0(VALU_DEP_2) | instskip(NEXT) | instid1(VALU_DEP_1)
	v_and_b32_e32 v3, 0x7fffffff, v2
	v_cmpx_gt_u32_e32 0x47800000, v3
	s_cbranch_execz .LBB10_712
; %bb.707:
	v_cmp_lt_u32_e32 vcc_lo, 0x37ffffff, v3
	s_mov_b32 s2, 0
                                        ; implicit-def: $vgpr3
	s_and_saveexec_b32 s3, vcc_lo
	s_delay_alu instid0(SALU_CYCLE_1)
	s_xor_b32 s3, exec_lo, s3
	s_cbranch_execz .LBB10_807
; %bb.708:
	v_bfe_u32 v3, v2, 21, 1
	s_mov_b32 s2, exec_lo
	s_delay_alu instid0(VALU_DEP_1) | instskip(NEXT) | instid1(VALU_DEP_1)
	v_add3_u32 v3, v2, v3, 0x88fffff
	v_lshrrev_b32_e32 v3, 21, v3
	s_or_saveexec_b32 s3, s3
                                        ; implicit-def: $sgpr4
	s_delay_alu instid0(SALU_CYCLE_1)
	s_xor_b32 exec_lo, exec_lo, s3
	s_cbranch_execnz .LBB10_808
.LBB10_709:
	s_or_b32 exec_lo, exec_lo, s3
	v_mov_b32_e32 v7, s4
	s_and_saveexec_b32 s3, s2
.LBB10_710:
	v_lshrrev_b32_e32 v2, 24, v2
	s_delay_alu instid0(VALU_DEP_1)
	v_and_or_b32 v7, 0x80, v2, v3
.LBB10_711:
	s_or_b32 exec_lo, exec_lo, s3
.LBB10_712:
	s_delay_alu instid0(SALU_CYCLE_1)
	s_or_b32 exec_lo, exec_lo, s1
	s_mov_b32 s1, 0
	global_store_b8 v[4:5], v7, off
.LBB10_713:
	s_and_b32 vcc_lo, exec_lo, s1
	s_cbranch_vccz .LBB10_723
; %bb.714:
	v_cvt_f32_f64_e32 v2, v[0:1]
	s_mov_b32 s1, exec_lo
                                        ; implicit-def: $vgpr3
	s_delay_alu instid0(VALU_DEP_1) | instskip(NEXT) | instid1(VALU_DEP_1)
	v_and_b32_e32 v7, 0x7fffffff, v2
	v_cmpx_gt_u32_e32 0x43f00000, v7
	s_xor_b32 s1, exec_lo, s1
	s_cbranch_execz .LBB10_720
; %bb.715:
	s_mov_b32 s2, exec_lo
                                        ; implicit-def: $vgpr3
	v_cmpx_lt_u32_e32 0x3c7fffff, v7
	s_xor_b32 s2, exec_lo, s2
; %bb.716:
	v_bfe_u32 v3, v2, 20, 1
	s_delay_alu instid0(VALU_DEP_1) | instskip(NEXT) | instid1(VALU_DEP_1)
	v_add3_u32 v3, v2, v3, 0x407ffff
	v_and_b32_e32 v7, 0xff00000, v3
	v_lshrrev_b32_e32 v3, 20, v3
	s_delay_alu instid0(VALU_DEP_2) | instskip(NEXT) | instid1(VALU_DEP_2)
	v_cmp_ne_u32_e32 vcc_lo, 0x7f00000, v7
	v_cndmask_b32_e32 v3, 0x7e, v3, vcc_lo
; %bb.717:
	s_and_not1_saveexec_b32 s2, s2
; %bb.718:
	v_add_f32_e64 v3, 0x46800000, |v2|
; %bb.719:
	s_or_b32 exec_lo, exec_lo, s2
                                        ; implicit-def: $vgpr7
.LBB10_720:
	s_and_not1_saveexec_b32 s1, s1
; %bb.721:
	v_mov_b32_e32 v3, 0x7f
	v_cmp_lt_u32_e32 vcc_lo, 0x7f800000, v7
	s_delay_alu instid0(VALU_DEP_2)
	v_cndmask_b32_e32 v3, 0x7e, v3, vcc_lo
; %bb.722:
	s_or_b32 exec_lo, exec_lo, s1
	v_lshrrev_b32_e32 v2, 24, v2
	s_delay_alu instid0(VALU_DEP_1)
	v_and_or_b32 v2, 0x80, v2, v3
	global_store_b8 v[4:5], v2, off
.LBB10_723:
	s_mov_b32 s1, 0
.LBB10_724:
	s_delay_alu instid0(SALU_CYCLE_1)
	s_and_not1_b32 vcc_lo, exec_lo, s1
	s_cbranch_vccnz .LBB10_734
; %bb.725:
	v_cvt_f32_f64_e32 v2, v[0:1]
	s_mov_b32 s1, exec_lo
                                        ; implicit-def: $vgpr3
	s_delay_alu instid0(VALU_DEP_1) | instskip(NEXT) | instid1(VALU_DEP_1)
	v_and_b32_e32 v7, 0x7fffffff, v2
	v_cmpx_gt_u32_e32 0x47800000, v7
	s_xor_b32 s1, exec_lo, s1
	s_cbranch_execz .LBB10_731
; %bb.726:
	s_mov_b32 s2, exec_lo
                                        ; implicit-def: $vgpr3
	v_cmpx_lt_u32_e32 0x387fffff, v7
	s_xor_b32 s2, exec_lo, s2
; %bb.727:
	v_bfe_u32 v3, v2, 21, 1
	s_delay_alu instid0(VALU_DEP_1) | instskip(NEXT) | instid1(VALU_DEP_1)
	v_add3_u32 v3, v2, v3, 0x80fffff
	v_lshrrev_b32_e32 v3, 21, v3
; %bb.728:
	s_and_not1_saveexec_b32 s2, s2
; %bb.729:
	v_add_f32_e64 v3, 0x43000000, |v2|
; %bb.730:
	s_or_b32 exec_lo, exec_lo, s2
                                        ; implicit-def: $vgpr7
.LBB10_731:
	s_and_not1_saveexec_b32 s1, s1
; %bb.732:
	v_mov_b32_e32 v3, 0x7f
	v_cmp_lt_u32_e32 vcc_lo, 0x7f800000, v7
	s_delay_alu instid0(VALU_DEP_2)
	v_cndmask_b32_e32 v3, 0x7c, v3, vcc_lo
; %bb.733:
	s_or_b32 exec_lo, exec_lo, s1
	v_lshrrev_b32_e32 v2, 24, v2
	s_delay_alu instid0(VALU_DEP_1)
	v_and_or_b32 v2, 0x80, v2, v3
	global_store_b8 v[4:5], v2, off
.LBB10_734:
	s_mov_b32 s2, 0
	s_mov_b32 s1, -1
.LBB10_735:
	s_and_not1_b32 vcc_lo, exec_lo, s2
	s_cbranch_vccnz .LBB10_743
; %bb.736:
	v_cmp_lt_i16_e32 vcc_lo, 14, v6
	s_mov_b32 s2, -1
	s_cbranch_vccz .LBB10_740
; %bb.737:
	v_cmp_eq_u16_e32 vcc_lo, 15, v6
	s_mov_b32 s0, -1
	s_cbranch_vccz .LBB10_739
; %bb.738:
	v_cvt_f32_f64_e32 v2, v[0:1]
	s_mov_b32 s1, -1
	s_mov_b32 s0, 0
	s_delay_alu instid0(VALU_DEP_1) | instskip(SKIP_1) | instid1(VALU_DEP_2)
	v_bfe_u32 v3, v2, 16, 1
	v_cmp_o_f32_e32 vcc_lo, v2, v2
	v_add3_u32 v3, v2, v3, 0x7fff
	s_delay_alu instid0(VALU_DEP_1) | instskip(NEXT) | instid1(VALU_DEP_1)
	v_lshrrev_b32_e32 v3, 16, v3
	v_cndmask_b32_e32 v2, 0x7fc0, v3, vcc_lo
	global_store_b16 v[4:5], v2, off
.LBB10_739:
	s_mov_b32 s2, 0
.LBB10_740:
	s_delay_alu instid0(SALU_CYCLE_1)
	s_and_b32 vcc_lo, exec_lo, s2
	s_cbranch_vccz .LBB10_743
; %bb.741:
	v_cmp_eq_u16_e32 vcc_lo, 11, v6
	s_mov_b32 s0, -1
	s_cbranch_vccz .LBB10_743
; %bb.742:
	v_cmp_neq_f64_e32 vcc_lo, 0, v[0:1]
	s_mov_b32 s1, -1
	s_mov_b32 s0, 0
	v_cndmask_b32_e64 v2, 0, 1, vcc_lo
	global_store_b8 v[4:5], v2, off
.LBB10_743:
	s_branch .LBB10_568
.LBB10_744:
	v_cmp_gt_i16_e32 vcc_lo, 5, v6
	s_mov_b32 s1, -1
	s_cbranch_vccnz .LBB10_765
; %bb.745:
	v_cmp_gt_i16_e32 vcc_lo, 8, v6
	s_cbranch_vccnz .LBB10_755
; %bb.746:
	v_cmp_gt_i16_e32 vcc_lo, 9, v6
	s_cbranch_vccnz .LBB10_752
; %bb.747:
	v_cmp_lt_i16_e32 vcc_lo, 9, v6
	s_cbranch_vccz .LBB10_749
; %bb.748:
	v_mov_b32_e32 v2, 0
	s_mov_b32 s1, 0
	s_delay_alu instid0(VALU_DEP_1)
	v_mov_b32_e32 v3, v2
	global_store_b128 v[4:5], v[0:3], off
.LBB10_749:
	s_and_not1_b32 vcc_lo, exec_lo, s1
	s_cbranch_vccnz .LBB10_751
; %bb.750:
	v_cvt_f32_f64_e32 v2, v[0:1]
	v_mov_b32_e32 v3, 0
	global_store_b64 v[4:5], v[2:3], off
.LBB10_751:
	s_mov_b32 s1, 0
.LBB10_752:
	s_delay_alu instid0(SALU_CYCLE_1)
	s_and_not1_b32 vcc_lo, exec_lo, s1
	s_cbranch_vccnz .LBB10_754
; %bb.753:
	v_cvt_f32_f64_e32 v2, v[0:1]
	s_delay_alu instid0(VALU_DEP_1) | instskip(NEXT) | instid1(VALU_DEP_1)
	v_cvt_f16_f32_e32 v2, v2
	v_and_b32_e32 v2, 0xffff, v2
	global_store_b32 v[4:5], v2, off
.LBB10_754:
	s_mov_b32 s1, 0
.LBB10_755:
	s_delay_alu instid0(SALU_CYCLE_1)
	s_and_not1_b32 vcc_lo, exec_lo, s1
	s_cbranch_vccnz .LBB10_764
; %bb.756:
	v_cmp_gt_i16_e32 vcc_lo, 6, v6
	s_mov_b32 s1, -1
	s_cbranch_vccnz .LBB10_762
; %bb.757:
	v_cmp_lt_i16_e32 vcc_lo, 6, v6
	s_cbranch_vccz .LBB10_759
; %bb.758:
	s_mov_b32 s1, 0
	global_store_b64 v[4:5], v[0:1], off
.LBB10_759:
	s_and_not1_b32 vcc_lo, exec_lo, s1
	s_cbranch_vccnz .LBB10_761
; %bb.760:
	v_cvt_f32_f64_e32 v2, v[0:1]
	global_store_b32 v[4:5], v2, off
.LBB10_761:
	s_mov_b32 s1, 0
.LBB10_762:
	s_delay_alu instid0(SALU_CYCLE_1)
	s_and_not1_b32 vcc_lo, exec_lo, s1
	s_cbranch_vccnz .LBB10_764
; %bb.763:
	v_cvt_f32_f64_e32 v2, v[0:1]
	s_delay_alu instid0(VALU_DEP_1)
	v_cvt_f16_f32_e32 v2, v2
	global_store_b16 v[4:5], v2, off
.LBB10_764:
	s_mov_b32 s1, 0
.LBB10_765:
	s_delay_alu instid0(SALU_CYCLE_1)
	s_and_not1_b32 vcc_lo, exec_lo, s1
	s_cbranch_vccnz .LBB10_781
; %bb.766:
	v_cmp_gt_i16_e32 vcc_lo, 2, v6
	s_mov_b32 s1, -1
	s_cbranch_vccnz .LBB10_776
; %bb.767:
	v_cmp_gt_i16_e32 vcc_lo, 3, v6
	s_cbranch_vccnz .LBB10_773
; %bb.768:
	v_cmp_lt_i16_e32 vcc_lo, 3, v6
	s_cbranch_vccz .LBB10_770
; %bb.769:
	v_trunc_f64_e32 v[2:3], v[0:1]
	s_mov_b32 s1, 0
	s_delay_alu instid0(VALU_DEP_1) | instskip(NEXT) | instid1(VALU_DEP_1)
	v_ldexp_f64 v[7:8], v[2:3], 0xffffffe0
	v_floor_f64_e32 v[7:8], v[7:8]
	s_delay_alu instid0(VALU_DEP_1) | instskip(SKIP_1) | instid1(VALU_DEP_2)
	v_fma_f64 v[2:3], 0xc1f00000, v[7:8], v[2:3]
	v_cvt_i32_f64_e32 v8, v[7:8]
	v_cvt_u32_f64_e32 v7, v[2:3]
	global_store_b64 v[4:5], v[7:8], off
.LBB10_770:
	s_and_not1_b32 vcc_lo, exec_lo, s1
	s_cbranch_vccnz .LBB10_772
; %bb.771:
	v_cvt_i32_f64_e32 v2, v[0:1]
	global_store_b32 v[4:5], v2, off
.LBB10_772:
	s_mov_b32 s1, 0
.LBB10_773:
	s_delay_alu instid0(SALU_CYCLE_1)
	s_and_not1_b32 vcc_lo, exec_lo, s1
	s_cbranch_vccnz .LBB10_775
; %bb.774:
	v_cvt_i32_f64_e32 v2, v[0:1]
	global_store_b16 v[4:5], v2, off
.LBB10_775:
	s_mov_b32 s1, 0
.LBB10_776:
	s_delay_alu instid0(SALU_CYCLE_1)
	s_and_not1_b32 vcc_lo, exec_lo, s1
	s_cbranch_vccnz .LBB10_781
; %bb.777:
	v_cmp_lt_i16_e32 vcc_lo, 0, v6
	s_mov_b32 s1, -1
	s_cbranch_vccz .LBB10_779
; %bb.778:
	v_cvt_i32_f64_e32 v2, v[0:1]
	s_mov_b32 s1, 0
	global_store_b8 v[4:5], v2, off
.LBB10_779:
	s_and_not1_b32 vcc_lo, exec_lo, s1
	s_cbranch_vccnz .LBB10_781
; %bb.780:
	v_trunc_f64_e32 v[0:1], v[0:1]
	s_delay_alu instid0(VALU_DEP_1) | instskip(NEXT) | instid1(VALU_DEP_1)
	v_ldexp_f64 v[2:3], v[0:1], 0xffffffe0
	v_floor_f64_e32 v[2:3], v[2:3]
	s_delay_alu instid0(VALU_DEP_1) | instskip(NEXT) | instid1(VALU_DEP_1)
	v_fma_f64 v[0:1], 0xc1f00000, v[2:3], v[0:1]
	v_cvt_u32_f64_e32 v0, v[0:1]
	global_store_b8 v[4:5], v0, off
.LBB10_781:
	s_branch .LBB10_569
.LBB10_782:
	s_mov_b32 s1, 0
                                        ; implicit-def: $vgpr40
.LBB10_783:
	s_and_not1_b32 s2, s47, exec_lo
	s_and_b32 s0, s0, exec_lo
	s_delay_alu instid0(SALU_CYCLE_1)
	s_or_b32 s50, s2, s0
	s_or_not1_b32 s2, s1, exec_lo
.LBB10_784:
	s_or_b32 exec_lo, exec_lo, s51
	s_mov_b32 s0, 0
	s_mov_b32 s1, 0
                                        ; implicit-def: $vgpr6
                                        ; implicit-def: $vgpr4_vgpr5
                                        ; implicit-def: $vgpr0_vgpr1
	s_and_saveexec_b32 s51, s2
	s_cbranch_execz .LBB10_1019
; %bb.785:
	s_mov_b32 s2, -1
	s_mov_b32 s53, s50
	s_mov_b32 s52, exec_lo
	v_cmpx_gt_i32_e64 s48, v40
	s_cbranch_execz .LBB10_922
; %bb.786:
	v_dual_mov_b32 v0, s42 :: v_dual_mov_b32 v1, s43
	v_dual_mov_b32 v2, s45 :: v_dual_mov_b32 v3, v41
	v_mov_b32_e32 v4, v40
	s_getpc_b64 s[0:1]
	s_add_u32 s0, s0, _ZN2at6native6invokeIZZZNS0_12_GLOBAL__N_121bessel_y1_kernel_cudaERNS_18TensorIteratorBaseEENKUlvE_clEvENKUlvE_clEvEUldE_i15function_traitsIS7_EEENT1_11result_typeERKT_PrKPcPKT0_PKN3c1010ScalarTypeEi@rel32@lo+4
	s_addc_u32 s1, s1, _ZN2at6native6invokeIZZZNS0_12_GLOBAL__N_121bessel_y1_kernel_cudaERNS_18TensorIteratorBaseEENKUlvE_clEvENKUlvE_clEvEUldE_i15function_traitsIS7_EEENT1_11result_typeERKT_PrKPcPKT0_PKN3c1010ScalarTypeEi@rel32@hi+12
	s_delay_alu instid0(SALU_CYCLE_1) | instskip(SKIP_2) | instid1(VALU_DEP_1)
	s_swappc_b64 s[30:31], s[0:1]
	v_mul_lo_u32 v2, v40, s44
	v_and_b32_e32 v6, 0xff, v46
	v_cmp_gt_i16_e32 vcc_lo, 11, v6
	s_delay_alu instid0(VALU_DEP_3) | instskip(SKIP_1) | instid1(VALU_DEP_1)
	v_ashrrev_i32_e32 v3, 31, v2
	v_add_co_u32 v4, s0, s40, v2
	v_add_co_ci_u32_e64 v5, s0, s41, v3, s0
	s_cbranch_vccnz .LBB10_793
; %bb.787:
	v_cmp_lt_i16_e32 vcc_lo, 25, v6
	s_cbranch_vccz .LBB10_794
; %bb.788:
	v_cmp_lt_i16_e32 vcc_lo, 28, v6
	s_cbranch_vccz .LBB10_795
	;; [unrolled: 3-line block ×4, first 2 shown]
; %bb.791:
	v_cmp_eq_u16_e32 vcc_lo, 46, v6
	s_mov_b32 s2, 0
	s_mov_b32 s0, -1
	s_mov_b32 s1, 0
	s_cbranch_vccz .LBB10_810
; %bb.792:
	v_cvt_f32_f64_e32 v2, v[0:1]
	s_mov_b32 s1, -1
	s_mov_b32 s0, 0
	s_delay_alu instid0(VALU_DEP_1) | instskip(SKIP_1) | instid1(VALU_DEP_2)
	v_bfe_u32 v3, v2, 16, 1
	v_cmp_o_f32_e32 vcc_lo, v2, v2
	v_add3_u32 v3, v2, v3, 0x7fff
	s_delay_alu instid0(VALU_DEP_1) | instskip(NEXT) | instid1(VALU_DEP_1)
	v_lshrrev_b32_e32 v3, 16, v3
	v_cndmask_b32_e32 v2, 0x7fc0, v3, vcc_lo
	global_store_b32 v[4:5], v2, off
	s_branch .LBB10_810
.LBB10_793:
	s_mov_b32 s2, -1
	s_mov_b32 s1, 0
	s_mov_b32 s0, s50
	s_branch .LBB10_879
.LBB10_794:
	s_mov_b32 s2, -1
	s_mov_b32 s1, 0
	s_mov_b32 s0, s50
	s_branch .LBB10_837
.LBB10_795:
	s_mov_b32 s2, -1
	s_mov_b32 s1, 0
	s_mov_b32 s0, s50
	s_branch .LBB10_820
.LBB10_796:
	s_or_saveexec_b32 s3, s3
                                        ; implicit-def: $sgpr4
	s_delay_alu instid0(SALU_CYCLE_1)
	s_xor_b32 exec_lo, exec_lo, s3
	s_cbranch_execz .LBB10_696
.LBB10_797:
	v_add_f32_e64 v3, 0x46000000, |v2|
	s_and_not1_b32 s2, s2, exec_lo
	s_mov_b32 s4, 0
	s_delay_alu instid0(VALU_DEP_1) | instskip(NEXT) | instid1(VALU_DEP_1)
	v_and_b32_e32 v3, 0xff, v3
	v_cmp_ne_u32_e32 vcc_lo, 0, v3
	s_and_b32 s5, vcc_lo, exec_lo
	s_delay_alu instid0(SALU_CYCLE_1)
	s_or_b32 s2, s2, s5
	s_or_b32 exec_lo, exec_lo, s3
	v_mov_b32_e32 v7, s4
	s_and_saveexec_b32 s3, s2
	s_cbranch_execnz .LBB10_697
	s_branch .LBB10_698
.LBB10_798:
	s_mov_b32 s2, -1
	s_mov_b32 s1, 0
	s_mov_b32 s0, s50
	s_branch .LBB10_816
.LBB10_799:
	s_or_saveexec_b32 s5, s5
                                        ; implicit-def: $sgpr6
	s_delay_alu instid0(SALU_CYCLE_1)
	s_xor_b32 exec_lo, exec_lo, s5
	s_cbranch_execz .LBB10_335
.LBB10_800:
	v_add_f32_e64 v7, 0x42800000, |v5|
	s_and_not1_b32 s4, s4, exec_lo
	s_mov_b32 s6, 0
	s_delay_alu instid0(VALU_DEP_1) | instskip(NEXT) | instid1(VALU_DEP_1)
	v_and_b32_e32 v7, 0xff, v7
	v_cmp_ne_u32_e32 vcc_lo, 0, v7
	s_and_b32 s7, vcc_lo, exec_lo
	s_delay_alu instid0(SALU_CYCLE_1)
	s_or_b32 s4, s4, s7
	s_or_b32 exec_lo, exec_lo, s5
	v_mov_b32_e32 v8, s6
	s_and_saveexec_b32 s5, s4
	s_cbranch_execnz .LBB10_336
	s_branch .LBB10_337
.LBB10_801:
	s_or_saveexec_b32 s6, s6
                                        ; implicit-def: $sgpr7
	s_delay_alu instid0(SALU_CYCLE_1)
	s_xor_b32 exec_lo, exec_lo, s6
	s_cbranch_execz .LBB10_440
.LBB10_802:
	v_add_f32_e64 v7, 0x46000000, |v5|
	s_and_not1_b32 s5, s5, exec_lo
	s_mov_b32 s7, 0
	s_delay_alu instid0(VALU_DEP_1) | instskip(NEXT) | instid1(VALU_DEP_1)
	v_and_b32_e32 v7, 0xff, v7
	v_cmp_ne_u32_e32 vcc_lo, 0, v7
	s_and_b32 s8, vcc_lo, exec_lo
	s_delay_alu instid0(SALU_CYCLE_1)
	s_or_b32 s5, s5, s8
	s_or_b32 exec_lo, exec_lo, s6
	v_mov_b32_e32 v8, s7
	s_and_saveexec_b32 s6, s5
	s_cbranch_execnz .LBB10_441
	s_branch .LBB10_442
.LBB10_803:
	s_trap 2
	s_sendmsg_rtn_b32 s0, sendmsg(MSG_RTN_GET_DOORBELL)
	s_mov_b32 ttmp2, m0
	s_waitcnt lgkmcnt(0)
	s_and_b32 s0, s0, 0x3ff
	s_delay_alu instid0(SALU_CYCLE_1) | instskip(NEXT) | instid1(SALU_CYCLE_1)
	s_bitset1_b32 s0, 10
	s_mov_b32 m0, s0
	s_sendmsg sendmsg(MSG_INTERRUPT)
	s_mov_b32 m0, ttmp2
.LBB10_804:                             ; =>This Inner Loop Header: Depth=1
	s_sethalt 5
	s_branch .LBB10_804
.LBB10_805:
	s_cbranch_execnz .LBB10_938
; %bb.806:
	s_or_b32 s1, s1, exec_lo
	s_cbranch_execz .LBB10_488
	s_branch .LBB10_489
.LBB10_807:
	s_or_saveexec_b32 s3, s3
                                        ; implicit-def: $sgpr4
	s_delay_alu instid0(SALU_CYCLE_1)
	s_xor_b32 exec_lo, exec_lo, s3
	s_cbranch_execz .LBB10_709
.LBB10_808:
	v_add_f32_e64 v3, 0x42800000, |v2|
	s_and_not1_b32 s2, s2, exec_lo
	s_mov_b32 s4, 0
	s_delay_alu instid0(VALU_DEP_1) | instskip(NEXT) | instid1(VALU_DEP_1)
	v_and_b32_e32 v3, 0xff, v3
	v_cmp_ne_u32_e32 vcc_lo, 0, v3
	s_and_b32 s5, vcc_lo, exec_lo
	s_delay_alu instid0(SALU_CYCLE_1)
	s_or_b32 s2, s2, s5
	s_or_b32 exec_lo, exec_lo, s3
	v_mov_b32_e32 v7, s4
	s_and_saveexec_b32 s3, s2
	s_cbranch_execnz .LBB10_710
	s_branch .LBB10_711
.LBB10_809:
	s_mov_b32 s2, -1
	s_mov_b32 s1, 0
	s_mov_b32 s0, s50
.LBB10_810:
	s_and_b32 vcc_lo, exec_lo, s2
	s_cbranch_vccz .LBB10_815
; %bb.811:
	v_cmp_eq_u16_e32 vcc_lo, 44, v6
	s_mov_b32 s0, -1
	s_cbranch_vccz .LBB10_815
; %bb.812:
	v_cvt_f32_f64_e32 v2, v[0:1]
	v_mov_b32_e32 v3, 0xff
	s_mov_b32 s1, exec_lo
	s_delay_alu instid0(VALU_DEP_2) | instskip(NEXT) | instid1(VALU_DEP_1)
	v_bfe_u32 v7, v2, 23, 8
	v_cmpx_ne_u32_e32 0xff, v7
; %bb.813:
	v_and_b32_e32 v3, 0x400000, v2
	v_and_or_b32 v7, 0x3fffff, v2, v7
	v_lshrrev_b32_e32 v2, 23, v2
	s_delay_alu instid0(VALU_DEP_3) | instskip(NEXT) | instid1(VALU_DEP_3)
	v_cmp_ne_u32_e32 vcc_lo, 0, v3
	v_cmp_ne_u32_e64 s0, 0, v7
	s_delay_alu instid0(VALU_DEP_1) | instskip(NEXT) | instid1(SALU_CYCLE_1)
	s_and_b32 s0, vcc_lo, s0
	v_cndmask_b32_e64 v3, 0, 1, s0
	s_delay_alu instid0(VALU_DEP_1)
	v_add_nc_u32_e32 v3, v2, v3
; %bb.814:
	s_or_b32 exec_lo, exec_lo, s1
	s_mov_b32 s1, -1
	s_mov_b32 s0, 0
	global_store_b8 v[4:5], v3, off
.LBB10_815:
	s_mov_b32 s2, 0
.LBB10_816:
	s_delay_alu instid0(SALU_CYCLE_1)
	s_and_b32 vcc_lo, exec_lo, s2
	s_cbranch_vccz .LBB10_819
; %bb.817:
	v_cmp_eq_u16_e32 vcc_lo, 29, v6
	s_mov_b32 s0, -1
	s_cbranch_vccz .LBB10_819
; %bb.818:
	v_trunc_f64_e32 v[2:3], v[0:1]
	s_mov_b32 s1, -1
	s_mov_b32 s0, 0
	s_mov_b32 s2, 0
	s_delay_alu instid0(VALU_DEP_1) | instskip(NEXT) | instid1(VALU_DEP_1)
	v_ldexp_f64 v[7:8], v[2:3], 0xffffffe0
	v_floor_f64_e32 v[7:8], v[7:8]
	s_delay_alu instid0(VALU_DEP_1) | instskip(SKIP_1) | instid1(VALU_DEP_2)
	v_fma_f64 v[2:3], 0xc1f00000, v[7:8], v[2:3]
	v_cvt_u32_f64_e32 v8, v[7:8]
	v_cvt_u32_f64_e32 v7, v[2:3]
	global_store_b64 v[4:5], v[7:8], off
	s_branch .LBB10_820
.LBB10_819:
	s_mov_b32 s2, 0
.LBB10_820:
	s_delay_alu instid0(SALU_CYCLE_1)
	s_and_b32 vcc_lo, exec_lo, s2
	s_cbranch_vccz .LBB10_836
; %bb.821:
	v_cmp_gt_i16_e32 vcc_lo, 27, v6
	s_mov_b32 s1, -1
	s_cbranch_vccnz .LBB10_827
; %bb.822:
	v_cmp_lt_i16_e32 vcc_lo, 27, v6
	s_cbranch_vccz .LBB10_824
; %bb.823:
	v_cvt_u32_f64_e32 v2, v[0:1]
	s_mov_b32 s1, 0
	global_store_b32 v[4:5], v2, off
.LBB10_824:
	s_and_not1_b32 vcc_lo, exec_lo, s1
	s_cbranch_vccnz .LBB10_826
; %bb.825:
	v_cvt_u32_f64_e32 v2, v[0:1]
	global_store_b16 v[4:5], v2, off
.LBB10_826:
	s_mov_b32 s1, 0
.LBB10_827:
	s_delay_alu instid0(SALU_CYCLE_1)
	s_and_not1_b32 vcc_lo, exec_lo, s1
	s_cbranch_vccnz .LBB10_835
; %bb.828:
	v_cvt_f32_f64_e32 v2, v[0:1]
	v_mov_b32_e32 v7, 0x80
	s_mov_b32 s1, exec_lo
	s_delay_alu instid0(VALU_DEP_2) | instskip(NEXT) | instid1(VALU_DEP_1)
	v_and_b32_e32 v3, 0x7fffffff, v2
	v_cmpx_gt_u32_e32 0x43800000, v3
	s_cbranch_execz .LBB10_834
; %bb.829:
	v_cmp_lt_u32_e32 vcc_lo, 0x3bffffff, v3
	s_mov_b32 s2, 0
                                        ; implicit-def: $vgpr3
	s_and_saveexec_b32 s3, vcc_lo
	s_delay_alu instid0(SALU_CYCLE_1)
	s_xor_b32 s3, exec_lo, s3
	s_cbranch_execz .LBB10_932
; %bb.830:
	v_bfe_u32 v3, v2, 20, 1
	s_mov_b32 s2, exec_lo
	s_delay_alu instid0(VALU_DEP_1) | instskip(NEXT) | instid1(VALU_DEP_1)
	v_add3_u32 v3, v2, v3, 0x487ffff
	v_lshrrev_b32_e32 v3, 20, v3
	s_or_saveexec_b32 s3, s3
                                        ; implicit-def: $sgpr4
	s_delay_alu instid0(SALU_CYCLE_1)
	s_xor_b32 exec_lo, exec_lo, s3
	s_cbranch_execnz .LBB10_933
.LBB10_831:
	s_or_b32 exec_lo, exec_lo, s3
	v_mov_b32_e32 v7, s4
	s_and_saveexec_b32 s3, s2
.LBB10_832:
	v_lshrrev_b32_e32 v2, 24, v2
	s_delay_alu instid0(VALU_DEP_1)
	v_and_or_b32 v7, 0x80, v2, v3
.LBB10_833:
	s_or_b32 exec_lo, exec_lo, s3
.LBB10_834:
	s_delay_alu instid0(SALU_CYCLE_1)
	s_or_b32 exec_lo, exec_lo, s1
	global_store_b8 v[4:5], v7, off
.LBB10_835:
	s_mov_b32 s1, -1
.LBB10_836:
	s_mov_b32 s2, 0
.LBB10_837:
	s_delay_alu instid0(SALU_CYCLE_1)
	s_and_b32 vcc_lo, exec_lo, s2
	s_cbranch_vccz .LBB10_878
; %bb.838:
	v_cmp_lt_i16_e32 vcc_lo, 22, v6
	s_mov_b32 s2, -1
	s_cbranch_vccz .LBB10_870
; %bb.839:
	v_cmp_gt_i16_e32 vcc_lo, 24, v6
	s_mov_b32 s1, -1
	s_cbranch_vccnz .LBB10_859
; %bb.840:
	v_cmp_lt_i16_e32 vcc_lo, 24, v6
	s_cbranch_vccz .LBB10_848
; %bb.841:
	v_cvt_f32_f64_e32 v2, v[0:1]
	v_mov_b32_e32 v7, 0x80
	s_mov_b32 s1, exec_lo
	s_delay_alu instid0(VALU_DEP_2) | instskip(NEXT) | instid1(VALU_DEP_1)
	v_and_b32_e32 v3, 0x7fffffff, v2
	v_cmpx_gt_u32_e32 0x47800000, v3
	s_cbranch_execz .LBB10_847
; %bb.842:
	v_cmp_lt_u32_e32 vcc_lo, 0x37ffffff, v3
	s_mov_b32 s2, 0
                                        ; implicit-def: $vgpr3
	s_and_saveexec_b32 s3, vcc_lo
	s_delay_alu instid0(SALU_CYCLE_1)
	s_xor_b32 s3, exec_lo, s3
	s_cbranch_execz .LBB10_942
; %bb.843:
	v_bfe_u32 v3, v2, 21, 1
	s_mov_b32 s2, exec_lo
	s_delay_alu instid0(VALU_DEP_1) | instskip(NEXT) | instid1(VALU_DEP_1)
	v_add3_u32 v3, v2, v3, 0x88fffff
	v_lshrrev_b32_e32 v3, 21, v3
	s_or_saveexec_b32 s3, s3
                                        ; implicit-def: $sgpr4
	s_delay_alu instid0(SALU_CYCLE_1)
	s_xor_b32 exec_lo, exec_lo, s3
	s_cbranch_execnz .LBB10_943
.LBB10_844:
	s_or_b32 exec_lo, exec_lo, s3
	v_mov_b32_e32 v7, s4
	s_and_saveexec_b32 s3, s2
.LBB10_845:
	v_lshrrev_b32_e32 v2, 24, v2
	s_delay_alu instid0(VALU_DEP_1)
	v_and_or_b32 v7, 0x80, v2, v3
.LBB10_846:
	s_or_b32 exec_lo, exec_lo, s3
.LBB10_847:
	s_delay_alu instid0(SALU_CYCLE_1)
	s_or_b32 exec_lo, exec_lo, s1
	s_mov_b32 s1, 0
	global_store_b8 v[4:5], v7, off
.LBB10_848:
	s_and_b32 vcc_lo, exec_lo, s1
	s_cbranch_vccz .LBB10_858
; %bb.849:
	v_cvt_f32_f64_e32 v2, v[0:1]
	s_mov_b32 s1, exec_lo
                                        ; implicit-def: $vgpr3
	s_delay_alu instid0(VALU_DEP_1) | instskip(NEXT) | instid1(VALU_DEP_1)
	v_and_b32_e32 v7, 0x7fffffff, v2
	v_cmpx_gt_u32_e32 0x43f00000, v7
	s_xor_b32 s1, exec_lo, s1
	s_cbranch_execz .LBB10_855
; %bb.850:
	s_mov_b32 s2, exec_lo
                                        ; implicit-def: $vgpr3
	v_cmpx_lt_u32_e32 0x3c7fffff, v7
	s_xor_b32 s2, exec_lo, s2
; %bb.851:
	v_bfe_u32 v3, v2, 20, 1
	s_delay_alu instid0(VALU_DEP_1) | instskip(NEXT) | instid1(VALU_DEP_1)
	v_add3_u32 v3, v2, v3, 0x407ffff
	v_and_b32_e32 v7, 0xff00000, v3
	v_lshrrev_b32_e32 v3, 20, v3
	s_delay_alu instid0(VALU_DEP_2) | instskip(NEXT) | instid1(VALU_DEP_2)
	v_cmp_ne_u32_e32 vcc_lo, 0x7f00000, v7
	v_cndmask_b32_e32 v3, 0x7e, v3, vcc_lo
; %bb.852:
	s_and_not1_saveexec_b32 s2, s2
; %bb.853:
	v_add_f32_e64 v3, 0x46800000, |v2|
; %bb.854:
	s_or_b32 exec_lo, exec_lo, s2
                                        ; implicit-def: $vgpr7
.LBB10_855:
	s_and_not1_saveexec_b32 s1, s1
; %bb.856:
	v_mov_b32_e32 v3, 0x7f
	v_cmp_lt_u32_e32 vcc_lo, 0x7f800000, v7
	s_delay_alu instid0(VALU_DEP_2)
	v_cndmask_b32_e32 v3, 0x7e, v3, vcc_lo
; %bb.857:
	s_or_b32 exec_lo, exec_lo, s1
	v_lshrrev_b32_e32 v2, 24, v2
	s_delay_alu instid0(VALU_DEP_1)
	v_and_or_b32 v2, 0x80, v2, v3
	global_store_b8 v[4:5], v2, off
.LBB10_858:
	s_mov_b32 s1, 0
.LBB10_859:
	s_delay_alu instid0(SALU_CYCLE_1)
	s_and_not1_b32 vcc_lo, exec_lo, s1
	s_cbranch_vccnz .LBB10_869
; %bb.860:
	v_cvt_f32_f64_e32 v2, v[0:1]
	s_mov_b32 s1, exec_lo
                                        ; implicit-def: $vgpr3
	s_delay_alu instid0(VALU_DEP_1) | instskip(NEXT) | instid1(VALU_DEP_1)
	v_and_b32_e32 v7, 0x7fffffff, v2
	v_cmpx_gt_u32_e32 0x47800000, v7
	s_xor_b32 s1, exec_lo, s1
	s_cbranch_execz .LBB10_866
; %bb.861:
	s_mov_b32 s2, exec_lo
                                        ; implicit-def: $vgpr3
	v_cmpx_lt_u32_e32 0x387fffff, v7
	s_xor_b32 s2, exec_lo, s2
; %bb.862:
	v_bfe_u32 v3, v2, 21, 1
	s_delay_alu instid0(VALU_DEP_1) | instskip(NEXT) | instid1(VALU_DEP_1)
	v_add3_u32 v3, v2, v3, 0x80fffff
	v_lshrrev_b32_e32 v3, 21, v3
; %bb.863:
	s_and_not1_saveexec_b32 s2, s2
; %bb.864:
	v_add_f32_e64 v3, 0x43000000, |v2|
; %bb.865:
	s_or_b32 exec_lo, exec_lo, s2
                                        ; implicit-def: $vgpr7
.LBB10_866:
	s_and_not1_saveexec_b32 s1, s1
; %bb.867:
	v_mov_b32_e32 v3, 0x7f
	v_cmp_lt_u32_e32 vcc_lo, 0x7f800000, v7
	s_delay_alu instid0(VALU_DEP_2)
	v_cndmask_b32_e32 v3, 0x7c, v3, vcc_lo
; %bb.868:
	s_or_b32 exec_lo, exec_lo, s1
	v_lshrrev_b32_e32 v2, 24, v2
	s_delay_alu instid0(VALU_DEP_1)
	v_and_or_b32 v2, 0x80, v2, v3
	global_store_b8 v[4:5], v2, off
.LBB10_869:
	s_mov_b32 s2, 0
	s_mov_b32 s1, -1
.LBB10_870:
	s_and_not1_b32 vcc_lo, exec_lo, s2
	s_cbranch_vccnz .LBB10_878
; %bb.871:
	v_cmp_lt_i16_e32 vcc_lo, 14, v6
	s_mov_b32 s2, -1
	s_cbranch_vccz .LBB10_875
; %bb.872:
	v_cmp_eq_u16_e32 vcc_lo, 15, v6
	s_mov_b32 s0, -1
	s_cbranch_vccz .LBB10_874
; %bb.873:
	v_cvt_f32_f64_e32 v2, v[0:1]
	s_mov_b32 s1, -1
	s_mov_b32 s0, 0
	s_delay_alu instid0(VALU_DEP_1) | instskip(SKIP_1) | instid1(VALU_DEP_2)
	v_bfe_u32 v3, v2, 16, 1
	v_cmp_o_f32_e32 vcc_lo, v2, v2
	v_add3_u32 v3, v2, v3, 0x7fff
	s_delay_alu instid0(VALU_DEP_1) | instskip(NEXT) | instid1(VALU_DEP_1)
	v_lshrrev_b32_e32 v3, 16, v3
	v_cndmask_b32_e32 v2, 0x7fc0, v3, vcc_lo
	global_store_b16 v[4:5], v2, off
.LBB10_874:
	s_mov_b32 s2, 0
.LBB10_875:
	s_delay_alu instid0(SALU_CYCLE_1)
	s_and_b32 vcc_lo, exec_lo, s2
	s_cbranch_vccz .LBB10_878
; %bb.876:
	v_cmp_eq_u16_e32 vcc_lo, 11, v6
	s_mov_b32 s0, -1
	s_cbranch_vccz .LBB10_878
; %bb.877:
	v_cmp_neq_f64_e32 vcc_lo, 0, v[0:1]
	s_mov_b32 s1, -1
	s_mov_b32 s0, 0
	v_cndmask_b32_e64 v2, 0, 1, vcc_lo
	global_store_b8 v[4:5], v2, off
.LBB10_878:
	s_mov_b32 s2, 0
.LBB10_879:
	s_delay_alu instid0(SALU_CYCLE_1)
	s_and_b32 vcc_lo, exec_lo, s2
	s_cbranch_vccz .LBB10_918
; %bb.880:
	v_cmp_gt_i16_e32 vcc_lo, 5, v6
	s_mov_b32 s1, -1
	s_cbranch_vccnz .LBB10_901
; %bb.881:
	v_cmp_gt_i16_e32 vcc_lo, 8, v6
	s_cbranch_vccnz .LBB10_891
; %bb.882:
	v_cmp_gt_i16_e32 vcc_lo, 9, v6
	s_cbranch_vccnz .LBB10_888
; %bb.883:
	v_cmp_lt_i16_e32 vcc_lo, 9, v6
	s_cbranch_vccz .LBB10_885
; %bb.884:
	v_mov_b32_e32 v2, 0
	s_mov_b32 s1, 0
	s_delay_alu instid0(VALU_DEP_1)
	v_mov_b32_e32 v3, v2
	global_store_b128 v[4:5], v[0:3], off
.LBB10_885:
	s_and_not1_b32 vcc_lo, exec_lo, s1
	s_cbranch_vccnz .LBB10_887
; %bb.886:
	v_cvt_f32_f64_e32 v2, v[0:1]
	v_mov_b32_e32 v3, 0
	global_store_b64 v[4:5], v[2:3], off
.LBB10_887:
	s_mov_b32 s1, 0
.LBB10_888:
	s_delay_alu instid0(SALU_CYCLE_1)
	s_and_not1_b32 vcc_lo, exec_lo, s1
	s_cbranch_vccnz .LBB10_890
; %bb.889:
	v_cvt_f32_f64_e32 v2, v[0:1]
	s_delay_alu instid0(VALU_DEP_1) | instskip(NEXT) | instid1(VALU_DEP_1)
	v_cvt_f16_f32_e32 v2, v2
	v_and_b32_e32 v2, 0xffff, v2
	global_store_b32 v[4:5], v2, off
.LBB10_890:
	s_mov_b32 s1, 0
.LBB10_891:
	s_delay_alu instid0(SALU_CYCLE_1)
	s_and_not1_b32 vcc_lo, exec_lo, s1
	s_cbranch_vccnz .LBB10_900
; %bb.892:
	v_cmp_gt_i16_e32 vcc_lo, 6, v6
	s_mov_b32 s1, -1
	s_cbranch_vccnz .LBB10_898
; %bb.893:
	v_cmp_lt_i16_e32 vcc_lo, 6, v6
	s_cbranch_vccz .LBB10_895
; %bb.894:
	s_mov_b32 s1, 0
	global_store_b64 v[4:5], v[0:1], off
.LBB10_895:
	s_and_not1_b32 vcc_lo, exec_lo, s1
	s_cbranch_vccnz .LBB10_897
; %bb.896:
	v_cvt_f32_f64_e32 v2, v[0:1]
	global_store_b32 v[4:5], v2, off
.LBB10_897:
	s_mov_b32 s1, 0
.LBB10_898:
	s_delay_alu instid0(SALU_CYCLE_1)
	s_and_not1_b32 vcc_lo, exec_lo, s1
	s_cbranch_vccnz .LBB10_900
; %bb.899:
	v_cvt_f32_f64_e32 v2, v[0:1]
	s_delay_alu instid0(VALU_DEP_1)
	v_cvt_f16_f32_e32 v2, v2
	global_store_b16 v[4:5], v2, off
.LBB10_900:
	s_mov_b32 s1, 0
.LBB10_901:
	s_delay_alu instid0(SALU_CYCLE_1)
	s_and_not1_b32 vcc_lo, exec_lo, s1
	s_cbranch_vccnz .LBB10_917
; %bb.902:
	v_cmp_gt_i16_e32 vcc_lo, 2, v6
	s_mov_b32 s1, -1
	s_cbranch_vccnz .LBB10_912
; %bb.903:
	v_cmp_gt_i16_e32 vcc_lo, 3, v6
	s_cbranch_vccnz .LBB10_909
; %bb.904:
	v_cmp_lt_i16_e32 vcc_lo, 3, v6
	s_cbranch_vccz .LBB10_906
; %bb.905:
	v_trunc_f64_e32 v[2:3], v[0:1]
	s_mov_b32 s1, 0
	s_delay_alu instid0(VALU_DEP_1) | instskip(NEXT) | instid1(VALU_DEP_1)
	v_ldexp_f64 v[7:8], v[2:3], 0xffffffe0
	v_floor_f64_e32 v[7:8], v[7:8]
	s_delay_alu instid0(VALU_DEP_1) | instskip(SKIP_1) | instid1(VALU_DEP_2)
	v_fma_f64 v[2:3], 0xc1f00000, v[7:8], v[2:3]
	v_cvt_i32_f64_e32 v8, v[7:8]
	v_cvt_u32_f64_e32 v7, v[2:3]
	global_store_b64 v[4:5], v[7:8], off
.LBB10_906:
	s_and_not1_b32 vcc_lo, exec_lo, s1
	s_cbranch_vccnz .LBB10_908
; %bb.907:
	v_cvt_i32_f64_e32 v2, v[0:1]
	global_store_b32 v[4:5], v2, off
.LBB10_908:
	s_mov_b32 s1, 0
.LBB10_909:
	s_delay_alu instid0(SALU_CYCLE_1)
	s_and_not1_b32 vcc_lo, exec_lo, s1
	s_cbranch_vccnz .LBB10_911
; %bb.910:
	v_cvt_i32_f64_e32 v2, v[0:1]
	global_store_b16 v[4:5], v2, off
.LBB10_911:
	s_mov_b32 s1, 0
.LBB10_912:
	s_delay_alu instid0(SALU_CYCLE_1)
	s_and_not1_b32 vcc_lo, exec_lo, s1
	s_cbranch_vccnz .LBB10_917
; %bb.913:
	v_cmp_lt_i16_e32 vcc_lo, 0, v6
	s_mov_b32 s1, -1
	s_cbranch_vccz .LBB10_915
; %bb.914:
	v_cvt_i32_f64_e32 v2, v[0:1]
	s_mov_b32 s1, 0
	global_store_b8 v[4:5], v2, off
.LBB10_915:
	s_and_not1_b32 vcc_lo, exec_lo, s1
	s_cbranch_vccnz .LBB10_917
; %bb.916:
	v_trunc_f64_e32 v[0:1], v[0:1]
	s_delay_alu instid0(VALU_DEP_1) | instskip(NEXT) | instid1(VALU_DEP_1)
	v_ldexp_f64 v[2:3], v[0:1], 0xffffffe0
	v_floor_f64_e32 v[2:3], v[2:3]
	s_delay_alu instid0(VALU_DEP_1) | instskip(NEXT) | instid1(VALU_DEP_1)
	v_fma_f64 v[0:1], 0xc1f00000, v[2:3], v[0:1]
	v_cvt_u32_f64_e32 v0, v[0:1]
	global_store_b8 v[4:5], v0, off
.LBB10_917:
	s_mov_b32 s1, -1
.LBB10_918:
	s_delay_alu instid0(SALU_CYCLE_1)
	s_and_not1_b32 vcc_lo, exec_lo, s1
	s_cbranch_vccnz .LBB10_920
; %bb.919:
	v_add_nc_u32_e32 v40, 0x80, v40
	s_mov_b32 s1, -1
	s_branch .LBB10_921
.LBB10_920:
	s_mov_b32 s1, 0
                                        ; implicit-def: $vgpr40
.LBB10_921:
	s_and_not1_b32 s2, s50, exec_lo
	s_and_b32 s0, s0, exec_lo
	s_delay_alu instid0(SALU_CYCLE_1)
	s_or_b32 s53, s2, s0
	s_or_not1_b32 s2, s1, exec_lo
.LBB10_922:
	s_or_b32 exec_lo, exec_lo, s52
	s_mov_b32 s0, 0
	s_mov_b32 s1, 0
                                        ; implicit-def: $vgpr6
                                        ; implicit-def: $vgpr4_vgpr5
                                        ; implicit-def: $vgpr0_vgpr1
	s_and_saveexec_b32 s52, s2
	s_cbranch_execz .LBB10_1018
; %bb.923:
	v_cmp_gt_i32_e32 vcc_lo, s48, v40
	s_mov_b32 s2, s53
                                        ; implicit-def: $vgpr6
                                        ; implicit-def: $vgpr4_vgpr5
                                        ; implicit-def: $vgpr0_vgpr1
	s_and_saveexec_b32 s48, vcc_lo
	s_cbranch_execz .LBB10_1017
; %bb.924:
	v_dual_mov_b32 v0, s42 :: v_dual_mov_b32 v1, s43
	v_dual_mov_b32 v2, s45 :: v_dual_mov_b32 v3, v41
	v_mov_b32_e32 v4, v40
	s_getpc_b64 s[0:1]
	s_add_u32 s0, s0, _ZN2at6native6invokeIZZZNS0_12_GLOBAL__N_121bessel_y1_kernel_cudaERNS_18TensorIteratorBaseEENKUlvE_clEvENKUlvE_clEvEUldE_i15function_traitsIS7_EEENT1_11result_typeERKT_PrKPcPKT0_PKN3c1010ScalarTypeEi@rel32@lo+4
	s_addc_u32 s1, s1, _ZN2at6native6invokeIZZZNS0_12_GLOBAL__N_121bessel_y1_kernel_cudaERNS_18TensorIteratorBaseEENKUlvE_clEvENKUlvE_clEvEUldE_i15function_traitsIS7_EEENT1_11result_typeERKT_PrKPcPKT0_PKN3c1010ScalarTypeEi@rel32@hi+12
	s_delay_alu instid0(SALU_CYCLE_1) | instskip(SKIP_2) | instid1(VALU_DEP_1)
	s_swappc_b64 s[30:31], s[0:1]
	v_mul_lo_u32 v2, v40, s44
	v_and_b32_e32 v6, 0xff, v46
	v_cmp_gt_i16_e32 vcc_lo, 11, v6
	s_delay_alu instid0(VALU_DEP_3) | instskip(SKIP_1) | instid1(VALU_DEP_1)
	v_ashrrev_i32_e32 v3, 31, v2
	v_add_co_u32 v4, s0, s40, v2
	v_add_co_ci_u32_e64 v5, s0, s41, v3, s0
	s_cbranch_vccnz .LBB10_931
; %bb.925:
	v_cmp_lt_i16_e32 vcc_lo, 25, v6
	s_mov_b32 s1, -1
	s_mov_b32 s0, s53
	s_cbranch_vccz .LBB10_975
; %bb.926:
	v_cmp_lt_i16_e32 vcc_lo, 28, v6
	s_mov_b32 s0, s53
	s_cbranch_vccz .LBB10_959
; %bb.927:
	v_cmp_lt_i16_e32 vcc_lo, 43, v6
	;; [unrolled: 4-line block ×3, first 2 shown]
	s_mov_b32 s0, s53
	s_cbranch_vccz .LBB10_949
; %bb.929:
	v_cmp_eq_u16_e32 vcc_lo, 46, v6
	s_mov_b32 s0, -1
	s_cbranch_vccz .LBB10_948
; %bb.930:
	v_cvt_f32_f64_e32 v2, v[0:1]
	s_mov_b32 s0, 0
	s_mov_b32 s1, 0
	s_delay_alu instid0(VALU_DEP_1) | instskip(SKIP_1) | instid1(VALU_DEP_2)
	v_bfe_u32 v3, v2, 16, 1
	v_cmp_o_f32_e32 vcc_lo, v2, v2
	v_add3_u32 v3, v2, v3, 0x7fff
	s_delay_alu instid0(VALU_DEP_1) | instskip(NEXT) | instid1(VALU_DEP_1)
	v_lshrrev_b32_e32 v3, 16, v3
	v_cndmask_b32_e32 v2, 0x7fc0, v3, vcc_lo
	global_store_b32 v[4:5], v2, off
	s_branch .LBB10_949
.LBB10_931:
	s_mov_b32 s2, 0
	s_mov_b32 s1, -1
	s_mov_b32 s0, s53
	s_branch .LBB10_1016
.LBB10_932:
	s_or_saveexec_b32 s3, s3
                                        ; implicit-def: $sgpr4
	s_delay_alu instid0(SALU_CYCLE_1)
	s_xor_b32 exec_lo, exec_lo, s3
	s_cbranch_execz .LBB10_831
.LBB10_933:
	v_add_f32_e64 v3, 0x46000000, |v2|
	s_and_not1_b32 s2, s2, exec_lo
	s_mov_b32 s4, 0
	s_delay_alu instid0(VALU_DEP_1) | instskip(NEXT) | instid1(VALU_DEP_1)
	v_and_b32_e32 v3, 0xff, v3
	v_cmp_ne_u32_e32 vcc_lo, 0, v3
	s_and_b32 s5, vcc_lo, exec_lo
	s_delay_alu instid0(SALU_CYCLE_1)
	s_or_b32 s2, s2, s5
	s_or_b32 exec_lo, exec_lo, s3
	v_mov_b32_e32 v7, s4
	s_and_saveexec_b32 s3, s2
	s_cbranch_execnz .LBB10_832
	s_branch .LBB10_833
.LBB10_934:
	s_or_saveexec_b32 s5, s5
                                        ; implicit-def: $sgpr6
	s_delay_alu instid0(SALU_CYCLE_1)
	s_xor_b32 exec_lo, exec_lo, s5
	s_cbranch_execz .LBB10_453
.LBB10_935:
	v_add_f32_e64 v7, 0x42800000, |v5|
	s_and_not1_b32 s4, s4, exec_lo
	s_mov_b32 s6, 0
	s_delay_alu instid0(VALU_DEP_1) | instskip(NEXT) | instid1(VALU_DEP_1)
	v_and_b32_e32 v7, 0xff, v7
	v_cmp_ne_u32_e32 vcc_lo, 0, v7
	s_and_b32 s7, vcc_lo, exec_lo
	s_delay_alu instid0(SALU_CYCLE_1)
	s_or_b32 s4, s4, s7
	s_or_b32 exec_lo, exec_lo, s5
	v_mov_b32_e32 v8, s6
	s_and_saveexec_b32 s5, s4
	s_cbranch_execnz .LBB10_454
	s_branch .LBB10_455
.LBB10_936:
	s_or_saveexec_b32 s5, s5
                                        ; implicit-def: $sgpr6
	s_delay_alu instid0(SALU_CYCLE_1)
	s_xor_b32 exec_lo, exec_lo, s5
	s_cbranch_execz .LBB10_520
.LBB10_937:
	v_add_f32_e64 v3, 0x46000000, |v2|
	s_and_not1_b32 s4, s4, exec_lo
	s_mov_b32 s6, 0
	s_delay_alu instid0(VALU_DEP_1) | instskip(NEXT) | instid1(VALU_DEP_1)
	v_and_b32_e32 v3, 0xff, v3
	v_cmp_ne_u32_e32 vcc_lo, 0, v3
	s_and_b32 s7, vcc_lo, exec_lo
	s_delay_alu instid0(SALU_CYCLE_1)
	s_or_b32 s4, s4, s7
	s_or_b32 exec_lo, exec_lo, s5
	v_mov_b32_e32 v7, s6
	s_and_saveexec_b32 s5, s4
	s_cbranch_execnz .LBB10_521
	s_branch .LBB10_522
.LBB10_938:
	s_trap 2
	s_sendmsg_rtn_b32 s0, sendmsg(MSG_RTN_GET_DOORBELL)
	s_mov_b32 ttmp2, m0
	s_waitcnt lgkmcnt(0)
	s_and_b32 s0, s0, 0x3ff
	s_delay_alu instid0(SALU_CYCLE_1) | instskip(NEXT) | instid1(SALU_CYCLE_1)
	s_bitset1_b32 s0, 10
	s_mov_b32 m0, s0
	s_sendmsg sendmsg(MSG_INTERRUPT)
	s_mov_b32 m0, ttmp2
.LBB10_939:                             ; =>This Inner Loop Header: Depth=1
	s_sethalt 5
	s_branch .LBB10_939
.LBB10_940:
	s_cbranch_execnz .LBB10_946
; %bb.941:
	s_mov_b32 s2, 0
	s_or_b32 s1, s1, exec_lo
	s_branch .LBB10_566
.LBB10_942:
	s_or_saveexec_b32 s3, s3
                                        ; implicit-def: $sgpr4
	s_delay_alu instid0(SALU_CYCLE_1)
	s_xor_b32 exec_lo, exec_lo, s3
	s_cbranch_execz .LBB10_844
.LBB10_943:
	v_add_f32_e64 v3, 0x42800000, |v2|
	s_and_not1_b32 s2, s2, exec_lo
	s_mov_b32 s4, 0
	s_delay_alu instid0(VALU_DEP_1) | instskip(NEXT) | instid1(VALU_DEP_1)
	v_and_b32_e32 v3, 0xff, v3
	v_cmp_ne_u32_e32 vcc_lo, 0, v3
	s_and_b32 s5, vcc_lo, exec_lo
	s_delay_alu instid0(SALU_CYCLE_1)
	s_or_b32 s2, s2, s5
	s_or_b32 exec_lo, exec_lo, s3
	v_mov_b32_e32 v7, s4
	s_and_saveexec_b32 s3, s2
	s_cbranch_execnz .LBB10_845
	s_branch .LBB10_846
.LBB10_944:
	s_or_saveexec_b32 s4, s4
                                        ; implicit-def: $sgpr5
	s_delay_alu instid0(SALU_CYCLE_1)
	s_xor_b32 exec_lo, exec_lo, s4
	s_cbranch_execz .LBB10_532
.LBB10_945:
	v_add_f32_e64 v3, 0x42800000, |v2|
	s_and_not1_b32 s3, s3, exec_lo
	s_mov_b32 s5, 0
	s_delay_alu instid0(VALU_DEP_1) | instskip(NEXT) | instid1(VALU_DEP_1)
	v_and_b32_e32 v3, 0xff, v3
	v_cmp_ne_u32_e32 vcc_lo, 0, v3
	s_and_b32 s6, vcc_lo, exec_lo
	s_delay_alu instid0(SALU_CYCLE_1)
	s_or_b32 s3, s3, s6
	s_or_b32 exec_lo, exec_lo, s4
	v_mov_b32_e32 v7, s5
	s_and_saveexec_b32 s4, s3
	s_cbranch_execnz .LBB10_533
	s_branch .LBB10_534
.LBB10_946:
	s_trap 2
	s_sendmsg_rtn_b32 s0, sendmsg(MSG_RTN_GET_DOORBELL)
	s_mov_b32 ttmp2, m0
	s_waitcnt lgkmcnt(0)
	s_and_b32 s0, s0, 0x3ff
	s_delay_alu instid0(SALU_CYCLE_1) | instskip(NEXT) | instid1(SALU_CYCLE_1)
	s_bitset1_b32 s0, 10
	s_mov_b32 m0, s0
	s_sendmsg sendmsg(MSG_INTERRUPT)
	s_mov_b32 m0, ttmp2
.LBB10_947:                             ; =>This Inner Loop Header: Depth=1
	s_sethalt 5
	s_branch .LBB10_947
.LBB10_948:
	s_mov_b32 s1, 0
.LBB10_949:
	s_delay_alu instid0(SALU_CYCLE_1)
	s_and_b32 vcc_lo, exec_lo, s1
	s_cbranch_vccz .LBB10_954
; %bb.950:
	v_cmp_eq_u16_e32 vcc_lo, 44, v6
	s_mov_b32 s0, -1
	s_cbranch_vccz .LBB10_954
; %bb.951:
	v_cvt_f32_f64_e32 v2, v[0:1]
	v_mov_b32_e32 v3, 0xff
	s_mov_b32 s1, exec_lo
	s_delay_alu instid0(VALU_DEP_2) | instskip(NEXT) | instid1(VALU_DEP_1)
	v_bfe_u32 v7, v2, 23, 8
	v_cmpx_ne_u32_e32 0xff, v7
; %bb.952:
	v_and_b32_e32 v3, 0x400000, v2
	v_and_or_b32 v7, 0x3fffff, v2, v7
	v_lshrrev_b32_e32 v2, 23, v2
	s_delay_alu instid0(VALU_DEP_3) | instskip(NEXT) | instid1(VALU_DEP_3)
	v_cmp_ne_u32_e32 vcc_lo, 0, v3
	v_cmp_ne_u32_e64 s0, 0, v7
	s_delay_alu instid0(VALU_DEP_1) | instskip(NEXT) | instid1(SALU_CYCLE_1)
	s_and_b32 s0, vcc_lo, s0
	v_cndmask_b32_e64 v3, 0, 1, s0
	s_delay_alu instid0(VALU_DEP_1)
	v_add_nc_u32_e32 v3, v2, v3
; %bb.953:
	s_or_b32 exec_lo, exec_lo, s1
	s_mov_b32 s0, 0
	global_store_b8 v[4:5], v3, off
.LBB10_954:
	s_mov_b32 s1, 0
.LBB10_955:
	s_delay_alu instid0(SALU_CYCLE_1)
	s_and_b32 vcc_lo, exec_lo, s1
	s_cbranch_vccz .LBB10_958
; %bb.956:
	v_cmp_eq_u16_e32 vcc_lo, 29, v6
	s_mov_b32 s0, -1
	s_cbranch_vccz .LBB10_958
; %bb.957:
	v_trunc_f64_e32 v[2:3], v[0:1]
	s_mov_b32 s0, 0
	s_mov_b32 s1, 0
	s_delay_alu instid0(VALU_DEP_1) | instskip(NEXT) | instid1(VALU_DEP_1)
	v_ldexp_f64 v[7:8], v[2:3], 0xffffffe0
	v_floor_f64_e32 v[7:8], v[7:8]
	s_delay_alu instid0(VALU_DEP_1) | instskip(SKIP_1) | instid1(VALU_DEP_2)
	v_fma_f64 v[2:3], 0xc1f00000, v[7:8], v[2:3]
	v_cvt_u32_f64_e32 v8, v[7:8]
	v_cvt_u32_f64_e32 v7, v[2:3]
	global_store_b64 v[4:5], v[7:8], off
	s_branch .LBB10_959
.LBB10_958:
	s_mov_b32 s1, 0
.LBB10_959:
	s_delay_alu instid0(SALU_CYCLE_1)
	s_and_b32 vcc_lo, exec_lo, s1
	s_cbranch_vccz .LBB10_974
; %bb.960:
	v_cmp_gt_i16_e32 vcc_lo, 27, v6
	s_mov_b32 s1, -1
	s_cbranch_vccnz .LBB10_966
; %bb.961:
	v_cmp_lt_i16_e32 vcc_lo, 27, v6
	s_cbranch_vccz .LBB10_963
; %bb.962:
	v_cvt_u32_f64_e32 v2, v[0:1]
	s_mov_b32 s1, 0
	global_store_b32 v[4:5], v2, off
.LBB10_963:
	s_and_not1_b32 vcc_lo, exec_lo, s1
	s_cbranch_vccnz .LBB10_965
; %bb.964:
	v_cvt_u32_f64_e32 v2, v[0:1]
	global_store_b16 v[4:5], v2, off
.LBB10_965:
	s_mov_b32 s1, 0
.LBB10_966:
	s_delay_alu instid0(SALU_CYCLE_1)
	s_and_not1_b32 vcc_lo, exec_lo, s1
	s_cbranch_vccnz .LBB10_974
; %bb.967:
	v_cvt_f32_f64_e32 v2, v[0:1]
	v_mov_b32_e32 v7, 0x80
	s_mov_b32 s1, exec_lo
	s_delay_alu instid0(VALU_DEP_2) | instskip(NEXT) | instid1(VALU_DEP_1)
	v_and_b32_e32 v3, 0x7fffffff, v2
	v_cmpx_gt_u32_e32 0x43800000, v3
	s_cbranch_execz .LBB10_973
; %bb.968:
	v_cmp_lt_u32_e32 vcc_lo, 0x3bffffff, v3
	s_mov_b32 s2, 0
                                        ; implicit-def: $vgpr3
	s_and_saveexec_b32 s3, vcc_lo
	s_delay_alu instid0(SALU_CYCLE_1)
	s_xor_b32 s3, exec_lo, s3
	s_cbranch_execz .LBB10_1024
; %bb.969:
	v_bfe_u32 v3, v2, 20, 1
	s_mov_b32 s2, exec_lo
	s_delay_alu instid0(VALU_DEP_1) | instskip(NEXT) | instid1(VALU_DEP_1)
	v_add3_u32 v3, v2, v3, 0x487ffff
	v_lshrrev_b32_e32 v3, 20, v3
	s_or_saveexec_b32 s3, s3
                                        ; implicit-def: $sgpr4
	s_delay_alu instid0(SALU_CYCLE_1)
	s_xor_b32 exec_lo, exec_lo, s3
	s_cbranch_execnz .LBB10_1025
.LBB10_970:
	s_or_b32 exec_lo, exec_lo, s3
	v_mov_b32_e32 v7, s4
	s_and_saveexec_b32 s3, s2
.LBB10_971:
	v_lshrrev_b32_e32 v2, 24, v2
	s_delay_alu instid0(VALU_DEP_1)
	v_and_or_b32 v7, 0x80, v2, v3
.LBB10_972:
	s_or_b32 exec_lo, exec_lo, s3
.LBB10_973:
	s_delay_alu instid0(SALU_CYCLE_1)
	s_or_b32 exec_lo, exec_lo, s1
	global_store_b8 v[4:5], v7, off
.LBB10_974:
	s_mov_b32 s1, 0
.LBB10_975:
	s_delay_alu instid0(SALU_CYCLE_1)
	s_and_b32 vcc_lo, exec_lo, s1
	s_mov_b32 s1, 0
	s_cbranch_vccz .LBB10_1015
; %bb.976:
	v_cmp_lt_i16_e32 vcc_lo, 22, v6
	s_mov_b32 s2, -1
	s_cbranch_vccz .LBB10_1008
; %bb.977:
	v_cmp_gt_i16_e32 vcc_lo, 24, v6
	s_cbranch_vccnz .LBB10_997
; %bb.978:
	v_cmp_lt_i16_e32 vcc_lo, 24, v6
	s_cbranch_vccz .LBB10_986
; %bb.979:
	v_cvt_f32_f64_e32 v2, v[0:1]
	v_mov_b32_e32 v7, 0x80
	s_mov_b32 s2, exec_lo
	s_delay_alu instid0(VALU_DEP_2) | instskip(NEXT) | instid1(VALU_DEP_1)
	v_and_b32_e32 v3, 0x7fffffff, v2
	v_cmpx_gt_u32_e32 0x47800000, v3
	s_cbranch_execz .LBB10_985
; %bb.980:
	v_cmp_lt_u32_e32 vcc_lo, 0x37ffffff, v3
	s_mov_b32 s3, 0
                                        ; implicit-def: $vgpr3
	s_and_saveexec_b32 s4, vcc_lo
	s_delay_alu instid0(SALU_CYCLE_1)
	s_xor_b32 s4, exec_lo, s4
	s_cbranch_execz .LBB10_1026
; %bb.981:
	v_bfe_u32 v3, v2, 21, 1
	s_mov_b32 s3, exec_lo
	s_delay_alu instid0(VALU_DEP_1) | instskip(NEXT) | instid1(VALU_DEP_1)
	v_add3_u32 v3, v2, v3, 0x88fffff
	v_lshrrev_b32_e32 v3, 21, v3
	s_or_saveexec_b32 s4, s4
                                        ; implicit-def: $sgpr5
	s_delay_alu instid0(SALU_CYCLE_1)
	s_xor_b32 exec_lo, exec_lo, s4
	s_cbranch_execnz .LBB10_1027
.LBB10_982:
	s_or_b32 exec_lo, exec_lo, s4
	v_mov_b32_e32 v7, s5
	s_and_saveexec_b32 s4, s3
.LBB10_983:
	v_lshrrev_b32_e32 v2, 24, v2
	s_delay_alu instid0(VALU_DEP_1)
	v_and_or_b32 v7, 0x80, v2, v3
.LBB10_984:
	s_or_b32 exec_lo, exec_lo, s4
.LBB10_985:
	s_delay_alu instid0(SALU_CYCLE_1)
	s_or_b32 exec_lo, exec_lo, s2
	s_mov_b32 s2, 0
	global_store_b8 v[4:5], v7, off
.LBB10_986:
	s_and_b32 vcc_lo, exec_lo, s2
	s_cbranch_vccz .LBB10_996
; %bb.987:
	v_cvt_f32_f64_e32 v2, v[0:1]
	s_mov_b32 s2, exec_lo
                                        ; implicit-def: $vgpr3
	s_delay_alu instid0(VALU_DEP_1) | instskip(NEXT) | instid1(VALU_DEP_1)
	v_and_b32_e32 v7, 0x7fffffff, v2
	v_cmpx_gt_u32_e32 0x43f00000, v7
	s_xor_b32 s2, exec_lo, s2
	s_cbranch_execz .LBB10_993
; %bb.988:
	s_mov_b32 s3, exec_lo
                                        ; implicit-def: $vgpr3
	v_cmpx_lt_u32_e32 0x3c7fffff, v7
	s_xor_b32 s3, exec_lo, s3
; %bb.989:
	v_bfe_u32 v3, v2, 20, 1
	s_delay_alu instid0(VALU_DEP_1) | instskip(NEXT) | instid1(VALU_DEP_1)
	v_add3_u32 v3, v2, v3, 0x407ffff
	v_and_b32_e32 v7, 0xff00000, v3
	v_lshrrev_b32_e32 v3, 20, v3
	s_delay_alu instid0(VALU_DEP_2) | instskip(NEXT) | instid1(VALU_DEP_2)
	v_cmp_ne_u32_e32 vcc_lo, 0x7f00000, v7
	v_cndmask_b32_e32 v3, 0x7e, v3, vcc_lo
; %bb.990:
	s_and_not1_saveexec_b32 s3, s3
; %bb.991:
	v_add_f32_e64 v3, 0x46800000, |v2|
; %bb.992:
	s_or_b32 exec_lo, exec_lo, s3
                                        ; implicit-def: $vgpr7
.LBB10_993:
	s_and_not1_saveexec_b32 s2, s2
; %bb.994:
	v_mov_b32_e32 v3, 0x7f
	v_cmp_lt_u32_e32 vcc_lo, 0x7f800000, v7
	s_delay_alu instid0(VALU_DEP_2)
	v_cndmask_b32_e32 v3, 0x7e, v3, vcc_lo
; %bb.995:
	s_or_b32 exec_lo, exec_lo, s2
	v_lshrrev_b32_e32 v2, 24, v2
	s_delay_alu instid0(VALU_DEP_1)
	v_and_or_b32 v2, 0x80, v2, v3
	global_store_b8 v[4:5], v2, off
.LBB10_996:
	s_mov_b32 s2, 0
.LBB10_997:
	s_delay_alu instid0(SALU_CYCLE_1)
	s_and_not1_b32 vcc_lo, exec_lo, s2
	s_cbranch_vccnz .LBB10_1007
; %bb.998:
	v_cvt_f32_f64_e32 v2, v[0:1]
	s_mov_b32 s2, exec_lo
                                        ; implicit-def: $vgpr3
	s_delay_alu instid0(VALU_DEP_1) | instskip(NEXT) | instid1(VALU_DEP_1)
	v_and_b32_e32 v7, 0x7fffffff, v2
	v_cmpx_gt_u32_e32 0x47800000, v7
	s_xor_b32 s2, exec_lo, s2
	s_cbranch_execz .LBB10_1004
; %bb.999:
	s_mov_b32 s3, exec_lo
                                        ; implicit-def: $vgpr3
	v_cmpx_lt_u32_e32 0x387fffff, v7
	s_xor_b32 s3, exec_lo, s3
; %bb.1000:
	v_bfe_u32 v3, v2, 21, 1
	s_delay_alu instid0(VALU_DEP_1) | instskip(NEXT) | instid1(VALU_DEP_1)
	v_add3_u32 v3, v2, v3, 0x80fffff
	v_lshrrev_b32_e32 v3, 21, v3
; %bb.1001:
	s_and_not1_saveexec_b32 s3, s3
; %bb.1002:
	v_add_f32_e64 v3, 0x43000000, |v2|
; %bb.1003:
	s_or_b32 exec_lo, exec_lo, s3
                                        ; implicit-def: $vgpr7
.LBB10_1004:
	s_and_not1_saveexec_b32 s2, s2
; %bb.1005:
	v_mov_b32_e32 v3, 0x7f
	v_cmp_lt_u32_e32 vcc_lo, 0x7f800000, v7
	s_delay_alu instid0(VALU_DEP_2)
	v_cndmask_b32_e32 v3, 0x7c, v3, vcc_lo
; %bb.1006:
	s_or_b32 exec_lo, exec_lo, s2
	v_lshrrev_b32_e32 v2, 24, v2
	s_delay_alu instid0(VALU_DEP_1)
	v_and_or_b32 v2, 0x80, v2, v3
	global_store_b8 v[4:5], v2, off
.LBB10_1007:
	s_mov_b32 s2, 0
.LBB10_1008:
	s_delay_alu instid0(SALU_CYCLE_1)
	s_and_not1_b32 vcc_lo, exec_lo, s2
	s_mov_b32 s2, 0
	s_cbranch_vccnz .LBB10_1016
; %bb.1009:
	v_cmp_lt_i16_e32 vcc_lo, 14, v6
	s_mov_b32 s2, -1
	s_cbranch_vccz .LBB10_1013
; %bb.1010:
	v_cmp_eq_u16_e32 vcc_lo, 15, v6
	s_mov_b32 s0, -1
	s_cbranch_vccz .LBB10_1012
; %bb.1011:
	v_cvt_f32_f64_e32 v2, v[0:1]
	s_mov_b32 s0, 0
	s_delay_alu instid0(VALU_DEP_1) | instskip(SKIP_1) | instid1(VALU_DEP_2)
	v_bfe_u32 v3, v2, 16, 1
	v_cmp_o_f32_e32 vcc_lo, v2, v2
	v_add3_u32 v3, v2, v3, 0x7fff
	s_delay_alu instid0(VALU_DEP_1) | instskip(NEXT) | instid1(VALU_DEP_1)
	v_lshrrev_b32_e32 v3, 16, v3
	v_cndmask_b32_e32 v2, 0x7fc0, v3, vcc_lo
	global_store_b16 v[4:5], v2, off
.LBB10_1012:
	s_mov_b32 s2, 0
.LBB10_1013:
	s_delay_alu instid0(SALU_CYCLE_1)
	s_and_b32 vcc_lo, exec_lo, s2
	s_mov_b32 s2, 0
	s_cbranch_vccz .LBB10_1016
; %bb.1014:
	v_cmp_ne_u16_e32 vcc_lo, 11, v6
	s_and_not1_b32 s0, s0, exec_lo
	s_mov_b32 s2, -1
	s_and_b32 s3, vcc_lo, exec_lo
	s_delay_alu instid0(SALU_CYCLE_1)
	s_or_b32 s0, s0, s3
	s_branch .LBB10_1016
.LBB10_1015:
	s_mov_b32 s2, 0
.LBB10_1016:
	s_and_not1_b32 s3, s53, exec_lo
	s_and_b32 s4, s0, exec_lo
	s_and_b32 s1, s1, exec_lo
	;; [unrolled: 1-line block ×3, first 2 shown]
	s_or_b32 s2, s3, s4
.LBB10_1017:
	s_or_b32 exec_lo, exec_lo, s48
	s_delay_alu instid0(SALU_CYCLE_1)
	s_and_not1_b32 s3, s53, exec_lo
	s_and_b32 s2, s2, exec_lo
	s_and_b32 s1, s1, exec_lo
	;; [unrolled: 1-line block ×3, first 2 shown]
	s_or_b32 s53, s3, s2
.LBB10_1018:
	s_or_b32 exec_lo, exec_lo, s52
	s_delay_alu instid0(SALU_CYCLE_1)
	s_and_not1_b32 s2, s50, exec_lo
	s_and_b32 s3, s53, exec_lo
	s_and_b32 s1, s1, exec_lo
	;; [unrolled: 1-line block ×3, first 2 shown]
	s_or_b32 s50, s2, s3
.LBB10_1019:
	s_or_b32 exec_lo, exec_lo, s51
	s_delay_alu instid0(SALU_CYCLE_1)
	s_and_not1_b32 s2, s47, exec_lo
	s_and_b32 s3, s50, exec_lo
	s_and_b32 s1, s1, exec_lo
	;; [unrolled: 1-line block ×3, first 2 shown]
	s_or_b32 s47, s2, s3
	s_or_b32 exec_lo, exec_lo, s49
	s_mov_b32 s0, 0
	s_and_saveexec_b32 s2, s47
	s_cbranch_execz .LBB10_134
.LBB10_1020:
	s_cbranch_execnz .LBB10_1022
; %bb.1021:
	s_mov_b32 s0, exec_lo
	s_and_not1_b32 s50, s50, exec_lo
	s_or_b32 exec_lo, exec_lo, s2
	s_and_saveexec_b32 s2, s50
	s_delay_alu instid0(SALU_CYCLE_1)
	s_xor_b32 s2, exec_lo, s2
	s_cbranch_execnz .LBB10_135
	s_branch .LBB10_136
.LBB10_1022:
	s_trap 2
	s_sendmsg_rtn_b32 s0, sendmsg(MSG_RTN_GET_DOORBELL)
	s_mov_b32 ttmp2, m0
	s_waitcnt lgkmcnt(0)
	s_and_b32 s0, s0, 0x3ff
	s_delay_alu instid0(SALU_CYCLE_1) | instskip(NEXT) | instid1(SALU_CYCLE_1)
	s_bitset1_b32 s0, 10
	s_mov_b32 m0, s0
	s_sendmsg sendmsg(MSG_INTERRUPT)
	s_mov_b32 m0, ttmp2
.LBB10_1023:                            ; =>This Inner Loop Header: Depth=1
	s_sethalt 5
	s_branch .LBB10_1023
.LBB10_1024:
	s_or_saveexec_b32 s3, s3
                                        ; implicit-def: $sgpr4
	s_delay_alu instid0(SALU_CYCLE_1)
	s_xor_b32 exec_lo, exec_lo, s3
	s_cbranch_execz .LBB10_970
.LBB10_1025:
	v_add_f32_e64 v3, 0x46000000, |v2|
	s_and_not1_b32 s2, s2, exec_lo
	s_mov_b32 s4, 0
	s_delay_alu instid0(VALU_DEP_1) | instskip(NEXT) | instid1(VALU_DEP_1)
	v_and_b32_e32 v3, 0xff, v3
	v_cmp_ne_u32_e32 vcc_lo, 0, v3
	s_and_b32 s5, vcc_lo, exec_lo
	s_delay_alu instid0(SALU_CYCLE_1)
	s_or_b32 s2, s2, s5
	s_or_b32 exec_lo, exec_lo, s3
	v_mov_b32_e32 v7, s4
	s_and_saveexec_b32 s3, s2
	s_cbranch_execnz .LBB10_971
	s_branch .LBB10_972
.LBB10_1026:
	s_or_saveexec_b32 s4, s4
                                        ; implicit-def: $sgpr5
	s_delay_alu instid0(SALU_CYCLE_1)
	s_xor_b32 exec_lo, exec_lo, s4
	s_cbranch_execz .LBB10_982
.LBB10_1027:
	v_add_f32_e64 v3, 0x42800000, |v2|
	s_and_not1_b32 s3, s3, exec_lo
	s_mov_b32 s5, 0
	s_delay_alu instid0(VALU_DEP_1) | instskip(NEXT) | instid1(VALU_DEP_1)
	v_and_b32_e32 v3, 0xff, v3
	v_cmp_ne_u32_e32 vcc_lo, 0, v3
	s_and_b32 s6, vcc_lo, exec_lo
	s_delay_alu instid0(SALU_CYCLE_1)
	s_or_b32 s3, s3, s6
	s_or_b32 exec_lo, exec_lo, s4
	v_mov_b32_e32 v7, s5
	s_and_saveexec_b32 s4, s3
	s_cbranch_execnz .LBB10_983
	s_branch .LBB10_984
	.section	.rodata,"a",@progbits
	.p2align	6, 0x0
	.amdhsa_kernel _ZN2at6native32elementwise_kernel_manual_unrollILi128ELi4EZNS0_15gpu_kernel_implIZZZNS0_12_GLOBAL__N_121bessel_y1_kernel_cudaERNS_18TensorIteratorBaseEENKUlvE_clEvENKUlvE_clEvEUldE_EEvS5_RKT_EUlibE_EEviT1_
		.amdhsa_group_segment_fixed_size 0
		.amdhsa_private_segment_fixed_size 48
		.amdhsa_kernarg_size 40
		.amdhsa_user_sgpr_count 15
		.amdhsa_user_sgpr_dispatch_ptr 0
		.amdhsa_user_sgpr_queue_ptr 0
		.amdhsa_user_sgpr_kernarg_segment_ptr 1
		.amdhsa_user_sgpr_dispatch_id 0
		.amdhsa_user_sgpr_private_segment_size 0
		.amdhsa_wavefront_size32 1
		.amdhsa_uses_dynamic_stack 1
		.amdhsa_enable_private_segment 1
		.amdhsa_system_sgpr_workgroup_id_x 1
		.amdhsa_system_sgpr_workgroup_id_y 0
		.amdhsa_system_sgpr_workgroup_id_z 0
		.amdhsa_system_sgpr_workgroup_info 0
		.amdhsa_system_vgpr_workitem_id 0
		.amdhsa_next_free_vgpr 104
		.amdhsa_next_free_sgpr 54
		.amdhsa_reserve_vcc 1
		.amdhsa_float_round_mode_32 0
		.amdhsa_float_round_mode_16_64 0
		.amdhsa_float_denorm_mode_32 3
		.amdhsa_float_denorm_mode_16_64 3
		.amdhsa_dx10_clamp 1
		.amdhsa_ieee_mode 1
		.amdhsa_fp16_overflow 0
		.amdhsa_workgroup_processor_mode 1
		.amdhsa_memory_ordered 1
		.amdhsa_forward_progress 0
		.amdhsa_shared_vgpr_count 0
		.amdhsa_exception_fp_ieee_invalid_op 0
		.amdhsa_exception_fp_denorm_src 0
		.amdhsa_exception_fp_ieee_div_zero 0
		.amdhsa_exception_fp_ieee_overflow 0
		.amdhsa_exception_fp_ieee_underflow 0
		.amdhsa_exception_fp_ieee_inexact 0
		.amdhsa_exception_int_div_zero 0
	.end_amdhsa_kernel
	.section	.text._ZN2at6native32elementwise_kernel_manual_unrollILi128ELi4EZNS0_15gpu_kernel_implIZZZNS0_12_GLOBAL__N_121bessel_y1_kernel_cudaERNS_18TensorIteratorBaseEENKUlvE_clEvENKUlvE_clEvEUldE_EEvS5_RKT_EUlibE_EEviT1_,"axG",@progbits,_ZN2at6native32elementwise_kernel_manual_unrollILi128ELi4EZNS0_15gpu_kernel_implIZZZNS0_12_GLOBAL__N_121bessel_y1_kernel_cudaERNS_18TensorIteratorBaseEENKUlvE_clEvENKUlvE_clEvEUldE_EEvS5_RKT_EUlibE_EEviT1_,comdat
.Lfunc_end10:
	.size	_ZN2at6native32elementwise_kernel_manual_unrollILi128ELi4EZNS0_15gpu_kernel_implIZZZNS0_12_GLOBAL__N_121bessel_y1_kernel_cudaERNS_18TensorIteratorBaseEENKUlvE_clEvENKUlvE_clEvEUldE_EEvS5_RKT_EUlibE_EEviT1_, .Lfunc_end10-_ZN2at6native32elementwise_kernel_manual_unrollILi128ELi4EZNS0_15gpu_kernel_implIZZZNS0_12_GLOBAL__N_121bessel_y1_kernel_cudaERNS_18TensorIteratorBaseEENKUlvE_clEvENKUlvE_clEvEUldE_EEvS5_RKT_EUlibE_EEviT1_
                                        ; -- End function
	.section	.AMDGPU.csdata,"",@progbits
; Kernel info:
; codeLenInByte = 18460
; NumSgprs: 56
; NumVgprs: 104
; ScratchSize: 48
; MemoryBound: 0
; FloatMode: 240
; IeeeMode: 1
; LDSByteSize: 0 bytes/workgroup (compile time only)
; SGPRBlocks: 6
; VGPRBlocks: 12
; NumSGPRsForWavesPerEU: 56
; NumVGPRsForWavesPerEU: 104
; Occupancy: 12
; WaveLimiterHint : 0
; COMPUTE_PGM_RSRC2:SCRATCH_EN: 1
; COMPUTE_PGM_RSRC2:USER_SGPR: 15
; COMPUTE_PGM_RSRC2:TRAP_HANDLER: 0
; COMPUTE_PGM_RSRC2:TGID_X_EN: 1
; COMPUTE_PGM_RSRC2:TGID_Y_EN: 0
; COMPUTE_PGM_RSRC2:TGID_Z_EN: 0
; COMPUTE_PGM_RSRC2:TIDIG_COMP_CNT: 0
	.text
	.p2align	2                               ; -- Begin function _ZN2at6native6invokeIZZZNS0_12_GLOBAL__N_121bessel_y1_kernel_cudaERNS_18TensorIteratorBaseEENKUlvE_clEvENKUlvE_clEvEUldE_j15function_traitsIS7_EEENT1_11result_typeERKT_PrKPcPKT0_PKN3c1010ScalarTypeEi
	.type	_ZN2at6native6invokeIZZZNS0_12_GLOBAL__N_121bessel_y1_kernel_cudaERNS_18TensorIteratorBaseEENKUlvE_clEvENKUlvE_clEvEUldE_j15function_traitsIS7_EEENT1_11result_typeERKT_PrKPcPKT0_PKN3c1010ScalarTypeEi,@function
_ZN2at6native6invokeIZZZNS0_12_GLOBAL__N_121bessel_y1_kernel_cudaERNS_18TensorIteratorBaseEENKUlvE_clEvENKUlvE_clEvEUldE_j15function_traitsIS7_EEENT1_11result_typeERKT_PrKPcPKT0_PKN3c1010ScalarTypeEi: ; @_ZN2at6native6invokeIZZZNS0_12_GLOBAL__N_121bessel_y1_kernel_cudaERNS_18TensorIteratorBaseEENKUlvE_clEvENKUlvE_clEvEUldE_j15function_traitsIS7_EEENT1_11result_typeERKT_PrKPcPKT0_PKN3c1010ScalarTypeEi
; %bb.0:
	s_waitcnt vmcnt(0) expcnt(0) lgkmcnt(0)
	s_mov_b32 s0, s33
	s_mov_b32 s33, s32
	s_or_saveexec_b32 s1, -1
	scratch_store_b32 off, v45, s33 offset:20 ; 4-byte Folded Spill
	s_mov_b32 exec_lo, s1
	v_writelane_b32 v45, s0, 7
	s_add_i32 s32, s32, 32
	s_clause 0x4
	scratch_store_b32 off, v40, s33 offset:16
	; meta instruction
	scratch_store_b32 off, v41, s33 offset:12
	; meta instruction
	;; [unrolled: 2-line block ×4, first 2 shown]
	scratch_store_b32 off, v44, s33
	v_writelane_b32 v45, s34, 0
	v_writelane_b32 v45, s35, 1
	;; [unrolled: 1-line block ×7, first 2 shown]
	v_add_co_u32 v0, vcc_lo, v0, v2
	v_and_b32_e32 v3, 0xff, v3
	v_add_co_ci_u32_e32 v1, vcc_lo, 0, v1, vcc_lo
	s_mov_b32 s0, 0
                                        ; implicit-def: $vgpr41_vgpr42
	s_mov_b32 s1, exec_lo
	s_delay_alu instid0(VALU_DEP_2)
	v_cmpx_lt_i16_e32 10, v3
	s_xor_b32 s2, exec_lo, s1
	s_cbranch_execz .LBB11_41
; %bb.1:
	s_mov_b32 s3, 0
	s_mov_b32 s6, 0
	;; [unrolled: 1-line block ×3, first 2 shown]
                                        ; implicit-def: $vgpr41_vgpr42
	s_mov_b32 s0, exec_lo
	v_cmpx_lt_i16_e32 25, v3
	s_xor_b32 s5, exec_lo, s0
	s_cbranch_execz .LBB11_93
; %bb.2:
	s_mov_b32 s0, exec_lo
                                        ; implicit-def: $vgpr41_vgpr42
	v_cmpx_lt_i16_e32 28, v3
	s_xor_b32 s0, exec_lo, s0
	s_cbranch_execz .LBB11_18
; %bb.3:
	s_mov_b32 s7, 0
	s_mov_b32 s1, exec_lo
                                        ; implicit-def: $vgpr41_vgpr42
	v_cmpx_lt_i16_e32 43, v3
	s_xor_b32 s1, exec_lo, s1
	s_cbranch_execz .LBB11_13
; %bb.4:
	s_mov_b32 s7, exec_lo
                                        ; implicit-def: $vgpr41_vgpr42
	v_cmpx_lt_i16_e32 45, v3
	s_xor_b32 s7, exec_lo, s7
	s_cbranch_execz .LBB11_8
; %bb.5:
	s_mov_b32 s8, -1
	s_mov_b32 s6, exec_lo
                                        ; implicit-def: $vgpr41_vgpr42
	v_cmpx_eq_u16_e32 46, v3
	s_cbranch_execz .LBB11_7
; %bb.6:
	flat_load_b32 v2, v[0:1]
	s_mov_b32 s4, exec_lo
	s_xor_b32 s8, exec_lo, -1
	s_waitcnt vmcnt(0) lgkmcnt(0)
	v_lshlrev_b32_e32 v2, 16, v2
	s_delay_alu instid0(VALU_DEP_1)
	v_cvt_f64_f32_e32 v[41:42], v2
.LBB11_7:
	s_or_b32 exec_lo, exec_lo, s6
	s_delay_alu instid0(SALU_CYCLE_1)
	s_and_b32 s6, s4, exec_lo
	s_and_b32 s4, s8, exec_lo
                                        ; implicit-def: $vgpr3
.LBB11_8:
	s_and_not1_saveexec_b32 s7, s7
	s_cbranch_execz .LBB11_12
; %bb.9:
	s_mov_b32 s9, -1
	s_mov_b32 s10, s6
	s_mov_b32 s8, exec_lo
                                        ; implicit-def: $vgpr41_vgpr42
	v_cmpx_eq_u16_e32 44, v3
	s_cbranch_execz .LBB11_11
; %bb.10:
	flat_load_u8 v4, v[0:1]
	s_or_b32 s10, s6, exec_lo
	s_xor_b32 s9, exec_lo, -1
	s_waitcnt vmcnt(0) lgkmcnt(0)
	v_cmp_ne_u32_e32 vcc_lo, 0xff, v4
	v_lshlrev_b32_e32 v2, 23, v4
	s_delay_alu instid0(VALU_DEP_1) | instskip(NEXT) | instid1(VALU_DEP_1)
	v_cvt_f64_f32_e32 v[2:3], v2
	v_cndmask_b32_e32 v3, 0x7ff80000, v3, vcc_lo
	s_delay_alu instid0(VALU_DEP_2) | instskip(SKIP_1) | instid1(VALU_DEP_3)
	v_cndmask_b32_e32 v2, 0x20000000, v2, vcc_lo
	v_cmp_ne_u32_e32 vcc_lo, 0, v4
	v_cndmask_b32_e32 v42, 0x38000000, v3, vcc_lo
	s_delay_alu instid0(VALU_DEP_3)
	v_cndmask_b32_e32 v41, 0, v2, vcc_lo
.LBB11_11:
	s_or_b32 exec_lo, exec_lo, s8
	s_delay_alu instid0(SALU_CYCLE_1)
	s_and_not1_b32 s6, s6, exec_lo
	s_and_b32 s8, s10, exec_lo
	s_and_not1_b32 s4, s4, exec_lo
	s_and_b32 s9, s9, exec_lo
	s_or_b32 s6, s6, s8
	s_or_b32 s4, s4, s9
.LBB11_12:
	s_or_b32 exec_lo, exec_lo, s7
	s_delay_alu instid0(SALU_CYCLE_1)
	s_and_b32 s7, s6, exec_lo
	s_and_b32 s6, s4, exec_lo
                                        ; implicit-def: $vgpr3
.LBB11_13:
	s_and_not1_saveexec_b32 s1, s1
	s_cbranch_execz .LBB11_17
; %bb.14:
	s_mov_b32 s4, -1
	s_mov_b32 s8, s7
	s_mov_b32 s9, exec_lo
                                        ; implicit-def: $vgpr41_vgpr42
	v_cmpx_eq_u16_e32 29, v3
	s_cbranch_execz .LBB11_16
; %bb.15:
	flat_load_b64 v[2:3], v[0:1]
	s_or_b32 s8, s7, exec_lo
	s_xor_b32 s4, exec_lo, -1
	s_waitcnt vmcnt(0) lgkmcnt(0)
	v_cvt_f64_u32_e32 v[3:4], v3
	v_cvt_f64_u32_e32 v[5:6], v2
	s_delay_alu instid0(VALU_DEP_2) | instskip(NEXT) | instid1(VALU_DEP_1)
	v_ldexp_f64 v[3:4], v[3:4], 32
	v_add_f64 v[41:42], v[3:4], v[5:6]
.LBB11_16:
	s_or_b32 exec_lo, exec_lo, s9
	s_delay_alu instid0(SALU_CYCLE_1)
	s_and_not1_b32 s7, s7, exec_lo
	s_and_b32 s8, s8, exec_lo
	s_and_not1_b32 s6, s6, exec_lo
	s_and_b32 s4, s4, exec_lo
	s_or_b32 s7, s7, s8
	s_or_b32 s6, s6, s4
.LBB11_17:
	s_or_b32 exec_lo, exec_lo, s1
	s_delay_alu instid0(SALU_CYCLE_1)
	s_and_b32 s4, s7, exec_lo
	s_and_b32 s6, s6, exec_lo
                                        ; implicit-def: $vgpr3
.LBB11_18:
	s_and_not1_saveexec_b32 s7, s0
	s_cbranch_execz .LBB11_36
; %bb.19:
	s_mov_b32 s0, exec_lo
                                        ; implicit-def: $vgpr41_vgpr42
	v_cmpx_lt_i16_e32 26, v3
	s_xor_b32 s0, exec_lo, s0
	s_cbranch_execz .LBB11_25
; %bb.20:
	s_mov_b32 s1, exec_lo
                                        ; implicit-def: $vgpr41_vgpr42
	v_cmpx_lt_i16_e32 27, v3
	s_xor_b32 s1, exec_lo, s1
	s_cbranch_execz .LBB11_22
; %bb.21:
	flat_load_b32 v2, v[0:1]
	s_waitcnt vmcnt(0) lgkmcnt(0)
	v_cvt_f64_u32_e32 v[41:42], v2
.LBB11_22:
	s_and_not1_saveexec_b32 s1, s1
	s_cbranch_execz .LBB11_24
; %bb.23:
	flat_load_u16 v2, v[0:1]
	s_waitcnt vmcnt(0) lgkmcnt(0)
	v_cvt_f64_u32_e32 v[41:42], v2
.LBB11_24:
	s_or_b32 exec_lo, exec_lo, s1
.LBB11_25:
	s_and_not1_saveexec_b32 s8, s0
	s_cbranch_execz .LBB11_35
; %bb.26:
	flat_load_u8 v2, v[0:1]
	s_mov_b32 s9, 0
	s_mov_b32 s10, exec_lo
                                        ; implicit-def: $sgpr0_sgpr1
	s_waitcnt vmcnt(0) lgkmcnt(0)
	v_cmpx_lt_i16_e32 0x7f, v2
	s_xor_b32 s10, exec_lo, s10
	s_cbranch_execz .LBB11_30
; %bb.27:
	s_mov_b32 s11, -1
	s_mov_b32 s9, exec_lo
                                        ; implicit-def: $sgpr0_sgpr1
	v_cmpx_eq_u16_e32 0x80, v2
; %bb.28:
	s_mov_b32 s1, 0x7ff80000
	s_brev_b32 s0, 4
	s_xor_b32 s11, exec_lo, -1
; %bb.29:
	s_or_b32 exec_lo, exec_lo, s9
	s_delay_alu instid0(SALU_CYCLE_1)
	s_and_b32 s9, s11, exec_lo
.LBB11_30:
	s_or_saveexec_b32 s10, s10
	v_dual_mov_b32 v42, s1 :: v_dual_mov_b32 v41, s0
	s_xor_b32 exec_lo, exec_lo, s10
; %bb.31:
	v_cmp_ne_u16_e32 vcc_lo, 0, v2
	v_mov_b32_e32 v41, 0
	v_mov_b32_e32 v42, 0
	s_and_not1_b32 s0, s9, exec_lo
	s_and_b32 s1, vcc_lo, exec_lo
	s_delay_alu instid0(SALU_CYCLE_1)
	s_or_b32 s9, s0, s1
; %bb.32:
	s_or_b32 exec_lo, exec_lo, s10
	s_and_saveexec_b32 s0, s9
	s_cbranch_execz .LBB11_34
; %bb.33:
	v_and_b32_e32 v3, 0xffff, v2
	v_lshlrev_b32_e32 v2, 24, v2
	s_delay_alu instid0(VALU_DEP_2) | instskip(NEXT) | instid1(VALU_DEP_2)
	v_and_b32_e32 v4, 7, v3
	v_and_b32_e32 v2, 0x80000000, v2
	s_delay_alu instid0(VALU_DEP_2) | instskip(NEXT) | instid1(VALU_DEP_1)
	v_clz_i32_u32_e32 v5, v4
	v_min_u32_e32 v5, 32, v5
	s_delay_alu instid0(VALU_DEP_1) | instskip(SKIP_1) | instid1(VALU_DEP_2)
	v_subrev_nc_u32_e32 v6, 28, v5
	v_sub_nc_u32_e32 v5, 29, v5
	v_lshlrev_b32_e32 v6, v6, v3
	v_bfe_u32 v3, v3, 3, 4
	s_delay_alu instid0(VALU_DEP_2) | instskip(NEXT) | instid1(VALU_DEP_2)
	v_and_b32_e32 v6, 7, v6
	v_cmp_eq_u32_e32 vcc_lo, 0, v3
	s_delay_alu instid0(VALU_DEP_2) | instskip(NEXT) | instid1(VALU_DEP_1)
	v_dual_cndmask_b32 v3, v3, v5 :: v_dual_cndmask_b32 v4, v4, v6
	v_lshl_add_u32 v3, v3, 23, 0x3b800000
	s_delay_alu instid0(VALU_DEP_2) | instskip(NEXT) | instid1(VALU_DEP_1)
	v_lshlrev_b32_e32 v4, 20, v4
	v_or3_b32 v2, v2, v3, v4
	s_delay_alu instid0(VALU_DEP_1)
	v_cvt_f64_f32_e32 v[41:42], v2
.LBB11_34:
	s_or_b32 exec_lo, exec_lo, s0
.LBB11_35:
	s_delay_alu instid0(SALU_CYCLE_1) | instskip(NEXT) | instid1(SALU_CYCLE_1)
	s_or_b32 exec_lo, exec_lo, s8
	s_or_b32 s4, s4, exec_lo
.LBB11_36:
	s_or_b32 exec_lo, exec_lo, s7
	s_delay_alu instid0(SALU_CYCLE_1)
	s_and_b32 s4, s4, exec_lo
	s_and_b32 s6, s6, exec_lo
                                        ; implicit-def: $vgpr3
	s_and_not1_saveexec_b32 s5, s5
	s_cbranch_execnz .LBB11_94
.LBB11_37:
	s_or_b32 exec_lo, exec_lo, s5
	s_and_saveexec_b32 s0, s6
	s_cbranch_execnz .LBB11_121
.LBB11_38:
	s_or_b32 exec_lo, exec_lo, s0
	s_and_saveexec_b32 s0, s3
	s_delay_alu instid0(SALU_CYCLE_1)
	s_xor_b32 s0, exec_lo, s0
	s_cbranch_execz .LBB11_40
.LBB11_39:
	flat_load_u8 v0, v[0:1]
	v_mov_b32_e32 v41, 0
	s_or_b32 s4, s4, exec_lo
	s_waitcnt vmcnt(0) lgkmcnt(0)
	v_cmp_ne_u16_e32 vcc_lo, 0, v0
	v_cndmask_b32_e64 v42, 0, 0x3ff00000, vcc_lo
.LBB11_40:
	s_or_b32 exec_lo, exec_lo, s0
	s_delay_alu instid0(SALU_CYCLE_1)
	s_and_b32 s0, s4, exec_lo
                                        ; implicit-def: $vgpr3
                                        ; implicit-def: $vgpr0_vgpr1
.LBB11_41:
	s_and_not1_saveexec_b32 s1, s2
	s_cbranch_execz .LBB11_83
; %bb.42:
	s_mov_b32 s2, exec_lo
                                        ; implicit-def: $vgpr41_vgpr42
	v_cmpx_lt_i16_e32 4, v3
	s_xor_b32 s2, exec_lo, s2
	s_cbranch_execz .LBB11_64
; %bb.43:
	s_mov_b32 s3, exec_lo
                                        ; implicit-def: $vgpr41_vgpr42
	v_cmpx_lt_i16_e32 7, v3
	s_xor_b32 s3, exec_lo, s3
	;; [unrolled: 6-line block ×4, first 2 shown]
	s_cbranch_execz .LBB11_47
; %bb.46:
	flat_load_b64 v[41:42], v[0:1]
                                        ; implicit-def: $vgpr0_vgpr1
.LBB11_47:
	s_and_not1_saveexec_b32 s5, s5
	s_cbranch_execz .LBB11_49
; %bb.48:
	flat_load_b32 v0, v[0:1]
	s_waitcnt vmcnt(0) lgkmcnt(0)
	v_cvt_f64_f32_e32 v[41:42], v0
.LBB11_49:
	s_or_b32 exec_lo, exec_lo, s5
                                        ; implicit-def: $vgpr0_vgpr1
.LBB11_50:
	s_and_not1_saveexec_b32 s4, s4
	s_cbranch_execz .LBB11_52
; %bb.51:
	flat_load_b32 v0, v[0:1]
	s_waitcnt vmcnt(0) lgkmcnt(0)
	v_cvt_f32_f16_e32 v0, v0
	s_delay_alu instid0(VALU_DEP_1)
	v_cvt_f64_f32_e32 v[41:42], v0
.LBB11_52:
	s_or_b32 exec_lo, exec_lo, s4
                                        ; implicit-def: $vgpr0_vgpr1
                                        ; implicit-def: $vgpr3
.LBB11_53:
	s_and_not1_saveexec_b32 s3, s3
	s_cbranch_execz .LBB11_63
; %bb.54:
	s_mov_b32 s4, exec_lo
                                        ; implicit-def: $vgpr41_vgpr42
	v_cmpx_lt_i16_e32 5, v3
	s_xor_b32 s4, exec_lo, s4
	s_cbranch_execz .LBB11_60
; %bb.55:
	s_mov_b32 s5, exec_lo
                                        ; implicit-def: $vgpr41_vgpr42
	v_cmpx_lt_i16_e32 6, v3
	s_xor_b32 s5, exec_lo, s5
	s_cbranch_execz .LBB11_57
; %bb.56:
	s_waitcnt vmcnt(0) lgkmcnt(0)
	flat_load_b64 v[41:42], v[0:1]
                                        ; implicit-def: $vgpr0_vgpr1
.LBB11_57:
	s_and_not1_saveexec_b32 s5, s5
	s_cbranch_execz .LBB11_59
; %bb.58:
	flat_load_b32 v0, v[0:1]
	s_waitcnt vmcnt(0) lgkmcnt(0)
	v_cvt_f64_f32_e32 v[41:42], v0
.LBB11_59:
	s_or_b32 exec_lo, exec_lo, s5
                                        ; implicit-def: $vgpr0_vgpr1
.LBB11_60:
	s_and_not1_saveexec_b32 s4, s4
	s_cbranch_execz .LBB11_62
; %bb.61:
	flat_load_u16 v0, v[0:1]
	s_waitcnt vmcnt(0) lgkmcnt(0)
	v_cvt_f32_f16_e32 v0, v0
	s_delay_alu instid0(VALU_DEP_1)
	v_cvt_f64_f32_e32 v[41:42], v0
.LBB11_62:
	s_or_b32 exec_lo, exec_lo, s4
.LBB11_63:
	s_delay_alu instid0(SALU_CYCLE_1)
	s_or_b32 exec_lo, exec_lo, s3
                                        ; implicit-def: $vgpr3
                                        ; implicit-def: $vgpr0_vgpr1
.LBB11_64:
	s_and_not1_saveexec_b32 s2, s2
	s_cbranch_execz .LBB11_82
; %bb.65:
	s_mov_b32 s3, exec_lo
                                        ; implicit-def: $vgpr41_vgpr42
	v_cmpx_lt_i16_e32 1, v3
	s_xor_b32 s3, exec_lo, s3
	s_cbranch_execz .LBB11_75
; %bb.66:
	s_mov_b32 s4, exec_lo
                                        ; implicit-def: $vgpr41_vgpr42
	v_cmpx_lt_i16_e32 2, v3
	s_xor_b32 s4, exec_lo, s4
	;; [unrolled: 6-line block ×3, first 2 shown]
	s_cbranch_execz .LBB11_69
; %bb.68:
	flat_load_b64 v[0:1], v[0:1]
	s_waitcnt vmcnt(0) lgkmcnt(0)
	v_cvt_f64_i32_e32 v[1:2], v1
	v_cvt_f64_u32_e32 v[3:4], v0
	s_delay_alu instid0(VALU_DEP_2) | instskip(NEXT) | instid1(VALU_DEP_1)
	v_ldexp_f64 v[1:2], v[1:2], 32
	v_add_f64 v[41:42], v[1:2], v[3:4]
                                        ; implicit-def: $vgpr0_vgpr1
.LBB11_69:
	s_and_not1_saveexec_b32 s5, s5
	s_cbranch_execz .LBB11_71
; %bb.70:
	flat_load_b32 v0, v[0:1]
	s_waitcnt vmcnt(0) lgkmcnt(0)
	v_cvt_f64_i32_e32 v[41:42], v0
.LBB11_71:
	s_or_b32 exec_lo, exec_lo, s5
                                        ; implicit-def: $vgpr0_vgpr1
.LBB11_72:
	s_and_not1_saveexec_b32 s4, s4
	s_cbranch_execz .LBB11_74
; %bb.73:
	flat_load_i16 v0, v[0:1]
	s_waitcnt vmcnt(0) lgkmcnt(0)
	v_cvt_f64_i32_e32 v[41:42], v0
.LBB11_74:
	s_or_b32 exec_lo, exec_lo, s4
                                        ; implicit-def: $vgpr0_vgpr1
                                        ; implicit-def: $vgpr3
.LBB11_75:
	s_and_not1_saveexec_b32 s3, s3
	s_cbranch_execz .LBB11_81
; %bb.76:
	s_mov_b32 s4, exec_lo
                                        ; implicit-def: $vgpr41_vgpr42
	v_cmpx_lt_i16_e32 0, v3
	s_xor_b32 s4, exec_lo, s4
	s_cbranch_execz .LBB11_78
; %bb.77:
	flat_load_i8 v0, v[0:1]
	s_waitcnt vmcnt(0) lgkmcnt(0)
	v_cvt_f64_i32_e32 v[41:42], v0
                                        ; implicit-def: $vgpr0_vgpr1
.LBB11_78:
	s_and_not1_saveexec_b32 s4, s4
	s_cbranch_execz .LBB11_80
; %bb.79:
	flat_load_u8 v0, v[0:1]
	s_waitcnt vmcnt(0) lgkmcnt(0)
	v_cvt_f64_u32_e32 v[41:42], v0
.LBB11_80:
	s_or_b32 exec_lo, exec_lo, s4
.LBB11_81:
	s_delay_alu instid0(SALU_CYCLE_1)
	s_or_b32 exec_lo, exec_lo, s3
.LBB11_82:
	s_delay_alu instid0(SALU_CYCLE_1) | instskip(NEXT) | instid1(SALU_CYCLE_1)
	s_or_b32 exec_lo, exec_lo, s2
	s_or_b32 s0, s0, exec_lo
.LBB11_83:
	s_or_b32 exec_lo, exec_lo, s1
                                        ; implicit-def: $vgpr0_vgpr1
	s_and_saveexec_b32 s35, s0
	s_cbranch_execz .LBB11_131
; %bb.84:
                                        ; implicit-def: $vgpr0_vgpr1
	s_mov_b32 s0, exec_lo
	s_waitcnt vmcnt(0) lgkmcnt(0)
	s_delay_alu instid0(VALU_DEP_1)
	v_cmpx_ge_f64_e32 0x40140000, v[41:42]
	s_xor_b32 s36, exec_lo, s0
	s_cbranch_execz .LBB11_90
; %bb.85:
	v_mov_b32_e32 v0, 0
	v_mov_b32_e32 v1, 0xfff00000
	s_mov_b32 s37, exec_lo
	v_cmpx_neq_f64_e32 0, v[41:42]
	s_cbranch_execz .LBB11_89
; %bb.86:
	v_mov_b32_e32 v0, 0
	v_mov_b32_e32 v1, 0x7ff80000
	s_mov_b32 s38, exec_lo
	v_cmpx_nge_f64_e32 0, v[41:42]
	s_cbranch_execz .LBB11_88
; %bb.87:
	v_mul_f64 v[0:1], v[41:42], v[41:42]
	s_mov_b32 s0, 0xa93f7ac2
	s_mov_b32 s1, 0x40829269
	;; [unrolled: 1-line block ×4, first 2 shown]
	s_delay_alu instid0(VALU_DEP_1)
	v_fma_f64 v[2:3], v[0:1], 0, s[0:1]
	s_mov_b32 s0, 0xbe58ef7f
	s_mov_b32 s1, 0x410cc160
	s_delay_alu instid0(VALU_DEP_1) | instid1(SALU_CYCLE_1)
	v_fma_f64 v[2:3], v[0:1], v[2:3], s[0:1]
	s_mov_b32 s0, 0x62f9b6c5
	s_mov_b32 s1, 0x41d2d2be
	s_delay_alu instid0(SALU_CYCLE_1) | instskip(SKIP_2) | instid1(VALU_DEP_2)
	v_fma_f64 v[4:5], v[0:1], 0, s[0:1]
	s_mov_b32 s0, 0x58836521
	s_mov_b32 s1, 0xc262d72d
	v_fma_f64 v[2:3], v[0:1], v[2:3], s[2:3]
	s_mov_b32 s2, 0x906b7b83
	s_mov_b32 s3, 0x421178c3
	s_delay_alu instid0(VALU_DEP_2) | instskip(SKIP_2) | instid1(VALU_DEP_2)
	v_fma_f64 v[4:5], v[0:1], v[4:5], s[0:1]
	s_mov_b32 s0, 0xb0910fef
	s_mov_b32 s1, 0x42da0954
	v_fma_f64 v[2:3], v[0:1], v[2:3], s[2:3]
	s_mov_b32 s2, 0xfda99316
	s_mov_b32 s3, 0x428c3f5e
	s_delay_alu instid0(VALU_DEP_2) | instskip(SKIP_2) | instid1(VALU_DEP_2)
	;; [unrolled: 7-line block ×4, first 2 shown]
	v_fma_f64 v[4:5], v[0:1], v[4:5], s[0:1]
	s_mov_b32 s0, 0x5dde2b17
	s_mov_b32 s1, 0xc3a59e41
	v_fma_f64 v[2:3], v[0:1], v[2:3], s[2:3]
	s_mov_b32 s2, 0x90f6747f
	s_mov_b32 s3, 0x43cb90f1
	s_delay_alu instid0(VALU_DEP_2) | instskip(SKIP_3) | instid1(VALU_DEP_2)
	v_fma_f64 v[4:5], v[0:1], v[4:5], s[0:1]
	s_getpc_b64 s[0:1]
	s_add_u32 s0, s0, _Z17bessel_j1_forwardIdET_S0_@rel32@lo+4
	s_addc_u32 s1, s1, _Z17bessel_j1_forwardIdET_S0_@rel32@hi+12
	v_fma_f64 v[0:1], v[0:1], v[2:3], s[2:3]
	s_delay_alu instid0(VALU_DEP_1) | instskip(NEXT) | instid1(VALU_DEP_1)
	v_div_scale_f64 v[2:3], null, v[0:1], v[0:1], v[4:5]
	v_rcp_f64_e32 v[6:7], v[2:3]
	s_waitcnt_depctr 0xfff
	v_fma_f64 v[8:9], -v[2:3], v[6:7], 1.0
	s_delay_alu instid0(VALU_DEP_1) | instskip(NEXT) | instid1(VALU_DEP_1)
	v_fma_f64 v[6:7], v[6:7], v[8:9], v[6:7]
	v_fma_f64 v[8:9], -v[2:3], v[6:7], 1.0
	s_delay_alu instid0(VALU_DEP_1) | instskip(SKIP_1) | instid1(VALU_DEP_1)
	v_fma_f64 v[6:7], v[6:7], v[8:9], v[6:7]
	v_div_scale_f64 v[8:9], vcc_lo, v[4:5], v[0:1], v[4:5]
	v_mul_f64 v[10:11], v[8:9], v[6:7]
	s_delay_alu instid0(VALU_DEP_1) | instskip(NEXT) | instid1(VALU_DEP_1)
	v_fma_f64 v[2:3], -v[2:3], v[10:11], v[8:9]
	v_div_fmas_f64 v[2:3], v[2:3], v[6:7], v[10:11]
	s_delay_alu instid0(VALU_DEP_1)
	v_div_fixup_f64 v[43:44], v[2:3], v[0:1], v[4:5]
	v_dual_mov_b32 v0, v41 :: v_dual_mov_b32 v1, v42
	s_swappc_b64 s[30:31], s[0:1]
	v_frexp_mant_f64_e32 v[2:3], v[41:42]
	s_mov_b32 s1, 0x3fe55555
	s_mov_b32 s0, 0x55555555
	v_mov_b32_e32 v4, 0
	s_mov_b32 s2, 0x6b47b09a
	s_mov_b32 s4, 0xbf559e2b
	;; [unrolled: 1-line block ×4, first 2 shown]
	v_div_scale_f64 v[18:19], null, v[41:42], v[41:42], -1.0
	s_delay_alu instid0(VALU_DEP_3) | instskip(SKIP_1) | instid1(VALU_DEP_2)
	v_cmp_gt_f64_e32 vcc_lo, s[0:1], v[2:3]
	s_mov_b32 s0, 0x55555780
	v_rcp_f64_e32 v[22:23], v[18:19]
	v_cndmask_b32_e64 v5, 0x3ff00000, 2.0, vcc_lo
	s_delay_alu instid0(VALU_DEP_1) | instskip(NEXT) | instid1(VALU_DEP_1)
	v_mul_f64 v[2:3], v[2:3], v[4:5]
	v_add_f64 v[4:5], v[2:3], 1.0
	v_add_f64 v[10:11], v[2:3], -1.0
	s_delay_alu instid0(VALU_DEP_2) | instskip(SKIP_1) | instid1(VALU_DEP_1)
	v_rcp_f64_e32 v[6:7], v[4:5]
	v_add_f64 v[12:13], v[4:5], -1.0
	v_add_f64 v[2:3], v[2:3], -v[12:13]
	s_waitcnt_depctr 0xfff
	v_fma_f64 v[8:9], -v[4:5], v[6:7], 1.0
	s_delay_alu instid0(VALU_DEP_1) | instskip(NEXT) | instid1(VALU_DEP_1)
	v_fma_f64 v[6:7], v[8:9], v[6:7], v[6:7]
	v_fma_f64 v[8:9], -v[4:5], v[6:7], 1.0
	s_delay_alu instid0(VALU_DEP_1) | instskip(NEXT) | instid1(VALU_DEP_1)
	v_fma_f64 v[6:7], v[8:9], v[6:7], v[6:7]
	v_mul_f64 v[8:9], v[10:11], v[6:7]
	s_delay_alu instid0(VALU_DEP_1) | instskip(NEXT) | instid1(VALU_DEP_1)
	v_mul_f64 v[14:15], v[4:5], v[8:9]
	v_fma_f64 v[4:5], v[8:9], v[4:5], -v[14:15]
	s_delay_alu instid0(VALU_DEP_1) | instskip(NEXT) | instid1(VALU_DEP_1)
	v_fma_f64 v[2:3], v[8:9], v[2:3], v[4:5]
	v_add_f64 v[4:5], v[14:15], v[2:3]
	s_delay_alu instid0(VALU_DEP_1) | instskip(SKIP_1) | instid1(VALU_DEP_2)
	v_add_f64 v[12:13], v[10:11], -v[4:5]
	v_add_f64 v[14:15], v[4:5], -v[14:15]
	v_add_f64 v[10:11], v[10:11], -v[12:13]
	s_delay_alu instid0(VALU_DEP_2) | instskip(SKIP_1) | instid1(VALU_DEP_3)
	v_add_f64 v[2:3], v[14:15], -v[2:3]
	v_frexp_exp_i32_f64_e32 v14, v[41:42]
	v_add_f64 v[4:5], v[10:11], -v[4:5]
	s_delay_alu instid0(VALU_DEP_1) | instskip(NEXT) | instid1(VALU_DEP_1)
	v_add_f64 v[2:3], v[2:3], v[4:5]
	v_add_f64 v[2:3], v[12:13], v[2:3]
	s_delay_alu instid0(VALU_DEP_1) | instskip(NEXT) | instid1(VALU_DEP_1)
	v_mul_f64 v[2:3], v[6:7], v[2:3]
	v_add_f64 v[4:5], v[8:9], v[2:3]
	s_delay_alu instid0(VALU_DEP_1) | instskip(NEXT) | instid1(VALU_DEP_1)
	v_mul_f64 v[6:7], v[4:5], v[4:5]
	v_fma_f64 v[10:11], v[6:7], s[4:5], s[2:3]
	s_mov_b32 s2, 0xd7f4df2e
	s_mov_b32 s3, 0x3fc7474d
	v_mul_f64 v[12:13], v[4:5], v[6:7]
	s_delay_alu instid0(VALU_DEP_2)
	v_fma_f64 v[10:11], v[6:7], v[10:11], s[2:3]
	s_mov_b32 s2, 0x16291751
	s_mov_b32 s3, 0x3fcc71c0
	s_delay_alu instid0(VALU_DEP_1) | instid1(SALU_CYCLE_1)
	v_fma_f64 v[10:11], v[6:7], v[10:11], s[2:3]
	s_mov_b32 s2, 0x9b27acf1
	s_mov_b32 s3, 0x3fd24924
	s_delay_alu instid0(VALU_DEP_1) | instid1(SALU_CYCLE_1)
	v_fma_f64 v[10:11], v[6:7], v[10:11], s[2:3]
	s_mov_b32 s2, 0x998ef7b6
	s_mov_b32 s3, 0x3fd99999
	s_delay_alu instid0(VALU_DEP_1) | instid1(SALU_CYCLE_1)
	v_fma_f64 v[10:11], v[6:7], v[10:11], s[2:3]
	s_delay_alu instid0(VALU_DEP_1) | instskip(SKIP_4) | instid1(VALU_DEP_3)
	v_fma_f64 v[6:7], v[6:7], v[10:11], s[0:1]
	v_ldexp_f64 v[10:11], v[4:5], 1
	v_add_f64 v[4:5], v[4:5], -v[8:9]
	s_mov_b32 s0, 0xfefa39ef
	s_mov_b32 s1, 0x3fe62e42
	v_mul_f64 v[6:7], v[12:13], v[6:7]
	v_subrev_co_ci_u32_e32 v12, vcc_lo, 0, v14, vcc_lo
	s_delay_alu instid0(VALU_DEP_3) | instskip(NEXT) | instid1(VALU_DEP_2)
	v_add_f64 v[2:3], v[2:3], -v[4:5]
	v_cvt_f64_i32_e32 v[12:13], v12
	s_delay_alu instid0(VALU_DEP_4) | instskip(NEXT) | instid1(VALU_DEP_3)
	v_add_f64 v[8:9], v[10:11], v[6:7]
	v_ldexp_f64 v[2:3], v[2:3], 1
	s_delay_alu instid0(VALU_DEP_3) | instskip(NEXT) | instid1(VALU_DEP_3)
	v_mul_f64 v[14:15], v[12:13], s[0:1]
	v_add_f64 v[4:5], v[8:9], -v[10:11]
	s_delay_alu instid0(VALU_DEP_2) | instskip(SKIP_2) | instid1(VALU_DEP_2)
	v_fma_f64 v[10:11], v[12:13], s[0:1], -v[14:15]
	s_mov_b32 s0, 0x3b39803f
	s_mov_b32 s1, 0x3c7abc9e
	v_add_f64 v[4:5], v[6:7], -v[4:5]
	s_delay_alu instid0(VALU_DEP_2) | instskip(SKIP_2) | instid1(VALU_DEP_2)
	v_fma_f64 v[6:7], v[12:13], s[0:1], v[10:11]
	s_mov_b32 s0, 0x6dc9c883
	s_mov_b32 s1, 0x3fe45f30
	v_add_f64 v[2:3], v[2:3], v[4:5]
	s_delay_alu instid0(VALU_DEP_2) | instskip(NEXT) | instid1(VALU_DEP_2)
	v_add_f64 v[4:5], v[14:15], v[6:7]
	v_add_f64 v[10:11], v[8:9], v[2:3]
	s_delay_alu instid0(VALU_DEP_2) | instskip(NEXT) | instid1(VALU_DEP_2)
	v_add_f64 v[14:15], v[4:5], -v[14:15]
	v_add_f64 v[12:13], v[4:5], v[10:11]
	v_add_f64 v[8:9], v[10:11], -v[8:9]
	s_delay_alu instid0(VALU_DEP_3) | instskip(NEXT) | instid1(VALU_DEP_3)
	v_add_f64 v[6:7], v[6:7], -v[14:15]
	v_add_f64 v[16:17], v[12:13], -v[4:5]
	s_delay_alu instid0(VALU_DEP_3) | instskip(NEXT) | instid1(VALU_DEP_2)
	v_add_f64 v[2:3], v[2:3], -v[8:9]
	v_add_f64 v[20:21], v[12:13], -v[16:17]
	;; [unrolled: 1-line block ×3, first 2 shown]
	v_fma_f64 v[10:11], -v[18:19], v[22:23], 1.0
	s_delay_alu instid0(VALU_DEP_4) | instskip(NEXT) | instid1(VALU_DEP_4)
	v_add_f64 v[14:15], v[6:7], v[2:3]
	v_add_f64 v[4:5], v[4:5], -v[20:21]
	s_delay_alu instid0(VALU_DEP_1) | instskip(NEXT) | instid1(VALU_DEP_4)
	v_add_f64 v[4:5], v[8:9], v[4:5]
	v_fma_f64 v[8:9], v[22:23], v[10:11], v[22:23]
	s_delay_alu instid0(VALU_DEP_4) | instskip(SKIP_1) | instid1(VALU_DEP_4)
	v_add_f64 v[10:11], v[14:15], -v[6:7]
	v_div_scale_f64 v[22:23], vcc_lo, -1.0, v[41:42], -1.0
	v_add_f64 v[4:5], v[14:15], v[4:5]
	s_delay_alu instid0(VALU_DEP_4) | instskip(NEXT) | instid1(VALU_DEP_4)
	v_fma_f64 v[16:17], -v[18:19], v[8:9], 1.0
	v_add_f64 v[14:15], v[14:15], -v[10:11]
	v_add_f64 v[2:3], v[2:3], -v[10:11]
	s_delay_alu instid0(VALU_DEP_4) | instskip(NEXT) | instid1(VALU_DEP_4)
	v_add_f64 v[20:21], v[12:13], v[4:5]
	v_fma_f64 v[8:9], v[8:9], v[16:17], v[8:9]
	s_delay_alu instid0(VALU_DEP_4) | instskip(NEXT) | instid1(VALU_DEP_3)
	v_add_f64 v[6:7], v[6:7], -v[14:15]
	v_add_f64 v[10:11], v[20:21], -v[12:13]
	s_delay_alu instid0(VALU_DEP_3) | instskip(NEXT) | instid1(VALU_DEP_3)
	v_mul_f64 v[12:13], v[22:23], v[8:9]
	v_add_f64 v[2:3], v[2:3], v[6:7]
	s_delay_alu instid0(VALU_DEP_3) | instskip(NEXT) | instid1(VALU_DEP_3)
	v_add_f64 v[4:5], v[4:5], -v[10:11]
	v_fma_f64 v[6:7], -v[18:19], v[12:13], v[22:23]
	s_delay_alu instid0(VALU_DEP_2) | instskip(NEXT) | instid1(VALU_DEP_2)
	v_add_f64 v[2:3], v[2:3], v[4:5]
	v_div_fmas_f64 v[4:5], v[6:7], v[8:9], v[12:13]
	s_delay_alu instid0(VALU_DEP_2) | instskip(NEXT) | instid1(VALU_DEP_2)
	v_add_f64 v[2:3], v[20:21], v[2:3]
	v_div_fixup_f64 v[4:5], v[4:5], v[41:42], -1.0
	s_delay_alu instid0(VALU_DEP_1) | instskip(NEXT) | instid1(VALU_DEP_1)
	v_fma_f64 v[0:1], v[2:3], v[0:1], v[4:5]
	v_mul_f64 v[0:1], v[0:1], s[0:1]
	s_delay_alu instid0(VALU_DEP_1)
	v_fma_f64 v[0:1], v[41:42], v[43:44], v[0:1]
.LBB11_88:
	s_or_b32 exec_lo, exec_lo, s38
.LBB11_89:
	s_delay_alu instid0(SALU_CYCLE_1)
	s_or_b32 exec_lo, exec_lo, s37
                                        ; implicit-def: $vgpr41_vgpr42
.LBB11_90:
	s_and_not1_saveexec_b32 s3, s36
	s_cbranch_execz .LBB11_130
; %bb.91:
	s_mov_b32 s0, 0x7f3321d2
	s_mov_b32 s1, 0xc002d97c
                                        ; implicit-def: $vgpr10
                                        ; implicit-def: $vgpr2_vgpr3
                                        ; implicit-def: $vgpr4_vgpr5
	s_delay_alu instid0(SALU_CYCLE_1) | instskip(NEXT) | instid1(VALU_DEP_1)
	v_add_f64 v[0:1], v[41:42], s[0:1]
	v_cmp_ngt_f64_e64 s1, 0x41d00000, |v[0:1]|
	s_delay_alu instid0(VALU_DEP_1) | instskip(NEXT) | instid1(SALU_CYCLE_1)
	s_and_saveexec_b32 s0, s1
	s_xor_b32 s2, exec_lo, s0
	s_cbranch_execz .LBB11_123
; %bb.92:
	v_ldexp_f64 v[2:3], |v[0:1]|, 0xffffff80
	v_cmp_le_f64_e64 vcc_lo, 0x7b000000, |v[0:1]|
	v_trig_preop_f64 v[4:5], |v[0:1]|, 0
	v_and_b32_e32 v6, 0x7fffffff, v1
	v_trig_preop_f64 v[16:17], |v[0:1]|, 2
	v_mov_b32_e32 v24, 0
	s_mov_b32 s4, 0x54442d18
	s_mov_b32 s5, 0x3ff921fb
	;; [unrolled: 1-line block ×4, first 2 shown]
	v_dual_cndmask_b32 v3, v6, v3 :: v_dual_cndmask_b32 v2, v0, v2
	v_trig_preop_f64 v[6:7], |v[0:1]|, 1
	s_delay_alu instid0(VALU_DEP_2) | instskip(SKIP_1) | instid1(VALU_DEP_3)
	v_mul_f64 v[8:9], v[4:5], v[2:3]
	v_mul_f64 v[22:23], v[16:17], v[2:3]
	;; [unrolled: 1-line block ×3, first 2 shown]
	s_delay_alu instid0(VALU_DEP_3) | instskip(NEXT) | instid1(VALU_DEP_2)
	v_fma_f64 v[4:5], v[4:5], v[2:3], -v[8:9]
	v_fma_f64 v[6:7], v[6:7], v[2:3], -v[10:11]
	s_delay_alu instid0(VALU_DEP_4) | instskip(NEXT) | instid1(VALU_DEP_3)
	v_fma_f64 v[2:3], v[16:17], v[2:3], -v[22:23]
	v_add_f64 v[12:13], v[10:11], v[4:5]
	s_delay_alu instid0(VALU_DEP_1) | instskip(SKIP_1) | instid1(VALU_DEP_2)
	v_add_f64 v[14:15], v[12:13], -v[10:11]
	v_add_f64 v[20:21], v[8:9], v[12:13]
	v_add_f64 v[18:19], v[12:13], -v[14:15]
	v_add_f64 v[4:5], v[4:5], -v[14:15]
	s_delay_alu instid0(VALU_DEP_3) | instskip(SKIP_1) | instid1(VALU_DEP_4)
	v_ldexp_f64 v[14:15], v[20:21], -2
	v_add_f64 v[8:9], v[20:21], -v[8:9]
	v_add_f64 v[10:11], v[10:11], -v[18:19]
	v_add_f64 v[18:19], v[22:23], v[6:7]
	s_delay_alu instid0(VALU_DEP_4) | instskip(NEXT) | instid1(VALU_DEP_4)
	v_cmp_neq_f64_e64 vcc_lo, 0x7ff00000, |v[14:15]|
	v_add_f64 v[8:9], v[12:13], -v[8:9]
	s_delay_alu instid0(VALU_DEP_4) | instskip(SKIP_1) | instid1(VALU_DEP_2)
	v_add_f64 v[4:5], v[4:5], v[10:11]
	v_fract_f64_e32 v[10:11], v[14:15]
	v_add_f64 v[12:13], v[18:19], v[4:5]
	s_delay_alu instid0(VALU_DEP_2) | instskip(NEXT) | instid1(VALU_DEP_1)
	v_dual_cndmask_b32 v11, 0, v11 :: v_dual_cndmask_b32 v10, 0, v10
	v_ldexp_f64 v[10:11], v[10:11], 2
	s_delay_alu instid0(VALU_DEP_3) | instskip(NEXT) | instid1(VALU_DEP_1)
	v_add_f64 v[14:15], v[8:9], v[12:13]
	v_add_f64 v[20:21], v[14:15], v[10:11]
	v_add_f64 v[8:9], v[14:15], -v[8:9]
	s_delay_alu instid0(VALU_DEP_2) | instskip(SKIP_1) | instid1(VALU_DEP_3)
	v_cmp_gt_f64_e32 vcc_lo, 0, v[20:21]
	v_add_f64 v[20:21], v[18:19], -v[22:23]
	v_add_f64 v[8:9], v[12:13], -v[8:9]
	v_cndmask_b32_e64 v25, 0, 0x40100000, vcc_lo
	s_delay_alu instid0(VALU_DEP_3) | instskip(SKIP_1) | instid1(VALU_DEP_3)
	v_add_f64 v[29:30], v[18:19], -v[20:21]
	v_add_f64 v[6:7], v[6:7], -v[20:21]
	v_add_f64 v[10:11], v[10:11], v[24:25]
	v_add_f64 v[25:26], v[12:13], -v[18:19]
	s_delay_alu instid0(VALU_DEP_4) | instskip(NEXT) | instid1(VALU_DEP_3)
	v_add_f64 v[20:21], v[22:23], -v[29:30]
	v_add_f64 v[27:28], v[14:15], v[10:11]
	s_delay_alu instid0(VALU_DEP_3) | instskip(SKIP_1) | instid1(VALU_DEP_4)
	v_add_f64 v[31:32], v[12:13], -v[25:26]
	v_add_f64 v[4:5], v[4:5], -v[25:26]
	v_add_f64 v[6:7], v[6:7], v[20:21]
	s_delay_alu instid0(VALU_DEP_4) | instskip(NEXT) | instid1(VALU_DEP_4)
	v_cvt_i32_f64_e32 v27, v[27:28]
	v_add_f64 v[18:19], v[18:19], -v[31:32]
	s_delay_alu instid0(VALU_DEP_2) | instskip(NEXT) | instid1(VALU_DEP_2)
	v_cvt_f64_i32_e32 v[25:26], v27
	v_add_f64 v[4:5], v[4:5], v[18:19]
	s_delay_alu instid0(VALU_DEP_2) | instskip(NEXT) | instid1(VALU_DEP_2)
	v_add_f64 v[10:11], v[10:11], -v[25:26]
	v_add_f64 v[4:5], v[6:7], v[4:5]
	s_delay_alu instid0(VALU_DEP_2) | instskip(NEXT) | instid1(VALU_DEP_2)
	v_add_f64 v[6:7], v[14:15], v[10:11]
	v_add_f64 v[2:3], v[2:3], v[4:5]
	s_delay_alu instid0(VALU_DEP_2) | instskip(SKIP_1) | instid1(VALU_DEP_3)
	v_add_f64 v[4:5], v[6:7], -v[10:11]
	v_cmp_le_f64_e32 vcc_lo, 0.5, v[6:7]
	v_add_f64 v[2:3], v[8:9], v[2:3]
	s_delay_alu instid0(VALU_DEP_3) | instskip(SKIP_2) | instid1(VALU_DEP_3)
	v_add_f64 v[4:5], v[14:15], -v[4:5]
	v_cndmask_b32_e64 v25, 0, 0x3ff00000, vcc_lo
	v_add_co_ci_u32_e64 v10, s0, 0, v27, vcc_lo
	v_add_f64 v[2:3], v[2:3], v[4:5]
	s_delay_alu instid0(VALU_DEP_3) | instskip(NEXT) | instid1(VALU_DEP_1)
	v_add_f64 v[4:5], v[6:7], -v[24:25]
	v_add_f64 v[6:7], v[4:5], v[2:3]
	s_delay_alu instid0(VALU_DEP_1) | instskip(SKIP_1) | instid1(VALU_DEP_2)
	v_mul_f64 v[8:9], v[6:7], s[4:5]
	v_add_f64 v[4:5], v[6:7], -v[4:5]
	v_fma_f64 v[11:12], v[6:7], s[4:5], -v[8:9]
	s_delay_alu instid0(VALU_DEP_2) | instskip(NEXT) | instid1(VALU_DEP_2)
	v_add_f64 v[2:3], v[2:3], -v[4:5]
	v_fma_f64 v[4:5], v[6:7], s[6:7], v[11:12]
	s_delay_alu instid0(VALU_DEP_1) | instskip(NEXT) | instid1(VALU_DEP_1)
	v_fma_f64 v[4:5], v[2:3], s[4:5], v[4:5]
	v_add_f64 v[2:3], v[8:9], v[4:5]
	s_delay_alu instid0(VALU_DEP_1) | instskip(NEXT) | instid1(VALU_DEP_1)
	v_add_f64 v[6:7], v[2:3], -v[8:9]
	v_add_f64 v[4:5], v[4:5], -v[6:7]
	s_and_not1_saveexec_b32 s0, s2
	s_cbranch_execz .LBB11_125
	s_branch .LBB11_124
.LBB11_93:
	s_and_not1_saveexec_b32 s5, s5
	s_cbranch_execz .LBB11_37
.LBB11_94:
	s_mov_b32 s0, s4
                                        ; implicit-def: $vgpr41_vgpr42
	s_mov_b32 s1, exec_lo
	v_cmpx_lt_i16_e32 22, v3
	s_xor_b32 s3, exec_lo, s1
	s_cbranch_execz .LBB11_112
; %bb.95:
                                        ; implicit-def: $vgpr41_vgpr42
	s_mov_b32 s0, exec_lo
	v_cmpx_lt_i16_e32 23, v3
	s_xor_b32 s7, exec_lo, s0
	s_cbranch_execz .LBB11_109
; %bb.96:
	;; [unrolled: 6-line block ×3, first 2 shown]
	flat_load_u8 v2, v[0:1]
	s_mov_b32 s9, 0
	s_mov_b32 s10, exec_lo
                                        ; implicit-def: $sgpr0_sgpr1
	s_waitcnt vmcnt(0) lgkmcnt(0)
	v_cmpx_lt_i16_e32 0x7f, v2
	s_xor_b32 s10, exec_lo, s10
	s_cbranch_execz .LBB11_101
; %bb.98:
	s_mov_b32 s11, -1
	s_mov_b32 s9, exec_lo
                                        ; implicit-def: $sgpr0_sgpr1
	v_cmpx_eq_u16_e32 0x80, v2
; %bb.99:
	s_mov_b32 s1, 0x7ff80000
	s_brev_b32 s0, 4
	s_xor_b32 s11, exec_lo, -1
; %bb.100:
	s_or_b32 exec_lo, exec_lo, s9
	s_delay_alu instid0(SALU_CYCLE_1)
	s_and_b32 s9, s11, exec_lo
.LBB11_101:
	s_or_saveexec_b32 s10, s10
	v_dual_mov_b32 v42, s1 :: v_dual_mov_b32 v41, s0
	s_xor_b32 exec_lo, exec_lo, s10
; %bb.102:
	v_cmp_ne_u16_e32 vcc_lo, 0, v2
	v_mov_b32_e32 v41, 0
	v_mov_b32_e32 v42, 0
	s_and_not1_b32 s0, s9, exec_lo
	s_and_b32 s1, vcc_lo, exec_lo
	s_delay_alu instid0(SALU_CYCLE_1)
	s_or_b32 s9, s0, s1
; %bb.103:
	s_or_b32 exec_lo, exec_lo, s10
	s_and_saveexec_b32 s0, s9
	s_cbranch_execz .LBB11_105
; %bb.104:
	v_and_b32_e32 v3, 0xffff, v2
	v_lshlrev_b32_e32 v2, 24, v2
	s_delay_alu instid0(VALU_DEP_2) | instskip(NEXT) | instid1(VALU_DEP_2)
	v_and_b32_e32 v4, 3, v3
	v_and_b32_e32 v2, 0x80000000, v2
	s_delay_alu instid0(VALU_DEP_2) | instskip(NEXT) | instid1(VALU_DEP_1)
	v_clz_i32_u32_e32 v5, v4
	v_min_u32_e32 v5, 32, v5
	s_delay_alu instid0(VALU_DEP_1) | instskip(SKIP_1) | instid1(VALU_DEP_2)
	v_subrev_nc_u32_e32 v6, 29, v5
	v_sub_nc_u32_e32 v5, 30, v5
	v_lshlrev_b32_e32 v6, v6, v3
	v_bfe_u32 v3, v3, 2, 5
	s_delay_alu instid0(VALU_DEP_2) | instskip(NEXT) | instid1(VALU_DEP_2)
	v_and_b32_e32 v6, 3, v6
	v_cmp_eq_u32_e32 vcc_lo, 0, v3
	s_delay_alu instid0(VALU_DEP_2) | instskip(NEXT) | instid1(VALU_DEP_1)
	v_dual_cndmask_b32 v3, v3, v5 :: v_dual_cndmask_b32 v4, v4, v6
	v_lshl_add_u32 v3, v3, 23, 0x37800000
	s_delay_alu instid0(VALU_DEP_2) | instskip(NEXT) | instid1(VALU_DEP_1)
	v_lshlrev_b32_e32 v4, 21, v4
	v_or3_b32 v2, v2, v3, v4
	s_delay_alu instid0(VALU_DEP_1)
	v_cvt_f64_f32_e32 v[41:42], v2
.LBB11_105:
	s_or_b32 exec_lo, exec_lo, s0
.LBB11_106:
	s_and_not1_saveexec_b32 s0, s8
	s_cbranch_execz .LBB11_108
; %bb.107:
	flat_load_u8 v2, v[0:1]
	s_waitcnt vmcnt(0) lgkmcnt(0)
	v_lshlrev_b32_e32 v2, 24, v2
	s_delay_alu instid0(VALU_DEP_1) | instskip(NEXT) | instid1(VALU_DEP_1)
	v_and_b32_e32 v3, 0x7f000000, v2
	v_clz_i32_u32_e32 v4, v3
	v_add_nc_u32_e32 v6, 0x1000000, v3
	v_cmp_ne_u32_e32 vcc_lo, 0, v3
	s_delay_alu instid0(VALU_DEP_3) | instskip(NEXT) | instid1(VALU_DEP_1)
	v_min_u32_e32 v4, 32, v4
	v_sub_nc_u32_e64 v4, v4, 4 clamp
	s_delay_alu instid0(VALU_DEP_1) | instskip(SKIP_1) | instid1(VALU_DEP_2)
	v_lshlrev_b32_e32 v5, v4, v3
	v_lshlrev_b32_e32 v4, 23, v4
	v_lshrrev_b32_e32 v5, 4, v5
	s_delay_alu instid0(VALU_DEP_1) | instskip(SKIP_1) | instid1(VALU_DEP_2)
	v_sub_nc_u32_e32 v4, v5, v4
	v_ashrrev_i32_e32 v5, 8, v6
	v_add_nc_u32_e32 v4, 0x3c000000, v4
	s_delay_alu instid0(VALU_DEP_1) | instskip(NEXT) | instid1(VALU_DEP_1)
	v_and_or_b32 v4, 0x7f800000, v5, v4
	v_cndmask_b32_e32 v3, 0, v4, vcc_lo
	s_delay_alu instid0(VALU_DEP_1) | instskip(NEXT) | instid1(VALU_DEP_1)
	v_and_or_b32 v2, 0x80000000, v2, v3
	v_cvt_f64_f32_e32 v[41:42], v2
.LBB11_108:
	s_or_b32 exec_lo, exec_lo, s0
.LBB11_109:
	s_and_not1_saveexec_b32 s0, s7
	s_cbranch_execz .LBB11_111
; %bb.110:
	flat_load_u8 v2, v[0:1]
	s_waitcnt vmcnt(0) lgkmcnt(0)
	v_lshlrev_b32_e32 v3, 25, v2
	v_lshlrev_b16 v2, 8, v2
	s_delay_alu instid0(VALU_DEP_2) | instskip(NEXT) | instid1(VALU_DEP_2)
	v_lshrrev_b32_e32 v4, 4, v3
	v_and_or_b32 v5, 0x7f00, v2, 0.5
	v_bfe_i32 v2, v2, 0, 16
	s_delay_alu instid0(VALU_DEP_3) | instskip(NEXT) | instid1(VALU_DEP_1)
	v_or_b32_e32 v4, 0x70000000, v4
	v_dual_add_f32 v5, -0.5, v5 :: v_dual_mul_f32 v4, 0x7800000, v4
	v_cmp_gt_u32_e32 vcc_lo, 0x8000000, v3
	s_delay_alu instid0(VALU_DEP_2) | instskip(NEXT) | instid1(VALU_DEP_1)
	v_cndmask_b32_e32 v3, v4, v5, vcc_lo
	v_and_or_b32 v2, 0x80000000, v2, v3
	s_delay_alu instid0(VALU_DEP_1)
	v_cvt_f64_f32_e32 v[41:42], v2
.LBB11_111:
	s_or_b32 exec_lo, exec_lo, s0
	s_delay_alu instid0(SALU_CYCLE_1)
	s_or_b32 s0, s4, exec_lo
                                        ; implicit-def: $vgpr3
.LBB11_112:
	s_or_saveexec_b32 s1, s3
	s_mov_b32 s3, 0
	s_mov_b32 s7, s6
	s_xor_b32 exec_lo, exec_lo, s1
	s_cbranch_execz .LBB11_120
; %bb.113:
	s_mov_b32 s3, s6
	s_mov_b32 s7, s0
	s_mov_b32 s8, exec_lo
                                        ; implicit-def: $vgpr41_vgpr42
	v_cmpx_lt_i16_e32 14, v3
	s_xor_b32 s8, exec_lo, s8
	s_cbranch_execz .LBB11_117
; %bb.114:
	s_mov_b32 s3, -1
	s_mov_b32 s7, s0
	s_mov_b32 s9, exec_lo
                                        ; implicit-def: $vgpr41_vgpr42
	v_cmpx_eq_u16_e32 15, v3
	s_cbranch_execz .LBB11_116
; %bb.115:
	flat_load_u16 v2, v[0:1]
	s_or_b32 s7, s0, exec_lo
	s_xor_b32 s3, exec_lo, -1
	s_waitcnt vmcnt(0) lgkmcnt(0)
	v_lshlrev_b32_e32 v2, 16, v2
	s_delay_alu instid0(VALU_DEP_1)
	v_cvt_f64_f32_e32 v[41:42], v2
.LBB11_116:
	s_or_b32 exec_lo, exec_lo, s9
	s_delay_alu instid0(SALU_CYCLE_1)
	s_and_not1_b32 s9, s0, exec_lo
	s_and_b32 s7, s7, exec_lo
	s_and_not1_b32 s10, s6, exec_lo
	s_and_b32 s3, s3, exec_lo
	s_or_b32 s7, s9, s7
	s_or_b32 s3, s10, s3
                                        ; implicit-def: $vgpr3
.LBB11_117:
	s_or_saveexec_b32 s8, s8
	s_mov_b32 s9, 0
	s_xor_b32 exec_lo, exec_lo, s8
; %bb.118:
	v_cmp_ne_u16_e32 vcc_lo, 11, v3
	s_and_not1_b32 s3, s3, exec_lo
	s_mov_b32 s9, exec_lo
                                        ; implicit-def: $vgpr41_vgpr42
	s_and_b32 s10, vcc_lo, exec_lo
	s_delay_alu instid0(SALU_CYCLE_1)
	s_or_b32 s3, s3, s10
; %bb.119:
	s_or_b32 exec_lo, exec_lo, s8
	s_delay_alu instid0(SALU_CYCLE_1)
	s_and_not1_b32 s0, s0, exec_lo
	s_and_b32 s7, s7, exec_lo
	s_and_b32 s8, s3, exec_lo
	s_or_b32 s0, s0, s7
	s_and_not1_b32 s7, s6, exec_lo
	s_and_b32 s3, s9, exec_lo
	s_or_b32 s7, s7, s8
.LBB11_120:
	s_or_b32 exec_lo, exec_lo, s1
	s_delay_alu instid0(SALU_CYCLE_1)
	s_and_not1_b32 s1, s4, exec_lo
	s_and_b32 s0, s0, exec_lo
	s_and_b32 s3, s3, exec_lo
	s_or_b32 s4, s1, s0
	s_and_not1_b32 s0, s6, exec_lo
	s_and_b32 s1, s7, exec_lo
	s_delay_alu instid0(SALU_CYCLE_1)
	s_or_b32 s6, s0, s1
	s_or_b32 exec_lo, exec_lo, s5
	s_and_saveexec_b32 s0, s6
	s_cbranch_execz .LBB11_38
.LBB11_121:
	s_cbranch_execnz .LBB11_132
; %bb.122:
	; divergent unreachable
	s_and_not1_b32 s3, s3, exec_lo
                                        ; implicit-def: $vgpr41_vgpr42
	s_or_b32 exec_lo, exec_lo, s0
	s_and_saveexec_b32 s0, s3
	s_delay_alu instid0(SALU_CYCLE_1)
	s_xor_b32 s0, exec_lo, s0
	s_cbranch_execnz .LBB11_39
	s_branch .LBB11_40
.LBB11_123:
	s_and_not1_saveexec_b32 s0, s2
	s_cbranch_execz .LBB11_125
.LBB11_124:
	s_mov_b32 s4, 0x6dc9c883
	s_mov_b32 s5, 0x3fe45f30
	;; [unrolled: 1-line block ×3, first 2 shown]
	v_mul_f64 v[2:3], |v[0:1]|, s[4:5]
	s_mov_b32 s4, 0x54442d18
	s_mov_b32 s5, 0xbff921fb
	;; [unrolled: 1-line block ×3, first 2 shown]
	s_delay_alu instid0(VALU_DEP_1) | instskip(NEXT) | instid1(VALU_DEP_1)
	v_rndne_f64_e32 v[6:7], v[2:3]
	v_fma_f64 v[2:3], v[6:7], s[4:5], |v[0:1]|
	v_mul_f64 v[4:5], v[6:7], s[6:7]
	s_mov_b32 s4, 0x252049c0
	s_mov_b32 s5, 0xb97b839a
	s_delay_alu instid0(VALU_DEP_2) | instskip(NEXT) | instid1(VALU_DEP_2)
	v_fma_f64 v[10:11], v[6:7], s[6:7], v[2:3]
	v_add_f64 v[8:9], v[2:3], v[4:5]
	s_mov_b32 s7, 0x3c91a626
	s_delay_alu instid0(VALU_DEP_1) | instskip(NEXT) | instid1(VALU_DEP_3)
	v_add_f64 v[2:3], v[2:3], -v[8:9]
	v_add_f64 v[8:9], v[8:9], -v[10:11]
	s_delay_alu instid0(VALU_DEP_2) | instskip(SKIP_1) | instid1(VALU_DEP_2)
	v_add_f64 v[2:3], v[2:3], v[4:5]
	v_fma_f64 v[4:5], v[6:7], s[6:7], v[4:5]
	v_add_f64 v[2:3], v[8:9], v[2:3]
	s_delay_alu instid0(VALU_DEP_1) | instskip(NEXT) | instid1(VALU_DEP_1)
	v_add_f64 v[2:3], v[2:3], -v[4:5]
	v_fma_f64 v[4:5], v[6:7], s[4:5], v[2:3]
	s_delay_alu instid0(VALU_DEP_1) | instskip(NEXT) | instid1(VALU_DEP_1)
	v_add_f64 v[2:3], v[10:11], v[4:5]
	v_add_f64 v[8:9], v[2:3], -v[10:11]
	v_cvt_i32_f64_e32 v10, v[6:7]
	s_delay_alu instid0(VALU_DEP_2)
	v_add_f64 v[4:5], v[4:5], -v[8:9]
.LBB11_125:
	s_or_b32 exec_lo, exec_lo, s0
                                        ; implicit-def: $vgpr11
                                        ; implicit-def: $vgpr6_vgpr7
                                        ; implicit-def: $vgpr8_vgpr9
	s_and_saveexec_b32 s0, s1
	s_delay_alu instid0(SALU_CYCLE_1)
	s_xor_b32 s1, exec_lo, s0
	s_cbranch_execz .LBB11_127
; %bb.126:
	v_ldexp_f64 v[6:7], |v[0:1]|, 0xffffff80
	v_cmp_le_f64_e64 vcc_lo, 0x7b000000, |v[0:1]|
	v_trig_preop_f64 v[8:9], |v[0:1]|, 0
	v_and_b32_e32 v11, 0x7fffffff, v1
	v_trig_preop_f64 v[21:22], |v[0:1]|, 2
	v_mov_b32_e32 v29, 0
	s_mov_b32 s4, 0x54442d18
	s_mov_b32 s5, 0x3ff921fb
	;; [unrolled: 1-line block ×4, first 2 shown]
	v_dual_cndmask_b32 v6, v0, v6 :: v_dual_cndmask_b32 v7, v11, v7
	v_trig_preop_f64 v[11:12], |v[0:1]|, 1
	s_delay_alu instid0(VALU_DEP_2) | instskip(NEXT) | instid1(VALU_DEP_2)
	v_mul_f64 v[13:14], v[8:9], v[6:7]
	v_mul_f64 v[15:16], v[11:12], v[6:7]
	s_delay_alu instid0(VALU_DEP_2) | instskip(NEXT) | instid1(VALU_DEP_2)
	v_fma_f64 v[8:9], v[8:9], v[6:7], -v[13:14]
	v_fma_f64 v[11:12], v[11:12], v[6:7], -v[15:16]
	s_delay_alu instid0(VALU_DEP_2) | instskip(NEXT) | instid1(VALU_DEP_1)
	v_add_f64 v[17:18], v[15:16], v[8:9]
	v_add_f64 v[19:20], v[17:18], -v[15:16]
	v_add_f64 v[25:26], v[13:14], v[17:18]
	s_delay_alu instid0(VALU_DEP_2) | instskip(SKIP_1) | instid1(VALU_DEP_3)
	v_add_f64 v[23:24], v[17:18], -v[19:20]
	v_add_f64 v[8:9], v[8:9], -v[19:20]
	v_ldexp_f64 v[19:20], v[25:26], -2
	v_add_f64 v[13:14], v[25:26], -v[13:14]
	s_delay_alu instid0(VALU_DEP_4) | instskip(NEXT) | instid1(VALU_DEP_3)
	v_add_f64 v[15:16], v[15:16], -v[23:24]
	v_cmp_neq_f64_e64 vcc_lo, 0x7ff00000, |v[19:20]|
	s_delay_alu instid0(VALU_DEP_3) | instskip(NEXT) | instid1(VALU_DEP_3)
	v_add_f64 v[13:14], v[17:18], -v[13:14]
	v_add_f64 v[8:9], v[8:9], v[15:16]
	v_fract_f64_e32 v[15:16], v[19:20]
	s_delay_alu instid0(VALU_DEP_1) | instskip(SKIP_1) | instid1(VALU_DEP_3)
	v_cndmask_b32_e32 v16, 0, v16, vcc_lo
	v_mul_f64 v[27:28], v[21:22], v[6:7]
	v_cndmask_b32_e32 v15, 0, v15, vcc_lo
	s_delay_alu instid0(VALU_DEP_1) | instskip(NEXT) | instid1(VALU_DEP_3)
	v_ldexp_f64 v[15:16], v[15:16], 2
	v_add_f64 v[23:24], v[27:28], v[11:12]
	v_fma_f64 v[6:7], v[21:22], v[6:7], -v[27:28]
	s_delay_alu instid0(VALU_DEP_2) | instskip(NEXT) | instid1(VALU_DEP_1)
	v_add_f64 v[17:18], v[23:24], v[8:9]
	v_add_f64 v[19:20], v[13:14], v[17:18]
	s_delay_alu instid0(VALU_DEP_1) | instskip(SKIP_1) | instid1(VALU_DEP_2)
	v_add_f64 v[25:26], v[19:20], v[15:16]
	v_add_f64 v[13:14], v[19:20], -v[13:14]
	v_cmp_gt_f64_e32 vcc_lo, 0, v[25:26]
	v_add_f64 v[25:26], v[23:24], -v[27:28]
	v_cndmask_b32_e64 v30, 0, 0x40100000, vcc_lo
	s_delay_alu instid0(VALU_DEP_2) | instskip(SKIP_1) | instid1(VALU_DEP_3)
	v_add_f64 v[34:35], v[23:24], -v[25:26]
	v_add_f64 v[11:12], v[11:12], -v[25:26]
	v_add_f64 v[15:16], v[15:16], v[29:30]
	v_add_f64 v[30:31], v[17:18], -v[23:24]
	s_delay_alu instid0(VALU_DEP_4) | instskip(NEXT) | instid1(VALU_DEP_3)
	v_add_f64 v[25:26], v[27:28], -v[34:35]
	v_add_f64 v[32:33], v[19:20], v[15:16]
	s_delay_alu instid0(VALU_DEP_3) | instskip(SKIP_1) | instid1(VALU_DEP_4)
	v_add_f64 v[36:37], v[17:18], -v[30:31]
	v_add_f64 v[8:9], v[8:9], -v[30:31]
	v_add_f64 v[11:12], v[11:12], v[25:26]
	s_delay_alu instid0(VALU_DEP_4) | instskip(NEXT) | instid1(VALU_DEP_4)
	v_cvt_i32_f64_e32 v32, v[32:33]
	v_add_f64 v[23:24], v[23:24], -v[36:37]
	s_delay_alu instid0(VALU_DEP_2) | instskip(NEXT) | instid1(VALU_DEP_2)
	v_cvt_f64_i32_e32 v[30:31], v32
	v_add_f64 v[8:9], v[8:9], v[23:24]
	s_delay_alu instid0(VALU_DEP_2) | instskip(NEXT) | instid1(VALU_DEP_2)
	v_add_f64 v[15:16], v[15:16], -v[30:31]
	v_add_f64 v[8:9], v[11:12], v[8:9]
	v_add_f64 v[11:12], v[17:18], -v[13:14]
	s_delay_alu instid0(VALU_DEP_3) | instskip(NEXT) | instid1(VALU_DEP_3)
	v_add_f64 v[21:22], v[19:20], v[15:16]
	v_add_f64 v[6:7], v[6:7], v[8:9]
	s_delay_alu instid0(VALU_DEP_2) | instskip(SKIP_1) | instid1(VALU_DEP_3)
	v_add_f64 v[8:9], v[21:22], -v[15:16]
	v_cmp_le_f64_e32 vcc_lo, 0.5, v[21:22]
	v_add_f64 v[6:7], v[11:12], v[6:7]
	s_delay_alu instid0(VALU_DEP_3) | instskip(SKIP_2) | instid1(VALU_DEP_3)
	v_add_f64 v[8:9], v[19:20], -v[8:9]
	v_cndmask_b32_e64 v30, 0, 0x3ff00000, vcc_lo
	v_add_co_ci_u32_e64 v11, s0, 0, v32, vcc_lo
	v_add_f64 v[6:7], v[6:7], v[8:9]
	s_delay_alu instid0(VALU_DEP_3) | instskip(NEXT) | instid1(VALU_DEP_1)
	v_add_f64 v[8:9], v[21:22], -v[29:30]
	v_add_f64 v[12:13], v[8:9], v[6:7]
	s_delay_alu instid0(VALU_DEP_1) | instskip(SKIP_1) | instid1(VALU_DEP_2)
	v_mul_f64 v[14:15], v[12:13], s[4:5]
	v_add_f64 v[8:9], v[12:13], -v[8:9]
	v_fma_f64 v[16:17], v[12:13], s[4:5], -v[14:15]
	s_delay_alu instid0(VALU_DEP_2) | instskip(NEXT) | instid1(VALU_DEP_2)
	v_add_f64 v[6:7], v[6:7], -v[8:9]
	v_fma_f64 v[8:9], v[12:13], s[6:7], v[16:17]
	s_delay_alu instid0(VALU_DEP_1) | instskip(NEXT) | instid1(VALU_DEP_1)
	v_fma_f64 v[8:9], v[6:7], s[4:5], v[8:9]
	v_add_f64 v[6:7], v[14:15], v[8:9]
	s_delay_alu instid0(VALU_DEP_1) | instskip(NEXT) | instid1(VALU_DEP_1)
	v_add_f64 v[12:13], v[6:7], -v[14:15]
	v_add_f64 v[8:9], v[8:9], -v[12:13]
	s_and_not1_saveexec_b32 s0, s1
	s_cbranch_execnz .LBB11_128
	s_branch .LBB11_129
.LBB11_127:
	s_and_not1_saveexec_b32 s0, s1
	s_cbranch_execz .LBB11_129
.LBB11_128:
	s_mov_b32 s4, 0x6dc9c883
	s_mov_b32 s5, 0x3fe45f30
	;; [unrolled: 1-line block ×3, first 2 shown]
	v_mul_f64 v[6:7], |v[0:1]|, s[4:5]
	s_mov_b32 s4, 0x54442d18
	s_mov_b32 s5, 0xbff921fb
	;; [unrolled: 1-line block ×3, first 2 shown]
	s_delay_alu instid0(VALU_DEP_1) | instskip(NEXT) | instid1(VALU_DEP_1)
	v_rndne_f64_e32 v[11:12], v[6:7]
	v_fma_f64 v[6:7], v[11:12], s[4:5], |v[0:1]|
	v_mul_f64 v[8:9], v[11:12], s[6:7]
	s_mov_b32 s4, 0x252049c0
	s_mov_b32 s5, 0xb97b839a
	s_delay_alu instid0(VALU_DEP_2) | instskip(NEXT) | instid1(VALU_DEP_2)
	v_fma_f64 v[15:16], v[11:12], s[6:7], v[6:7]
	v_add_f64 v[13:14], v[6:7], v[8:9]
	s_mov_b32 s7, 0x3c91a626
	s_delay_alu instid0(VALU_DEP_1) | instskip(NEXT) | instid1(VALU_DEP_3)
	v_add_f64 v[6:7], v[6:7], -v[13:14]
	v_add_f64 v[13:14], v[13:14], -v[15:16]
	s_delay_alu instid0(VALU_DEP_2) | instskip(SKIP_1) | instid1(VALU_DEP_2)
	v_add_f64 v[6:7], v[6:7], v[8:9]
	v_fma_f64 v[8:9], v[11:12], s[6:7], v[8:9]
	v_add_f64 v[6:7], v[13:14], v[6:7]
	s_delay_alu instid0(VALU_DEP_1) | instskip(NEXT) | instid1(VALU_DEP_1)
	v_add_f64 v[6:7], v[6:7], -v[8:9]
	v_fma_f64 v[8:9], v[11:12], s[4:5], v[6:7]
	v_cvt_i32_f64_e32 v11, v[11:12]
	s_delay_alu instid0(VALU_DEP_2) | instskip(NEXT) | instid1(VALU_DEP_1)
	v_add_f64 v[6:7], v[15:16], v[8:9]
	v_add_f64 v[13:14], v[6:7], -v[15:16]
	s_delay_alu instid0(VALU_DEP_1)
	v_add_f64 v[8:9], v[8:9], -v[13:14]
.LBB11_129:
	s_or_b32 exec_lo, exec_lo, s0
	v_div_scale_f64 v[12:13], null, v[41:42], v[41:42], 0x40140000
	v_div_scale_f64 v[18:19], vcc_lo, 0x40140000, v[41:42], 0x40140000
	s_mov_b32 s0, 0x6b70ba40
	s_mov_b32 s1, 0x3faa27fa
	;; [unrolled: 1-line block ×6, first 2 shown]
	v_mul_f64 v[26:27], v[2:3], v[2:3]
	v_mul_f64 v[32:33], v[6:7], v[6:7]
	s_mov_b32 s8, 0x796cde01
	s_mov_b32 s9, 0x3ec71de3
	v_mul_f64 v[82:83], v[4:5], 0.5
	v_rcp_f64_e32 v[14:15], v[12:13]
	s_delay_alu instid0(VALU_DEP_3) | instskip(SKIP_1) | instid1(VALU_DEP_4)
	v_mul_f64 v[52:53], v[26:27], 0.5
	v_mul_f64 v[84:85], v[2:3], -v[26:27]
	v_mul_f64 v[98:99], v[6:7], -v[32:33]
	s_waitcnt_depctr 0xfff
	v_fma_f64 v[16:17], -v[12:13], v[14:15], 1.0
	v_add_f64 v[64:65], -v[52:53], 1.0
	s_delay_alu instid0(VALU_DEP_2) | instskip(NEXT) | instid1(VALU_DEP_2)
	v_fma_f64 v[14:15], v[14:15], v[16:17], v[14:15]
	v_add_f64 v[86:87], -v[64:65], 1.0
	s_delay_alu instid0(VALU_DEP_2) | instskip(NEXT) | instid1(VALU_DEP_2)
	v_fma_f64 v[16:17], -v[12:13], v[14:15], 1.0
	v_add_f64 v[52:53], v[86:87], -v[52:53]
	s_delay_alu instid0(VALU_DEP_2) | instskip(NEXT) | instid1(VALU_DEP_2)
	v_fma_f64 v[14:15], v[14:15], v[16:17], v[14:15]
	v_fma_f64 v[52:53], v[2:3], -v[4:5], v[52:53]
	s_delay_alu instid0(VALU_DEP_2) | instskip(NEXT) | instid1(VALU_DEP_1)
	v_mul_f64 v[16:17], v[18:19], v[14:15]
	v_fma_f64 v[12:13], -v[12:13], v[16:17], v[18:19]
	s_delay_alu instid0(VALU_DEP_1) | instskip(NEXT) | instid1(VALU_DEP_1)
	v_div_fmas_f64 v[12:13], v[12:13], v[14:15], v[16:17]
	v_div_fixup_f64 v[12:13], v[12:13], v[41:42], 0x40140000
	s_delay_alu instid0(VALU_DEP_1) | instskip(NEXT) | instid1(VALU_DEP_1)
	v_mul_f64 v[14:15], v[12:13], v[12:13]
	v_fma_f64 v[16:17], v[14:15], 0, s[0:1]
	s_mov_b32 s0, 0x4c6c651b
	s_mov_b32 s1, 0x3f48f92c
	v_fma_f64 v[18:19], v[14:15], 0, s[4:5]
	v_fma_f64 v[20:21], v[14:15], 0, s[0:1]
	s_mov_b32 s0, 0xc66d8fd6
	s_mov_b32 s1, 0x4013edb5
	v_fma_f64 v[22:23], v[14:15], 0, s[6:7]
	s_mov_b32 s4, 0x5948aa83
	s_mov_b32 s5, 0x3fb19fdd
	s_mov_b32 s6, 0xa20e5f6f
	s_mov_b32 s7, 0x409081cb
	s_delay_alu instid0(VALU_DEP_4) | instskip(SKIP_2) | instid1(VALU_DEP_4)
	v_fma_f64 v[16:17], v[14:15], v[16:17], s[0:1]
	s_mov_b32 s0, 0xa3fec4b6
	s_mov_b32 s1, 0x3fb2b948
	v_fma_f64 v[18:19], v[14:15], v[18:19], s[4:5]
	s_delay_alu instid0(VALU_DEP_4) | instskip(SKIP_2) | instid1(VALU_DEP_4)
	v_fma_f64 v[20:21], v[14:15], v[20:21], s[0:1]
	s_mov_b32 s0, 0x9acf1c67
	s_mov_b32 s1, 0x4052f4b9
	v_fma_f64 v[22:23], v[14:15], v[22:23], s[6:7]
	s_mov_b32 s4, 0xb850eed6
	s_mov_b32 s5, 0x3ff1aea9
	s_mov_b32 s6, 0x1bfdfe81
	s_mov_b32 s7, 0x40b37a69
	s_delay_alu instid0(VALU_DEP_4) | instskip(SKIP_2) | instid1(VALU_DEP_4)
	v_fma_f64 v[16:17], v[14:15], v[16:17], s[0:1]
	s_mov_b32 s0, 0xc21596d6
	s_mov_b32 s1, 0x3ff208fe
	v_fma_f64 v[18:19], v[14:15], v[18:19], s[4:5]
	s_delay_alu instid0(VALU_DEP_4) | instskip(SKIP_2) | instid1(VALU_DEP_4)
	v_fma_f64 v[20:21], v[14:15], v[20:21], s[0:1]
	s_mov_b32 s0, 0x47aa180d
	s_mov_b32 s1, 0x4076ec79
	v_fma_f64 v[22:23], v[14:15], v[22:23], s[6:7]
	s_mov_b32 s4, 0xf7d251a1
	s_mov_b32 s5, 0x40144ba2
	s_mov_b32 s6, 0xd280d118
	s_mov_b32 s7, 0x40c2ad28
	s_delay_alu instid0(VALU_DEP_4) | instskip(SKIP_2) | instid1(VALU_DEP_4)
	v_fma_f64 v[16:17], v[14:15], v[16:17], s[0:1]
	s_mov_b32 s0, 0xf8b13a6a
	s_mov_b32 s1, 0x401472c4
	v_fma_f64 v[18:19], v[14:15], v[18:19], s[4:5]
	s_delay_alu instid0(VALU_DEP_4) | instskip(SKIP_2) | instid1(VALU_DEP_4)
	v_fma_f64 v[20:21], v[14:15], v[20:21], s[0:1]
	s_mov_b32 s0, 0xb66f6e50
	s_mov_b32 s1, 0x408636d9
	v_fma_f64 v[22:23], v[14:15], v[22:23], s[6:7]
	s_mov_b32 s4, 0xdda2fd65
	s_mov_b32 s5, 0x4020ccb9
	s_mov_b32 s6, 0xa6973d14
	s_mov_b32 s7, 0x40bf3d0a
	s_delay_alu instid0(VALU_DEP_4) | instskip(SKIP_2) | instid1(VALU_DEP_4)
	v_fma_f64 v[16:17], v[14:15], v[16:17], s[0:1]
	s_mov_b32 s0, 0x8b5d2f16
	s_mov_b32 s1, 0x4020d91c
	v_fma_f64 v[18:19], v[14:15], v[18:19], s[4:5]
	s_delay_alu instid0(VALU_DEP_4) | instskip(SKIP_2) | instid1(VALU_DEP_4)
	v_fma_f64 v[20:21], v[14:15], v[20:21], s[0:1]
	s_mov_b32 s0, 0xb9e802d0
	s_mov_b32 s1, 0x4082abea
	v_fma_f64 v[22:23], v[14:15], v[22:23], s[6:7]
	s_mov_b32 s4, 0x4762b4d9
	s_mov_b32 s5, 0x4014d6dd
	s_mov_b32 s6, 0xb4bd1781
	s_mov_b32 s7, 0x40a61462
	s_delay_alu instid0(VALU_DEP_4) | instskip(SKIP_2) | instid1(VALU_DEP_4)
	v_fma_f64 v[16:17], v[14:15], v[16:17], s[0:1]
	s_mov_b32 s0, 0x142f81a2
	s_mov_b32 s1, 0x4014dbaa
	v_fma_f64 v[18:19], v[14:15], v[18:19], s[4:5]
	s_delay_alu instid0(VALU_DEP_4) | instskip(SKIP_2) | instid1(VALU_DEP_4)
	v_fma_f64 v[20:21], v[14:15], v[20:21], s[0:1]
	s_mov_b32 s0, 0x4c54bb0b
	s_mov_b32 s1, 0x406a760a
	v_fma_f64 v[22:23], v[14:15], v[22:23], s[6:7]
	s_mov_b32 s4, 0x4d159eb5
	s_mov_b32 s5, 0x403934ff
	;; [unrolled: 1-line block ×4, first 2 shown]
	s_delay_alu instid0(VALU_DEP_4) | instskip(SKIP_2) | instid1(VALU_DEP_4)
	v_fma_f64 v[16:17], v[14:15], v[16:17], s[0:1]
	s_mov_b32 s0, 0x6ae75997
	s_mov_b32 s1, 0x4075017f
	v_fma_f64 v[18:19], v[14:15], v[18:19], 1.0
	s_delay_alu instid0(VALU_DEP_4) | instskip(NEXT) | instid1(VALU_DEP_4)
	v_fma_f64 v[20:21], v[14:15], v[20:21], 1.0
	v_fma_f64 v[22:23], v[14:15], v[22:23], s[0:1]
	s_mov_b32 s0, 0xb42fdfa7
	s_mov_b32 s1, 0xbe5ae600
	s_delay_alu instid0(VALU_DEP_4) | instskip(SKIP_2) | instid1(VALU_DEP_3)
	v_fma_f64 v[14:15], v[14:15], v[16:17], s[4:5]
	s_mov_b32 s4, 0xf9a43bb8
	s_mov_b32 s5, 0x3de5e0b2
	v_div_scale_f64 v[16:17], null, v[18:19], v[18:19], v[20:21]
	v_fma_f64 v[34:35], v[26:27], s[4:5], s[0:1]
	v_fma_f64 v[48:49], v[32:33], s[4:5], s[0:1]
	v_cmp_gt_f64_e64 s0, 0x10000000, v[41:42]
	s_mov_b32 s4, 0x9037ab78
	s_mov_b32 s5, 0x3e21eeb6
	v_div_scale_f64 v[96:97], vcc_lo, v[20:21], v[18:19], v[20:21]
	v_fma_f64 v[50:51], v[26:27], s[6:7], s[4:5]
	v_div_scale_f64 v[24:25], null, v[22:23], v[22:23], v[14:15]
	v_rcp_f64_e32 v[28:29], v[16:17]
	v_fma_f64 v[34:35], v[26:27], v[34:35], s[8:9]
	s_delay_alu instid0(VALU_DEP_2) | instskip(SKIP_3) | instid1(VALU_DEP_2)
	v_rcp_f64_e32 v[30:31], v[24:25]
	s_waitcnt_depctr 0xfff
	v_fma_f64 v[36:37], -v[16:17], v[28:29], 1.0
	v_fma_f64 v[38:39], -v[24:25], v[30:31], 1.0
	v_fma_f64 v[28:29], v[28:29], v[36:37], v[28:29]
	v_fma_f64 v[36:37], v[32:33], v[48:49], s[8:9]
	;; [unrolled: 1-line block ×3, first 2 shown]
	s_mov_b32 s6, 0x19e83e5c
	s_mov_b32 s7, 0xbf2a01a0
	;; [unrolled: 1-line block ×3, first 2 shown]
	v_fma_f64 v[34:35], v[26:27], v[34:35], s[6:7]
	s_mov_b32 s5, 0xbe927e4f
	s_delay_alu instid0(SALU_CYCLE_1) | instskip(SKIP_4) | instid1(VALU_DEP_3)
	v_fma_f64 v[50:51], v[26:27], v[50:51], s[4:5]
	v_fma_f64 v[30:31], v[30:31], v[38:39], v[30:31]
	v_cndmask_b32_e64 v38, 0, 1, s0
	v_fma_f64 v[66:67], -v[16:17], v[28:29], 1.0
	v_fma_f64 v[36:37], v[32:33], v[36:37], s[6:7]
	v_lshlrev_b32_e32 v54, 8, v38
	v_mul_f64 v[38:39], v[32:33], 0.5
	v_fma_f64 v[48:49], v[32:33], v[48:49], s[4:5]
	s_mov_b32 s6, 0x11110bb3
	s_mov_b32 s7, 0x3f811111
	v_ldexp_f64 v[54:55], v[41:42], v54
	v_fma_f64 v[34:35], v[26:27], v[34:35], s[6:7]
	s_mov_b32 s4, 0x19f4ec90
	s_mov_b32 s5, 0x3efa01a0
	s_delay_alu instid0(SALU_CYCLE_1)
	v_fma_f64 v[50:51], v[26:27], v[50:51], s[4:5]
	v_fma_f64 v[68:69], -v[24:25], v[30:31], 1.0
	v_fma_f64 v[28:29], v[28:29], v[66:67], v[28:29]
	v_div_scale_f64 v[66:67], s1, v[14:15], v[22:23], v[14:15]
	v_add_f64 v[70:71], -v[38:39], 1.0
	v_fma_f64 v[36:37], v[32:33], v[36:37], s[6:7]
	v_fma_f64 v[48:49], v[32:33], v[48:49], s[4:5]
	s_mov_b32 s4, 0x16c16967
	v_rsq_f64_e32 v[80:81], v[54:55]
	v_fma_f64 v[34:35], v[84:85], v[34:35], v[82:83]
	s_mov_b32 s5, 0xbf56c16c
	s_delay_alu instid0(SALU_CYCLE_1)
	v_fma_f64 v[50:51], v[26:27], v[50:51], s[4:5]
	v_fma_f64 v[30:31], v[30:31], v[68:69], v[30:31]
	v_mul_f64 v[68:69], v[8:9], 0.5
	v_mul_f64 v[82:83], v[96:97], v[28:29]
	v_add_f64 v[100:101], -v[70:71], 1.0
	v_fma_f64 v[48:49], v[32:33], v[48:49], s[4:5]
	s_mov_b32 s4, 0x55555555
	s_mov_b32 s5, 0x3fa55555
	v_fma_f64 v[4:5], v[26:27], v[34:35], -v[4:5]
	s_delay_alu instid0(TRANS32_DEP_1)
	v_mul_f64 v[102:103], v[54:55], v[80:81]
	v_mul_f64 v[80:81], v[80:81], 0.5
	v_mul_f64 v[34:35], v[32:33], v[32:33]
	v_fma_f64 v[50:51], v[26:27], v[50:51], s[4:5]
	v_mul_f64 v[86:87], v[66:67], v[30:31]
	v_fma_f64 v[36:37], v[98:99], v[36:37], v[68:69]
	v_mul_f64 v[68:69], v[26:27], v[26:27]
	v_fma_f64 v[16:17], -v[16:17], v[82:83], v[96:97]
	v_add_f64 v[38:39], v[100:101], -v[38:39]
	v_fma_f64 v[100:101], -v[80:81], v[102:103], 0.5
	v_fma_f64 v[24:25], -v[24:25], v[86:87], v[66:67]
	v_fma_f64 v[26:27], v[32:33], v[36:37], -v[8:9]
	v_fma_f64 v[32:33], v[32:33], v[48:49], s[4:5]
	s_mov_b32 s5, 0xbfc55555
	v_div_fmas_f64 v[16:17], v[16:17], v[28:29], v[82:83]
	s_mov_b32 vcc_lo, s1
	v_fma_f64 v[4:5], v[84:85], s[4:5], v[4:5]
	v_fma_f64 v[8:9], v[6:7], -v[8:9], v[38:39]
	v_fma_f64 v[38:39], v[68:69], v[50:51], v[52:53]
	v_cmp_class_f64_e64 s1, v[0:1], 0x1f8
	v_and_b32_e32 v0, 1, v11
	v_lshlrev_b32_e32 v11, 30, v11
	v_fma_f64 v[36:37], v[102:103], v[100:101], v[102:103]
	v_fma_f64 v[28:29], v[80:81], v[100:101], v[80:81]
	s_delay_alu instid0(VALU_DEP_4) | instskip(NEXT) | instid1(VALU_DEP_4)
	v_cmp_eq_u32_e64 s2, 0, v0
	v_and_b32_e32 v0, 0x80000000, v11
	v_div_fmas_f64 v[24:25], v[24:25], v[30:31], v[86:87]
	v_fma_f64 v[26:27], v[98:99], s[4:5], v[26:27]
	v_add_f64 v[2:3], v[2:3], -v[4:5]
	v_fma_f64 v[8:9], v[34:35], v[32:33], v[8:9]
	v_add_f64 v[32:33], v[64:65], v[38:39]
	v_fma_f64 v[30:31], -v[36:37], v[36:37], v[54:55]
	v_div_fixup_f64 v[4:5], v[24:25], v[22:23], v[14:15]
	v_add_f64 v[6:7], v[6:7], -v[26:27]
	v_and_b32_e32 v22, 1, v10
	v_add_f64 v[8:9], v[70:71], v[8:9]
	s_delay_alu instid0(VALU_DEP_2)
	v_cmp_eq_u32_e32 vcc_lo, 0, v22
	v_cndmask_b32_e32 v2, v32, v2, vcc_lo
	v_fma_f64 v[14:15], v[30:31], v[28:29], v[36:37]
	v_mul_f64 v[4:5], v[12:13], v[4:5]
	v_xor_b32_e32 v7, 0x80000000, v7
	v_div_fixup_f64 v[11:12], v[16:17], v[18:19], v[20:21]
	v_cndmask_b32_e64 v8, v6, v8, s2
	s_delay_alu instid0(VALU_DEP_3) | instskip(NEXT) | instid1(VALU_DEP_2)
	v_cndmask_b32_e64 v6, v7, v9, s2
	v_cndmask_b32_e64 v8, 0, v8, s1
	s_delay_alu instid0(VALU_DEP_2) | instskip(SKIP_3) | instid1(VALU_DEP_4)
	v_xor_b32_e32 v9, v6, v0
	v_fma_f64 v[6:7], -v[14:15], v[14:15], v[54:55]
	v_cndmask_b32_e64 v0, 0, v2, s1
	v_lshlrev_b32_e32 v2, 30, v10
	v_cndmask_b32_e64 v9, 0x7ff80000, v9, s1
	s_delay_alu instid0(VALU_DEP_2) | instskip(SKIP_2) | instid1(VALU_DEP_3)
	v_xor_b32_e32 v1, v2, v1
	v_cndmask_b32_e32 v2, v33, v3, vcc_lo
	v_cmp_class_f64_e64 vcc_lo, v[54:55], 0x260
	v_and_b32_e32 v1, 0x80000000, v1
	s_delay_alu instid0(VALU_DEP_1) | instskip(NEXT) | instid1(VALU_DEP_1)
	v_xor_b32_e32 v1, v2, v1
	v_cndmask_b32_e64 v1, 0x7ff80000, v1, s1
	v_mul_f64 v[4:5], v[4:5], v[8:9]
	v_fma_f64 v[2:3], v[6:7], v[28:29], v[14:15]
	s_delay_alu instid0(VALU_DEP_2) | instskip(SKIP_3) | instid1(VALU_DEP_1)
	v_fma_f64 v[0:1], v[11:12], v[0:1], v[4:5]
	v_cndmask_b32_e64 v4, 0, 0xffffff80, s0
	s_mov_b32 s0, 0x33d43651
	s_mov_b32 s1, 0x3fe98845
	v_ldexp_f64 v[2:3], v[2:3], v4
	s_delay_alu instid0(VALU_DEP_3) | instskip(NEXT) | instid1(VALU_DEP_2)
	v_mul_f64 v[0:1], v[0:1], s[0:1]
	v_dual_cndmask_b32 v3, v3, v55 :: v_dual_cndmask_b32 v2, v2, v54
	s_delay_alu instid0(VALU_DEP_1) | instskip(NEXT) | instid1(VALU_DEP_1)
	v_div_scale_f64 v[4:5], null, v[2:3], v[2:3], v[0:1]
	v_rcp_f64_e32 v[6:7], v[4:5]
	s_waitcnt_depctr 0xfff
	v_fma_f64 v[8:9], -v[4:5], v[6:7], 1.0
	s_delay_alu instid0(VALU_DEP_1) | instskip(NEXT) | instid1(VALU_DEP_1)
	v_fma_f64 v[6:7], v[6:7], v[8:9], v[6:7]
	v_fma_f64 v[8:9], -v[4:5], v[6:7], 1.0
	s_delay_alu instid0(VALU_DEP_1) | instskip(SKIP_1) | instid1(VALU_DEP_1)
	v_fma_f64 v[6:7], v[6:7], v[8:9], v[6:7]
	v_div_scale_f64 v[8:9], vcc_lo, v[0:1], v[2:3], v[0:1]
	v_mul_f64 v[10:11], v[8:9], v[6:7]
	s_delay_alu instid0(VALU_DEP_1) | instskip(NEXT) | instid1(VALU_DEP_1)
	v_fma_f64 v[4:5], -v[4:5], v[10:11], v[8:9]
	v_div_fmas_f64 v[4:5], v[4:5], v[6:7], v[10:11]
	s_delay_alu instid0(VALU_DEP_1)
	v_div_fixup_f64 v[0:1], v[4:5], v[2:3], v[0:1]
.LBB11_130:
	s_or_b32 exec_lo, exec_lo, s3
.LBB11_131:
	s_delay_alu instid0(SALU_CYCLE_1)
	s_or_b32 exec_lo, exec_lo, s35
	s_clause 0x1
	scratch_load_b32 v44, off, s33
	scratch_load_b32 v43, off, s33 offset:4
	s_waitcnt lgkmcnt(0)
	s_clause 0x2
	scratch_load_b32 v42, off, s33 offset:8
	scratch_load_b32 v41, off, s33 offset:12
	;; [unrolled: 1-line block ×3, first 2 shown]
	v_readlane_b32 s30, v45, 5
	v_readlane_b32 s31, v45, 6
	;; [unrolled: 1-line block ×8, first 2 shown]
	s_or_saveexec_b32 s1, -1
	scratch_load_b32 v45, off, s33 offset:20 ; 4-byte Folded Reload
	s_mov_b32 exec_lo, s1
	s_addk_i32 s32, 0xffe0
	s_mov_b32 s33, s0
	s_waitcnt vmcnt(0)
	s_setpc_b64 s[30:31]
.LBB11_132:
	s_trap 2
	s_sendmsg_rtn_b32 s0, sendmsg(MSG_RTN_GET_DOORBELL)
	s_mov_b32 ttmp2, m0
	s_waitcnt lgkmcnt(0)
	s_and_b32 s0, s0, 0x3ff
	s_delay_alu instid0(SALU_CYCLE_1) | instskip(NEXT) | instid1(SALU_CYCLE_1)
	s_bitset1_b32 s0, 10
	s_mov_b32 m0, s0
	s_sendmsg sendmsg(MSG_INTERRUPT)
	s_mov_b32 m0, ttmp2
.LBB11_133:                             ; =>This Inner Loop Header: Depth=1
	s_sethalt 5
	s_branch .LBB11_133
.Lfunc_end11:
	.size	_ZN2at6native6invokeIZZZNS0_12_GLOBAL__N_121bessel_y1_kernel_cudaERNS_18TensorIteratorBaseEENKUlvE_clEvENKUlvE_clEvEUldE_j15function_traitsIS7_EEENT1_11result_typeERKT_PrKPcPKT0_PKN3c1010ScalarTypeEi, .Lfunc_end11-_ZN2at6native6invokeIZZZNS0_12_GLOBAL__N_121bessel_y1_kernel_cudaERNS_18TensorIteratorBaseEENKUlvE_clEvENKUlvE_clEvEUldE_j15function_traitsIS7_EEENT1_11result_typeERKT_PrKPcPKT0_PKN3c1010ScalarTypeEi
                                        ; -- End function
	.section	.AMDGPU.csdata,"",@progbits
; Function info:
; codeLenInByte = 8388
; NumSgprs: 41
; NumVgprs: 104
; ScratchSize: 48
; MemoryBound: 1
	.section	.text._ZN2at6native32elementwise_kernel_manual_unrollILi128ELi4EZNS0_15gpu_kernel_implIZZZNS0_12_GLOBAL__N_121bessel_y1_kernel_cudaERNS_18TensorIteratorBaseEENKUlvE_clEvENKUlvE_clEvEUldE_EEvS5_RKT_EUlibE0_EEviT1_,"axG",@progbits,_ZN2at6native32elementwise_kernel_manual_unrollILi128ELi4EZNS0_15gpu_kernel_implIZZZNS0_12_GLOBAL__N_121bessel_y1_kernel_cudaERNS_18TensorIteratorBaseEENKUlvE_clEvENKUlvE_clEvEUldE_EEvS5_RKT_EUlibE0_EEviT1_,comdat
	.globl	_ZN2at6native32elementwise_kernel_manual_unrollILi128ELi4EZNS0_15gpu_kernel_implIZZZNS0_12_GLOBAL__N_121bessel_y1_kernel_cudaERNS_18TensorIteratorBaseEENKUlvE_clEvENKUlvE_clEvEUldE_EEvS5_RKT_EUlibE0_EEviT1_ ; -- Begin function _ZN2at6native32elementwise_kernel_manual_unrollILi128ELi4EZNS0_15gpu_kernel_implIZZZNS0_12_GLOBAL__N_121bessel_y1_kernel_cudaERNS_18TensorIteratorBaseEENKUlvE_clEvENKUlvE_clEvEUldE_EEvS5_RKT_EUlibE0_EEviT1_
	.p2align	8
	.type	_ZN2at6native32elementwise_kernel_manual_unrollILi128ELi4EZNS0_15gpu_kernel_implIZZZNS0_12_GLOBAL__N_121bessel_y1_kernel_cudaERNS_18TensorIteratorBaseEENKUlvE_clEvENKUlvE_clEvEUldE_EEvS5_RKT_EUlibE0_EEviT1_,@function
_ZN2at6native32elementwise_kernel_manual_unrollILi128ELi4EZNS0_15gpu_kernel_implIZZZNS0_12_GLOBAL__N_121bessel_y1_kernel_cudaERNS_18TensorIteratorBaseEENKUlvE_clEvENKUlvE_clEvEUldE_EEvS5_RKT_EUlibE0_EEviT1_: ; @_ZN2at6native32elementwise_kernel_manual_unrollILi128ELi4EZNS0_15gpu_kernel_implIZZZNS0_12_GLOBAL__N_121bessel_y1_kernel_cudaERNS_18TensorIteratorBaseEENKUlvE_clEvENKUlvE_clEvEUldE_EEvS5_RKT_EUlibE0_EEviT1_
; %bb.0:
	s_clause 0x1
	s_load_b32 s39, s[0:1], 0x8
	s_load_b32 s65, s[0:1], 0x0
	v_lshl_or_b32 v41, s15, 9, v0
	s_mov_b64 s[40:41], s[0:1]
	s_mov_b32 s0, -1
	s_or_b32 s42, s40, 8
	s_mov_b32 s61, 0
	v_or_b32_e32 v3, 0x180, v41
	s_mov_b32 s43, s41
	s_mov_b32 s44, 0
	;; [unrolled: 1-line block ×3, first 2 shown]
	s_mov_b32 s1, exec_lo
	s_waitcnt lgkmcnt(0)
	s_add_i32 s60, s39, -1
	s_delay_alu instid0(SALU_CYCLE_1)
	s_cmp_gt_u32 s60, 1
	s_cselect_b32 s62, -1, 0
	v_cmpx_le_i32_e64 s65, v3
	s_xor_b32 s63, exec_lo, s1
	s_cbranch_execz .LBB12_183
; %bb.1:
	v_mov_b32_e32 v0, 0
	s_clause 0x3
	s_load_b128 s[52:55], s[42:43], 0x4
	s_load_b64 s[56:57], s[42:43], 0x14
	s_load_b128 s[48:51], s[42:43], 0xc4
	s_load_b128 s[44:47], s[42:43], 0x148
	s_cmp_lg_u32 s39, 0
	s_mov_b32 s70, 0
	s_cselect_b32 s67, -1, 0
	global_load_u16 v42, v0, s[42:43] offset:345
	s_add_u32 s58, s42, 0xc4
	s_addc_u32 s59, s43, 0
	s_min_u32 s66, s60, 15
	s_cmp_gt_u32 s39, 1
	s_mov_b32 s68, 0
	s_cselect_b32 s64, -1, 0
	s_mov_b32 s69, exec_lo
	s_waitcnt vmcnt(0)
	v_lshrrev_b16 v40, 8, v42
	v_cmpx_gt_i32_e64 s65, v41
                                        ; implicit-def: $vgpr2_vgpr3
	s_cbranch_execz .LBB12_134
; %bb.2:
	s_and_not1_b32 vcc_lo, exec_lo, s62
	s_cbranch_vccnz .LBB12_7
; %bb.3:
	v_mov_b32_e32 v46, 0
	v_mov_b32_e32 v2, 0
	s_and_not1_b32 vcc_lo, exec_lo, s67
	s_mov_b32 s4, 0
	s_cbranch_vccnz .LBB12_12
; %bb.4:
	v_mov_b32_e32 v46, 0
	s_add_i32 s6, s66, 1
	s_cmp_eq_u32 s60, 2
	s_mov_b32 s5, 0
	s_cbranch_scc1 .LBB12_8
; %bb.5:
	v_mov_b32_e32 v2, 0
	v_mov_b32_e32 v46, 0
	;; [unrolled: 1-line block ×3, first 2 shown]
	s_and_b32 s5, s6, 28
	s_mov_b32 s7, 0
	s_mov_b64 s[0:1], s[58:59]
	s_mov_b64 s[2:3], s[42:43]
.LBB12_6:                               ; =>This Inner Loop Header: Depth=1
	s_clause 0x1
	s_load_b256 s[8:15], s[2:3], 0x4
	s_load_b128 s[24:27], s[2:3], 0x24
	s_load_b256 s[16:23], s[0:1], 0x0
	s_add_u32 s2, s2, 48
	s_addc_u32 s3, s3, 0
	s_add_i32 s7, s7, 4
	s_add_u32 s0, s0, 32
	s_addc_u32 s1, s1, 0
	s_cmp_lg_u32 s5, s7
	s_waitcnt lgkmcnt(0)
	v_mul_hi_u32 v1, s9, v0
	s_delay_alu instid0(VALU_DEP_1) | instskip(NEXT) | instid1(VALU_DEP_1)
	v_add_nc_u32_e32 v1, v0, v1
	v_lshrrev_b32_e32 v1, s10, v1
	s_delay_alu instid0(VALU_DEP_1) | instskip(SKIP_1) | instid1(VALU_DEP_2)
	v_mul_hi_u32 v3, s12, v1
	v_mul_lo_u32 v5, v1, s8
	v_add_nc_u32_e32 v3, v1, v3
	s_delay_alu instid0(VALU_DEP_2) | instskip(NEXT) | instid1(VALU_DEP_2)
	v_sub_nc_u32_e32 v0, v0, v5
	v_lshrrev_b32_e32 v3, s13, v3
	s_delay_alu instid0(VALU_DEP_2) | instskip(SKIP_1) | instid1(VALU_DEP_3)
	v_mul_lo_u32 v5, v0, s16
	v_mul_lo_u32 v7, v0, s17
	v_mul_hi_u32 v4, s15, v3
	s_delay_alu instid0(VALU_DEP_1) | instskip(NEXT) | instid1(VALU_DEP_1)
	v_add_nc_u32_e32 v4, v3, v4
	v_lshrrev_b32_e32 v4, s24, v4
	s_delay_alu instid0(VALU_DEP_1) | instskip(SKIP_1) | instid1(VALU_DEP_2)
	v_mul_hi_u32 v6, s26, v4
	v_mul_lo_u32 v8, v4, s14
	v_add_nc_u32_e32 v0, v4, v6
	v_mul_lo_u32 v6, v3, s11
	s_delay_alu instid0(VALU_DEP_3) | instskip(NEXT) | instid1(VALU_DEP_3)
	v_sub_nc_u32_e32 v3, v3, v8
	v_lshrrev_b32_e32 v0, s27, v0
	s_delay_alu instid0(VALU_DEP_2) | instskip(SKIP_2) | instid1(VALU_DEP_4)
	v_mul_lo_u32 v8, v3, s20
	v_mul_lo_u32 v3, v3, s21
	v_sub_nc_u32_e32 v1, v1, v6
	v_mul_lo_u32 v9, v0, s25
	s_delay_alu instid0(VALU_DEP_2) | instskip(SKIP_1) | instid1(VALU_DEP_3)
	v_mul_lo_u32 v6, v1, s18
	v_mul_lo_u32 v1, v1, s19
	v_sub_nc_u32_e32 v4, v4, v9
	s_delay_alu instid0(VALU_DEP_3) | instskip(NEXT) | instid1(VALU_DEP_2)
	v_add3_u32 v5, v5, v46, v6
	v_mul_lo_u32 v9, v4, s22
	v_mul_lo_u32 v4, v4, s23
	v_add3_u32 v1, v7, v2, v1
	s_delay_alu instid0(VALU_DEP_3) | instskip(NEXT) | instid1(VALU_DEP_2)
	v_add3_u32 v46, v8, v5, v9
	v_add3_u32 v2, v3, v1, v4
	s_cbranch_scc1 .LBB12_6
	s_branch .LBB12_9
.LBB12_7:
	s_mov_b32 s4, -1
                                        ; implicit-def: $vgpr46
                                        ; implicit-def: $vgpr2
	s_branch .LBB12_12
.LBB12_8:
	v_mov_b32_e32 v0, v41
	v_mov_b32_e32 v2, 0
.LBB12_9:
	s_and_b32 s6, s6, 3
	s_delay_alu instid0(SALU_CYCLE_1)
	s_cmp_eq_u32 s6, 0
	s_cbranch_scc1 .LBB12_12
; %bb.10:
	s_lshl_b32 s0, s5, 3
	s_mul_i32 s2, s5, 12
	s_add_u32 s0, s0, s42
	s_addc_u32 s1, s43, 0
	s_add_u32 s0, s0, 0xc4
	s_addc_u32 s1, s1, 0
	;; [unrolled: 2-line block ×3, first 2 shown]
	.p2align	6
.LBB12_11:                              ; =>This Inner Loop Header: Depth=1
	s_clause 0x1
	s_load_b64 s[8:9], s[2:3], 0x4
	s_load_b32 s5, s[2:3], 0xc
	s_load_b64 s[10:11], s[0:1], 0x0
	s_add_u32 s2, s2, 12
	s_addc_u32 s3, s3, 0
	s_add_u32 s0, s0, 8
	s_addc_u32 s1, s1, 0
	s_add_i32 s6, s6, -1
	s_delay_alu instid0(SALU_CYCLE_1) | instskip(SKIP_2) | instid1(VALU_DEP_1)
	s_cmp_lg_u32 s6, 0
	s_waitcnt lgkmcnt(0)
	v_mul_hi_u32 v1, s9, v0
	v_add_nc_u32_e32 v1, v0, v1
	s_delay_alu instid0(VALU_DEP_1) | instskip(NEXT) | instid1(VALU_DEP_1)
	v_lshrrev_b32_e32 v1, s5, v1
	v_mul_lo_u32 v3, v1, s8
	s_delay_alu instid0(VALU_DEP_1) | instskip(NEXT) | instid1(VALU_DEP_1)
	v_sub_nc_u32_e32 v0, v0, v3
	v_mad_u64_u32 v[3:4], null, v0, s10, v[46:47]
	s_delay_alu instid0(VALU_DEP_1) | instskip(SKIP_2) | instid1(VALU_DEP_2)
	v_mov_b32_e32 v46, v3
	v_mad_u64_u32 v[4:5], null, v0, s11, v[2:3]
	v_mov_b32_e32 v0, v1
	v_mov_b32_e32 v2, v4
	s_cbranch_scc1 .LBB12_11
.LBB12_12:
	s_and_not1_b32 vcc_lo, exec_lo, s4
	s_cbranch_vccnz .LBB12_15
; %bb.13:
	s_waitcnt lgkmcnt(0)
	v_mul_hi_u32 v0, s53, v41
	s_and_not1_b32 vcc_lo, exec_lo, s64
	s_delay_alu instid0(VALU_DEP_1) | instskip(NEXT) | instid1(VALU_DEP_1)
	v_add_nc_u32_e32 v0, v41, v0
	v_lshrrev_b32_e32 v0, s54, v0
	s_delay_alu instid0(VALU_DEP_1) | instskip(NEXT) | instid1(VALU_DEP_1)
	v_mul_lo_u32 v1, v0, s52
	v_sub_nc_u32_e32 v1, v41, v1
	s_delay_alu instid0(VALU_DEP_1)
	v_mul_lo_u32 v46, v1, s48
	v_mul_lo_u32 v2, v1, s49
	s_cbranch_vccnz .LBB12_15
; %bb.14:
	v_mul_hi_u32 v1, s56, v0
	s_delay_alu instid0(VALU_DEP_1) | instskip(NEXT) | instid1(VALU_DEP_1)
	v_add_nc_u32_e32 v1, v0, v1
	v_lshrrev_b32_e32 v1, s57, v1
	s_delay_alu instid0(VALU_DEP_1) | instskip(NEXT) | instid1(VALU_DEP_1)
	v_mul_lo_u32 v1, v1, s55
	v_sub_nc_u32_e32 v5, v0, v1
	s_delay_alu instid0(VALU_DEP_1) | instskip(SKIP_1) | instid1(VALU_DEP_2)
	v_mad_u64_u32 v[0:1], null, v5, s50, v[46:47]
	v_mad_u64_u32 v[3:4], null, v5, s51, v[2:3]
	v_mov_b32_e32 v46, v0
	s_delay_alu instid0(VALU_DEP_2)
	v_mov_b32_e32 v2, v3
.LBB12_15:
	s_waitcnt lgkmcnt(0)
	v_dual_mov_b32 v0, s46 :: v_dual_mov_b32 v1, s47
	v_mov_b32_e32 v3, v40
	s_getpc_b64 s[0:1]
	s_add_u32 s0, s0, _ZN2at6native6invokeIZZZNS0_12_GLOBAL__N_121bessel_y1_kernel_cudaERNS_18TensorIteratorBaseEENKUlvE_clEvENKUlvE_clEvEUldE_j15function_traitsIS7_EEENT1_11result_typeERKT_PrKPcPKT0_PKN3c1010ScalarTypeEi@rel32@lo+4
	s_addc_u32 s1, s1, _ZN2at6native6invokeIZZZNS0_12_GLOBAL__N_121bessel_y1_kernel_cudaERNS_18TensorIteratorBaseEENKUlvE_clEvENKUlvE_clEvEUldE_j15function_traitsIS7_EEENT1_11result_typeERKT_PrKPcPKT0_PKN3c1010ScalarTypeEi@rel32@hi+12
	s_delay_alu instid0(SALU_CYCLE_1) | instskip(SKIP_2) | instid1(VALU_DEP_1)
	s_swappc_b64 s[30:31], s[0:1]
	v_and_b32_e32 v6, 0xff, v42
	v_add_co_u32 v4, s1, s44, v46
	v_add_co_ci_u32_e64 v5, null, s45, 0, s1
	s_delay_alu instid0(VALU_DEP_3)
	v_cmp_gt_i16_e32 vcc_lo, 11, v6
	s_mov_b32 s0, 0
	s_mov_b32 s2, -1
	s_mov_b32 s1, 0
	s_cbranch_vccnz .LBB12_93
; %bb.16:
	v_cmp_lt_i16_e32 vcc_lo, 25, v6
	s_cbranch_vccz .LBB12_49
; %bb.17:
	v_cmp_lt_i16_e32 vcc_lo, 28, v6
	s_cbranch_vccz .LBB12_32
	;; [unrolled: 3-line block ×4, first 2 shown]
; %bb.20:
	v_cmp_eq_u16_e32 vcc_lo, 46, v6
	s_mov_b32 s2, 0
	s_mov_b32 s0, -1
	s_cbranch_vccz .LBB12_22
; %bb.21:
	v_cvt_f32_f64_e32 v2, v[0:1]
	s_mov_b32 s1, -1
	s_mov_b32 s0, 0
	s_delay_alu instid0(VALU_DEP_1) | instskip(SKIP_1) | instid1(VALU_DEP_2)
	v_bfe_u32 v3, v2, 16, 1
	v_cmp_o_f32_e32 vcc_lo, v2, v2
	v_add3_u32 v3, v2, v3, 0x7fff
	s_delay_alu instid0(VALU_DEP_1) | instskip(NEXT) | instid1(VALU_DEP_1)
	v_lshrrev_b32_e32 v3, 16, v3
	v_cndmask_b32_e32 v2, 0x7fc0, v3, vcc_lo
	global_store_b32 v[4:5], v2, off
.LBB12_22:
	s_and_b32 vcc_lo, exec_lo, s2
	s_cbranch_vccz .LBB12_27
; %bb.23:
	v_cmp_eq_u16_e32 vcc_lo, 44, v6
	s_mov_b32 s0, -1
	s_cbranch_vccz .LBB12_27
; %bb.24:
	v_cvt_f32_f64_e32 v2, v[0:1]
	v_mov_b32_e32 v3, 0xff
	s_mov_b32 s1, exec_lo
	s_delay_alu instid0(VALU_DEP_2) | instskip(NEXT) | instid1(VALU_DEP_1)
	v_bfe_u32 v7, v2, 23, 8
	v_cmpx_ne_u32_e32 0xff, v7
; %bb.25:
	v_and_b32_e32 v3, 0x400000, v2
	v_and_or_b32 v7, 0x3fffff, v2, v7
	v_lshrrev_b32_e32 v2, 23, v2
	s_delay_alu instid0(VALU_DEP_3) | instskip(NEXT) | instid1(VALU_DEP_3)
	v_cmp_ne_u32_e32 vcc_lo, 0, v3
	v_cmp_ne_u32_e64 s0, 0, v7
	s_delay_alu instid0(VALU_DEP_1) | instskip(NEXT) | instid1(SALU_CYCLE_1)
	s_and_b32 s0, vcc_lo, s0
	v_cndmask_b32_e64 v3, 0, 1, s0
	s_delay_alu instid0(VALU_DEP_1)
	v_add_nc_u32_e32 v3, v2, v3
; %bb.26:
	s_or_b32 exec_lo, exec_lo, s1
	s_mov_b32 s1, -1
	s_mov_b32 s0, 0
	global_store_b8 v[4:5], v3, off
.LBB12_27:
	s_mov_b32 s2, 0
.LBB12_28:
	s_delay_alu instid0(SALU_CYCLE_1)
	s_and_b32 vcc_lo, exec_lo, s2
	s_cbranch_vccz .LBB12_31
; %bb.29:
	v_cmp_eq_u16_e32 vcc_lo, 29, v6
	s_mov_b32 s0, -1
	s_cbranch_vccz .LBB12_31
; %bb.30:
	v_trunc_f64_e32 v[2:3], v[0:1]
	s_mov_b32 s1, -1
	s_mov_b32 s0, 0
	s_delay_alu instid0(VALU_DEP_1) | instskip(NEXT) | instid1(VALU_DEP_1)
	v_ldexp_f64 v[7:8], v[2:3], 0xffffffe0
	v_floor_f64_e32 v[7:8], v[7:8]
	s_delay_alu instid0(VALU_DEP_1) | instskip(SKIP_1) | instid1(VALU_DEP_2)
	v_fma_f64 v[2:3], 0xc1f00000, v[7:8], v[2:3]
	v_cvt_u32_f64_e32 v8, v[7:8]
	v_cvt_u32_f64_e32 v7, v[2:3]
	global_store_b64 v[4:5], v[7:8], off
.LBB12_31:
	s_mov_b32 s2, 0
.LBB12_32:
	s_delay_alu instid0(SALU_CYCLE_1)
	s_and_b32 vcc_lo, exec_lo, s2
	s_cbranch_vccz .LBB12_48
; %bb.33:
	v_cmp_gt_i16_e32 vcc_lo, 27, v6
	s_mov_b32 s1, -1
	s_cbranch_vccnz .LBB12_39
; %bb.34:
	v_cvt_u32_f64_e32 v2, v[0:1]
	v_cmp_lt_i16_e32 vcc_lo, 27, v6
	s_cbranch_vccz .LBB12_36
; %bb.35:
	s_mov_b32 s1, 0
	global_store_b32 v[4:5], v2, off
.LBB12_36:
	s_and_not1_b32 vcc_lo, exec_lo, s1
	s_cbranch_vccnz .LBB12_38
; %bb.37:
	global_store_b16 v[4:5], v2, off
.LBB12_38:
	s_mov_b32 s1, 0
.LBB12_39:
	s_delay_alu instid0(SALU_CYCLE_1)
	s_and_not1_b32 vcc_lo, exec_lo, s1
	s_cbranch_vccnz .LBB12_47
; %bb.40:
	v_cvt_f32_f64_e32 v2, v[0:1]
	v_mov_b32_e32 v7, 0x80
	s_mov_b32 s1, exec_lo
	s_delay_alu instid0(VALU_DEP_2) | instskip(NEXT) | instid1(VALU_DEP_1)
	v_and_b32_e32 v3, 0x7fffffff, v2
	v_cmpx_gt_u32_e32 0x43800000, v3
	s_cbranch_execz .LBB12_46
; %bb.41:
	v_cmp_lt_u32_e32 vcc_lo, 0x3bffffff, v3
	s_mov_b32 s2, 0
                                        ; implicit-def: $vgpr3
	s_and_saveexec_b32 s3, vcc_lo
	s_delay_alu instid0(SALU_CYCLE_1)
	s_xor_b32 s3, exec_lo, s3
	s_cbranch_execz .LBB12_772
; %bb.42:
	v_bfe_u32 v3, v2, 20, 1
	s_mov_b32 s2, exec_lo
	s_delay_alu instid0(VALU_DEP_1) | instskip(NEXT) | instid1(VALU_DEP_1)
	v_add3_u32 v3, v2, v3, 0x487ffff
	v_lshrrev_b32_e32 v3, 20, v3
	s_or_saveexec_b32 s3, s3
                                        ; implicit-def: $sgpr4
	s_delay_alu instid0(SALU_CYCLE_1)
	s_xor_b32 exec_lo, exec_lo, s3
	s_cbranch_execnz .LBB12_773
.LBB12_43:
	s_or_b32 exec_lo, exec_lo, s3
	v_mov_b32_e32 v7, s4
	s_and_saveexec_b32 s3, s2
.LBB12_44:
	v_lshrrev_b32_e32 v2, 24, v2
	s_delay_alu instid0(VALU_DEP_1)
	v_and_or_b32 v7, 0x80, v2, v3
.LBB12_45:
	s_or_b32 exec_lo, exec_lo, s3
.LBB12_46:
	s_delay_alu instid0(SALU_CYCLE_1)
	s_or_b32 exec_lo, exec_lo, s1
	global_store_b8 v[4:5], v7, off
.LBB12_47:
	s_mov_b32 s1, -1
.LBB12_48:
	s_mov_b32 s2, 0
.LBB12_49:
	s_delay_alu instid0(SALU_CYCLE_1)
	s_and_b32 vcc_lo, exec_lo, s2
	s_cbranch_vccz .LBB12_90
; %bb.50:
	v_cmp_lt_i16_e32 vcc_lo, 22, v6
	s_mov_b32 s2, -1
	s_cbranch_vccz .LBB12_82
; %bb.51:
	v_cmp_gt_i16_e32 vcc_lo, 24, v6
	s_mov_b32 s1, -1
	s_cbranch_vccnz .LBB12_71
; %bb.52:
	v_cmp_lt_i16_e32 vcc_lo, 24, v6
	s_cbranch_vccz .LBB12_60
; %bb.53:
	v_cvt_f32_f64_e32 v2, v[0:1]
	v_mov_b32_e32 v7, 0x80
	s_mov_b32 s1, exec_lo
	s_delay_alu instid0(VALU_DEP_2) | instskip(NEXT) | instid1(VALU_DEP_1)
	v_and_b32_e32 v3, 0x7fffffff, v2
	v_cmpx_gt_u32_e32 0x47800000, v3
	s_cbranch_execz .LBB12_59
; %bb.54:
	v_cmp_lt_u32_e32 vcc_lo, 0x37ffffff, v3
	s_mov_b32 s2, 0
                                        ; implicit-def: $vgpr3
	s_and_saveexec_b32 s3, vcc_lo
	s_delay_alu instid0(SALU_CYCLE_1)
	s_xor_b32 s3, exec_lo, s3
	s_cbranch_execz .LBB12_783
; %bb.55:
	v_bfe_u32 v3, v2, 21, 1
	s_mov_b32 s2, exec_lo
	s_delay_alu instid0(VALU_DEP_1) | instskip(NEXT) | instid1(VALU_DEP_1)
	v_add3_u32 v3, v2, v3, 0x88fffff
	v_lshrrev_b32_e32 v3, 21, v3
	s_or_saveexec_b32 s3, s3
                                        ; implicit-def: $sgpr4
	s_delay_alu instid0(SALU_CYCLE_1)
	s_xor_b32 exec_lo, exec_lo, s3
	s_cbranch_execnz .LBB12_784
.LBB12_56:
	s_or_b32 exec_lo, exec_lo, s3
	v_mov_b32_e32 v7, s4
	s_and_saveexec_b32 s3, s2
.LBB12_57:
	v_lshrrev_b32_e32 v2, 24, v2
	s_delay_alu instid0(VALU_DEP_1)
	v_and_or_b32 v7, 0x80, v2, v3
.LBB12_58:
	s_or_b32 exec_lo, exec_lo, s3
.LBB12_59:
	s_delay_alu instid0(SALU_CYCLE_1)
	s_or_b32 exec_lo, exec_lo, s1
	s_mov_b32 s1, 0
	global_store_b8 v[4:5], v7, off
.LBB12_60:
	s_and_b32 vcc_lo, exec_lo, s1
	s_cbranch_vccz .LBB12_70
; %bb.61:
	v_cvt_f32_f64_e32 v2, v[0:1]
	s_mov_b32 s1, exec_lo
                                        ; implicit-def: $vgpr3
	s_delay_alu instid0(VALU_DEP_1) | instskip(NEXT) | instid1(VALU_DEP_1)
	v_and_b32_e32 v7, 0x7fffffff, v2
	v_cmpx_gt_u32_e32 0x43f00000, v7
	s_xor_b32 s1, exec_lo, s1
	s_cbranch_execz .LBB12_67
; %bb.62:
	s_mov_b32 s2, exec_lo
                                        ; implicit-def: $vgpr3
	v_cmpx_lt_u32_e32 0x3c7fffff, v7
	s_xor_b32 s2, exec_lo, s2
; %bb.63:
	v_bfe_u32 v3, v2, 20, 1
	s_delay_alu instid0(VALU_DEP_1) | instskip(NEXT) | instid1(VALU_DEP_1)
	v_add3_u32 v3, v2, v3, 0x407ffff
	v_and_b32_e32 v7, 0xff00000, v3
	v_lshrrev_b32_e32 v3, 20, v3
	s_delay_alu instid0(VALU_DEP_2) | instskip(NEXT) | instid1(VALU_DEP_2)
	v_cmp_ne_u32_e32 vcc_lo, 0x7f00000, v7
	v_cndmask_b32_e32 v3, 0x7e, v3, vcc_lo
; %bb.64:
	s_and_not1_saveexec_b32 s2, s2
; %bb.65:
	v_add_f32_e64 v3, 0x46800000, |v2|
; %bb.66:
	s_or_b32 exec_lo, exec_lo, s2
                                        ; implicit-def: $vgpr7
.LBB12_67:
	s_and_not1_saveexec_b32 s1, s1
; %bb.68:
	v_mov_b32_e32 v3, 0x7f
	v_cmp_lt_u32_e32 vcc_lo, 0x7f800000, v7
	s_delay_alu instid0(VALU_DEP_2)
	v_cndmask_b32_e32 v3, 0x7e, v3, vcc_lo
; %bb.69:
	s_or_b32 exec_lo, exec_lo, s1
	v_lshrrev_b32_e32 v2, 24, v2
	s_delay_alu instid0(VALU_DEP_1)
	v_and_or_b32 v2, 0x80, v2, v3
	global_store_b8 v[4:5], v2, off
.LBB12_70:
	s_mov_b32 s1, 0
.LBB12_71:
	s_delay_alu instid0(SALU_CYCLE_1)
	s_and_not1_b32 vcc_lo, exec_lo, s1
	s_cbranch_vccnz .LBB12_81
; %bb.72:
	v_cvt_f32_f64_e32 v2, v[0:1]
	s_mov_b32 s1, exec_lo
                                        ; implicit-def: $vgpr3
	s_delay_alu instid0(VALU_DEP_1) | instskip(NEXT) | instid1(VALU_DEP_1)
	v_and_b32_e32 v7, 0x7fffffff, v2
	v_cmpx_gt_u32_e32 0x47800000, v7
	s_xor_b32 s1, exec_lo, s1
	s_cbranch_execz .LBB12_78
; %bb.73:
	s_mov_b32 s2, exec_lo
                                        ; implicit-def: $vgpr3
	v_cmpx_lt_u32_e32 0x387fffff, v7
	s_xor_b32 s2, exec_lo, s2
; %bb.74:
	v_bfe_u32 v3, v2, 21, 1
	s_delay_alu instid0(VALU_DEP_1) | instskip(NEXT) | instid1(VALU_DEP_1)
	v_add3_u32 v3, v2, v3, 0x80fffff
	v_lshrrev_b32_e32 v3, 21, v3
; %bb.75:
	s_and_not1_saveexec_b32 s2, s2
; %bb.76:
	v_add_f32_e64 v3, 0x43000000, |v2|
; %bb.77:
	s_or_b32 exec_lo, exec_lo, s2
                                        ; implicit-def: $vgpr7
.LBB12_78:
	s_and_not1_saveexec_b32 s1, s1
; %bb.79:
	v_mov_b32_e32 v3, 0x7f
	v_cmp_lt_u32_e32 vcc_lo, 0x7f800000, v7
	s_delay_alu instid0(VALU_DEP_2)
	v_cndmask_b32_e32 v3, 0x7c, v3, vcc_lo
; %bb.80:
	s_or_b32 exec_lo, exec_lo, s1
	v_lshrrev_b32_e32 v2, 24, v2
	s_delay_alu instid0(VALU_DEP_1)
	v_and_or_b32 v2, 0x80, v2, v3
	global_store_b8 v[4:5], v2, off
.LBB12_81:
	s_mov_b32 s2, 0
	s_mov_b32 s1, -1
.LBB12_82:
	s_and_not1_b32 vcc_lo, exec_lo, s2
	s_cbranch_vccnz .LBB12_90
; %bb.83:
	v_cmp_lt_i16_e32 vcc_lo, 14, v6
	s_mov_b32 s2, -1
	s_cbranch_vccz .LBB12_87
; %bb.84:
	v_cmp_eq_u16_e32 vcc_lo, 15, v6
	s_mov_b32 s0, -1
	s_cbranch_vccz .LBB12_86
; %bb.85:
	v_cvt_f32_f64_e32 v2, v[0:1]
	s_mov_b32 s1, -1
	s_mov_b32 s0, 0
	s_delay_alu instid0(VALU_DEP_1) | instskip(SKIP_1) | instid1(VALU_DEP_2)
	v_bfe_u32 v3, v2, 16, 1
	v_cmp_o_f32_e32 vcc_lo, v2, v2
	v_add3_u32 v3, v2, v3, 0x7fff
	s_delay_alu instid0(VALU_DEP_1) | instskip(NEXT) | instid1(VALU_DEP_1)
	v_lshrrev_b32_e32 v3, 16, v3
	v_cndmask_b32_e32 v2, 0x7fc0, v3, vcc_lo
	global_store_b16 v[4:5], v2, off
.LBB12_86:
	s_mov_b32 s2, 0
.LBB12_87:
	s_delay_alu instid0(SALU_CYCLE_1)
	s_and_b32 vcc_lo, exec_lo, s2
	s_cbranch_vccz .LBB12_90
; %bb.88:
	v_cmp_eq_u16_e32 vcc_lo, 11, v6
	s_mov_b32 s0, -1
	s_cbranch_vccz .LBB12_90
; %bb.89:
	v_cmp_neq_f64_e32 vcc_lo, 0, v[0:1]
	s_mov_b32 s1, -1
	s_mov_b32 s0, 0
	v_cndmask_b32_e64 v2, 0, 1, vcc_lo
	global_store_b8 v[4:5], v2, off
.LBB12_90:
.LBB12_91:
	s_and_not1_b32 vcc_lo, exec_lo, s1
	s_cbranch_vccnz .LBB12_132
.LBB12_92:
	v_add_nc_u32_e32 v41, 0x80, v41
	s_mov_b32 s1, -1
	s_branch .LBB12_133
.LBB12_93:
	s_and_b32 vcc_lo, exec_lo, s2
	s_cbranch_vccz .LBB12_91
; %bb.94:
	v_cmp_gt_i16_e32 vcc_lo, 5, v6
	s_mov_b32 s1, -1
	s_cbranch_vccnz .LBB12_115
; %bb.95:
	v_cmp_gt_i16_e32 vcc_lo, 8, v6
	s_cbranch_vccnz .LBB12_105
; %bb.96:
	v_cmp_gt_i16_e32 vcc_lo, 9, v6
	s_cbranch_vccnz .LBB12_102
; %bb.97:
	v_cmp_lt_i16_e32 vcc_lo, 9, v6
	s_cbranch_vccz .LBB12_99
; %bb.98:
	v_mov_b32_e32 v2, 0
	s_mov_b32 s1, 0
	s_delay_alu instid0(VALU_DEP_1)
	v_mov_b32_e32 v3, v2
	global_store_b128 v[4:5], v[0:3], off
.LBB12_99:
	s_and_not1_b32 vcc_lo, exec_lo, s1
	s_cbranch_vccnz .LBB12_101
; %bb.100:
	v_cvt_f32_f64_e32 v2, v[0:1]
	v_mov_b32_e32 v3, 0
	global_store_b64 v[4:5], v[2:3], off
.LBB12_101:
	s_mov_b32 s1, 0
.LBB12_102:
	s_delay_alu instid0(SALU_CYCLE_1)
	s_and_not1_b32 vcc_lo, exec_lo, s1
	s_cbranch_vccnz .LBB12_104
; %bb.103:
	v_cvt_f32_f64_e32 v2, v[0:1]
	s_delay_alu instid0(VALU_DEP_1) | instskip(NEXT) | instid1(VALU_DEP_1)
	v_cvt_f16_f32_e32 v2, v2
	v_and_b32_e32 v2, 0xffff, v2
	global_store_b32 v[4:5], v2, off
.LBB12_104:
	s_mov_b32 s1, 0
.LBB12_105:
	s_delay_alu instid0(SALU_CYCLE_1)
	s_and_not1_b32 vcc_lo, exec_lo, s1
	s_cbranch_vccnz .LBB12_114
; %bb.106:
	v_cmp_gt_i16_e32 vcc_lo, 6, v6
	s_mov_b32 s1, -1
	s_cbranch_vccnz .LBB12_112
; %bb.107:
	v_cmp_lt_i16_e32 vcc_lo, 6, v6
	s_cbranch_vccz .LBB12_109
; %bb.108:
	s_mov_b32 s1, 0
	global_store_b64 v[4:5], v[0:1], off
.LBB12_109:
	s_and_not1_b32 vcc_lo, exec_lo, s1
	s_cbranch_vccnz .LBB12_111
; %bb.110:
	v_cvt_f32_f64_e32 v2, v[0:1]
	global_store_b32 v[4:5], v2, off
.LBB12_111:
	s_mov_b32 s1, 0
.LBB12_112:
	s_delay_alu instid0(SALU_CYCLE_1)
	s_and_not1_b32 vcc_lo, exec_lo, s1
	s_cbranch_vccnz .LBB12_114
; %bb.113:
	v_cvt_f32_f64_e32 v2, v[0:1]
	s_delay_alu instid0(VALU_DEP_1)
	v_cvt_f16_f32_e32 v2, v2
	global_store_b16 v[4:5], v2, off
.LBB12_114:
	s_mov_b32 s1, 0
.LBB12_115:
	s_delay_alu instid0(SALU_CYCLE_1)
	s_and_not1_b32 vcc_lo, exec_lo, s1
	s_cbranch_vccnz .LBB12_131
; %bb.116:
	v_cmp_gt_i16_e32 vcc_lo, 2, v6
	s_mov_b32 s1, -1
	s_cbranch_vccnz .LBB12_126
; %bb.117:
	v_cmp_gt_i16_e32 vcc_lo, 3, v6
	s_cbranch_vccnz .LBB12_123
; %bb.118:
	v_cmp_lt_i16_e32 vcc_lo, 3, v6
	s_cbranch_vccz .LBB12_120
; %bb.119:
	v_trunc_f64_e32 v[2:3], v[0:1]
	s_mov_b32 s1, 0
	s_delay_alu instid0(VALU_DEP_1) | instskip(NEXT) | instid1(VALU_DEP_1)
	v_ldexp_f64 v[7:8], v[2:3], 0xffffffe0
	v_floor_f64_e32 v[7:8], v[7:8]
	s_delay_alu instid0(VALU_DEP_1) | instskip(SKIP_1) | instid1(VALU_DEP_2)
	v_fma_f64 v[2:3], 0xc1f00000, v[7:8], v[2:3]
	v_cvt_i32_f64_e32 v8, v[7:8]
	v_cvt_u32_f64_e32 v7, v[2:3]
	global_store_b64 v[4:5], v[7:8], off
.LBB12_120:
	s_and_not1_b32 vcc_lo, exec_lo, s1
	s_cbranch_vccnz .LBB12_122
; %bb.121:
	v_cvt_i32_f64_e32 v2, v[0:1]
	global_store_b32 v[4:5], v2, off
.LBB12_122:
	s_mov_b32 s1, 0
.LBB12_123:
	s_delay_alu instid0(SALU_CYCLE_1)
	s_and_not1_b32 vcc_lo, exec_lo, s1
	s_cbranch_vccnz .LBB12_125
; %bb.124:
	v_cvt_i32_f64_e32 v2, v[0:1]
	global_store_b16 v[4:5], v2, off
.LBB12_125:
	s_mov_b32 s1, 0
.LBB12_126:
	s_delay_alu instid0(SALU_CYCLE_1)
	s_and_not1_b32 vcc_lo, exec_lo, s1
	s_cbranch_vccnz .LBB12_131
; %bb.127:
	v_cmp_lt_i16_e32 vcc_lo, 0, v6
	s_mov_b32 s1, -1
	s_cbranch_vccz .LBB12_129
; %bb.128:
	v_cvt_i32_f64_e32 v2, v[0:1]
	s_mov_b32 s1, 0
	global_store_b8 v[4:5], v2, off
.LBB12_129:
	s_and_not1_b32 vcc_lo, exec_lo, s1
	s_cbranch_vccnz .LBB12_131
; %bb.130:
	v_trunc_f64_e32 v[0:1], v[0:1]
	s_delay_alu instid0(VALU_DEP_1) | instskip(NEXT) | instid1(VALU_DEP_1)
	v_ldexp_f64 v[2:3], v[0:1], 0xffffffe0
	v_floor_f64_e32 v[2:3], v[2:3]
	s_delay_alu instid0(VALU_DEP_1) | instskip(NEXT) | instid1(VALU_DEP_1)
	v_fma_f64 v[0:1], 0xc1f00000, v[2:3], v[0:1]
	v_cvt_u32_f64_e32 v0, v[0:1]
	global_store_b8 v[4:5], v0, off
.LBB12_131:
	s_branch .LBB12_92
.LBB12_132:
	s_mov_b32 s1, 0
                                        ; implicit-def: $vgpr41
.LBB12_133:
	s_and_b32 s68, s0, exec_lo
	s_or_not1_b32 s0, s1, exec_lo
.LBB12_134:
	s_or_b32 exec_lo, exec_lo, s69
	s_mov_b32 s1, 0
                                        ; implicit-def: $vgpr6
                                        ; implicit-def: $vgpr4_vgpr5
                                        ; implicit-def: $vgpr0_vgpr1
	s_and_saveexec_b32 s69, s0
	s_cbranch_execz .LBB12_141
; %bb.135:
	s_mov_b32 s2, -1
	s_mov_b32 s70, s68
	s_mov_b32 s71, exec_lo
	v_cmpx_gt_i32_e64 s65, v41
	s_cbranch_execz .LBB12_858
; %bb.136:
	s_and_not1_b32 vcc_lo, exec_lo, s62
	s_cbranch_vccnz .LBB12_711
; %bb.137:
	v_mov_b32_e32 v46, 0
	v_mov_b32_e32 v2, 0
	s_and_not1_b32 vcc_lo, exec_lo, s67
	s_mov_b32 s4, 0
	s_cbranch_vccnz .LBB12_716
; %bb.138:
	v_mov_b32_e32 v46, 0
	s_add_i32 s6, s66, 1
	s_cmp_eq_u32 s60, 2
	s_mov_b32 s5, 0
	s_cbranch_scc1 .LBB12_712
; %bb.139:
	v_mov_b32_e32 v2, 0
	v_mov_b32_e32 v46, 0
	;; [unrolled: 1-line block ×3, first 2 shown]
	s_and_b32 s5, s6, 28
	s_mov_b32 s7, 0
	s_mov_b64 s[0:1], s[58:59]
	s_mov_b64 s[2:3], s[42:43]
.LBB12_140:                             ; =>This Inner Loop Header: Depth=1
	s_clause 0x1
	s_load_b256 s[8:15], s[2:3], 0x4
	s_load_b128 s[24:27], s[2:3], 0x24
	s_load_b256 s[16:23], s[0:1], 0x0
	s_add_u32 s2, s2, 48
	s_addc_u32 s3, s3, 0
	s_add_i32 s7, s7, 4
	s_add_u32 s0, s0, 32
	s_addc_u32 s1, s1, 0
	s_cmp_eq_u32 s5, s7
	s_waitcnt lgkmcnt(0)
	v_mul_hi_u32 v1, s9, v0
	s_delay_alu instid0(VALU_DEP_1) | instskip(NEXT) | instid1(VALU_DEP_1)
	v_add_nc_u32_e32 v1, v0, v1
	v_lshrrev_b32_e32 v1, s10, v1
	s_delay_alu instid0(VALU_DEP_1) | instskip(SKIP_1) | instid1(VALU_DEP_2)
	v_mul_hi_u32 v3, s12, v1
	v_mul_lo_u32 v5, v1, s8
	v_add_nc_u32_e32 v3, v1, v3
	s_delay_alu instid0(VALU_DEP_2) | instskip(NEXT) | instid1(VALU_DEP_2)
	v_sub_nc_u32_e32 v0, v0, v5
	v_lshrrev_b32_e32 v3, s13, v3
	s_delay_alu instid0(VALU_DEP_2) | instskip(SKIP_1) | instid1(VALU_DEP_3)
	v_mul_lo_u32 v5, v0, s16
	v_mul_lo_u32 v7, v0, s17
	v_mul_hi_u32 v4, s15, v3
	s_delay_alu instid0(VALU_DEP_1) | instskip(NEXT) | instid1(VALU_DEP_1)
	v_add_nc_u32_e32 v4, v3, v4
	v_lshrrev_b32_e32 v4, s24, v4
	s_delay_alu instid0(VALU_DEP_1) | instskip(SKIP_1) | instid1(VALU_DEP_2)
	v_mul_hi_u32 v6, s26, v4
	v_mul_lo_u32 v8, v4, s14
	v_add_nc_u32_e32 v0, v4, v6
	v_mul_lo_u32 v6, v3, s11
	s_delay_alu instid0(VALU_DEP_3) | instskip(NEXT) | instid1(VALU_DEP_3)
	v_sub_nc_u32_e32 v3, v3, v8
	v_lshrrev_b32_e32 v0, s27, v0
	s_delay_alu instid0(VALU_DEP_2) | instskip(SKIP_2) | instid1(VALU_DEP_4)
	v_mul_lo_u32 v8, v3, s20
	v_mul_lo_u32 v3, v3, s21
	v_sub_nc_u32_e32 v1, v1, v6
	v_mul_lo_u32 v9, v0, s25
	s_delay_alu instid0(VALU_DEP_2) | instskip(SKIP_1) | instid1(VALU_DEP_3)
	v_mul_lo_u32 v6, v1, s18
	v_mul_lo_u32 v1, v1, s19
	v_sub_nc_u32_e32 v4, v4, v9
	s_delay_alu instid0(VALU_DEP_3) | instskip(NEXT) | instid1(VALU_DEP_2)
	v_add3_u32 v5, v5, v46, v6
	v_mul_lo_u32 v9, v4, s22
	v_mul_lo_u32 v4, v4, s23
	v_add3_u32 v1, v7, v2, v1
	s_delay_alu instid0(VALU_DEP_3) | instskip(NEXT) | instid1(VALU_DEP_2)
	v_add3_u32 v46, v8, v5, v9
	v_add3_u32 v2, v3, v1, v4
	s_cbranch_scc0 .LBB12_140
	s_branch .LBB12_713
.LBB12_141:
	s_or_b32 exec_lo, exec_lo, s69
	s_mov_b32 s0, 0
	s_and_saveexec_b32 s2, s68
	s_cbranch_execnz .LBB12_1102
.LBB12_142:
	s_or_b32 exec_lo, exec_lo, s2
	s_and_saveexec_b32 s2, s70
	s_delay_alu instid0(SALU_CYCLE_1)
	s_xor_b32 s2, exec_lo, s2
	s_cbranch_execz .LBB12_144
.LBB12_143:
	v_cmp_neq_f64_e32 vcc_lo, 0, v[0:1]
	v_cndmask_b32_e64 v2, 0, 1, vcc_lo
	global_store_b8 v[4:5], v2, off
.LBB12_144:
	s_or_b32 exec_lo, exec_lo, s2
	s_and_saveexec_b32 s2, s1
	s_delay_alu instid0(SALU_CYCLE_1)
	s_xor_b32 s1, exec_lo, s2
	s_cbranch_execz .LBB12_182
; %bb.145:
	v_cmp_gt_i16_e32 vcc_lo, 5, v6
	s_mov_b32 s2, -1
	s_cbranch_vccnz .LBB12_166
; %bb.146:
	v_cmp_gt_i16_e32 vcc_lo, 8, v6
	s_cbranch_vccnz .LBB12_156
; %bb.147:
	v_cmp_gt_i16_e32 vcc_lo, 9, v6
	s_cbranch_vccnz .LBB12_153
; %bb.148:
	v_cmp_lt_i16_e32 vcc_lo, 9, v6
	s_cbranch_vccz .LBB12_150
; %bb.149:
	v_mov_b32_e32 v2, 0
	s_mov_b32 s2, 0
	s_delay_alu instid0(VALU_DEP_1)
	v_mov_b32_e32 v3, v2
	global_store_b128 v[4:5], v[0:3], off
.LBB12_150:
	s_and_not1_b32 vcc_lo, exec_lo, s2
	s_cbranch_vccnz .LBB12_152
; %bb.151:
	v_cvt_f32_f64_e32 v2, v[0:1]
	v_mov_b32_e32 v3, 0
	global_store_b64 v[4:5], v[2:3], off
.LBB12_152:
	s_mov_b32 s2, 0
.LBB12_153:
	s_delay_alu instid0(SALU_CYCLE_1)
	s_and_not1_b32 vcc_lo, exec_lo, s2
	s_cbranch_vccnz .LBB12_155
; %bb.154:
	v_cvt_f32_f64_e32 v2, v[0:1]
	s_delay_alu instid0(VALU_DEP_1) | instskip(NEXT) | instid1(VALU_DEP_1)
	v_cvt_f16_f32_e32 v2, v2
	v_and_b32_e32 v2, 0xffff, v2
	global_store_b32 v[4:5], v2, off
.LBB12_155:
	s_mov_b32 s2, 0
.LBB12_156:
	s_delay_alu instid0(SALU_CYCLE_1)
	s_and_not1_b32 vcc_lo, exec_lo, s2
	s_cbranch_vccnz .LBB12_165
; %bb.157:
	v_cmp_gt_i16_e32 vcc_lo, 6, v6
	s_mov_b32 s2, -1
	s_cbranch_vccnz .LBB12_163
; %bb.158:
	v_cmp_lt_i16_e32 vcc_lo, 6, v6
	s_cbranch_vccz .LBB12_160
; %bb.159:
	s_mov_b32 s2, 0
	global_store_b64 v[4:5], v[0:1], off
.LBB12_160:
	s_and_not1_b32 vcc_lo, exec_lo, s2
	s_cbranch_vccnz .LBB12_162
; %bb.161:
	v_cvt_f32_f64_e32 v2, v[0:1]
	global_store_b32 v[4:5], v2, off
.LBB12_162:
	s_mov_b32 s2, 0
.LBB12_163:
	s_delay_alu instid0(SALU_CYCLE_1)
	s_and_not1_b32 vcc_lo, exec_lo, s2
	s_cbranch_vccnz .LBB12_165
; %bb.164:
	v_cvt_f32_f64_e32 v2, v[0:1]
	s_delay_alu instid0(VALU_DEP_1)
	v_cvt_f16_f32_e32 v2, v2
	global_store_b16 v[4:5], v2, off
.LBB12_165:
	s_mov_b32 s2, 0
.LBB12_166:
	s_delay_alu instid0(SALU_CYCLE_1)
	s_and_not1_b32 vcc_lo, exec_lo, s2
	s_cbranch_vccnz .LBB12_182
; %bb.167:
	v_cmp_gt_i16_e32 vcc_lo, 2, v6
	s_mov_b32 s2, -1
	s_cbranch_vccnz .LBB12_177
; %bb.168:
	v_cmp_gt_i16_e32 vcc_lo, 3, v6
	s_cbranch_vccnz .LBB12_174
; %bb.169:
	v_cmp_lt_i16_e32 vcc_lo, 3, v6
	s_cbranch_vccz .LBB12_171
; %bb.170:
	v_trunc_f64_e32 v[2:3], v[0:1]
	s_mov_b32 s2, 0
	s_delay_alu instid0(VALU_DEP_1) | instskip(NEXT) | instid1(VALU_DEP_1)
	v_ldexp_f64 v[7:8], v[2:3], 0xffffffe0
	v_floor_f64_e32 v[7:8], v[7:8]
	s_delay_alu instid0(VALU_DEP_1) | instskip(SKIP_1) | instid1(VALU_DEP_2)
	v_fma_f64 v[2:3], 0xc1f00000, v[7:8], v[2:3]
	v_cvt_i32_f64_e32 v8, v[7:8]
	v_cvt_u32_f64_e32 v7, v[2:3]
	global_store_b64 v[4:5], v[7:8], off
.LBB12_171:
	s_and_not1_b32 vcc_lo, exec_lo, s2
	s_cbranch_vccnz .LBB12_173
; %bb.172:
	v_cvt_i32_f64_e32 v2, v[0:1]
	global_store_b32 v[4:5], v2, off
.LBB12_173:
	s_mov_b32 s2, 0
.LBB12_174:
	s_delay_alu instid0(SALU_CYCLE_1)
	s_and_not1_b32 vcc_lo, exec_lo, s2
	s_cbranch_vccnz .LBB12_176
; %bb.175:
	v_cvt_i32_f64_e32 v2, v[0:1]
	global_store_b16 v[4:5], v2, off
.LBB12_176:
	s_mov_b32 s2, 0
.LBB12_177:
	s_delay_alu instid0(SALU_CYCLE_1)
	s_and_not1_b32 vcc_lo, exec_lo, s2
	s_cbranch_vccnz .LBB12_182
; %bb.178:
	v_cmp_lt_i16_e32 vcc_lo, 0, v6
	s_mov_b32 s2, -1
	s_cbranch_vccz .LBB12_180
; %bb.179:
	v_cvt_i32_f64_e32 v2, v[0:1]
	s_mov_b32 s2, 0
	global_store_b8 v[4:5], v2, off
.LBB12_180:
	s_and_not1_b32 vcc_lo, exec_lo, s2
	s_cbranch_vccnz .LBB12_182
; %bb.181:
	v_trunc_f64_e32 v[0:1], v[0:1]
	s_delay_alu instid0(VALU_DEP_1) | instskip(NEXT) | instid1(VALU_DEP_1)
	v_ldexp_f64 v[2:3], v[0:1], 0xffffffe0
	v_floor_f64_e32 v[2:3], v[2:3]
	s_delay_alu instid0(VALU_DEP_1) | instskip(NEXT) | instid1(VALU_DEP_1)
	v_fma_f64 v[0:1], 0xc1f00000, v[2:3], v[0:1]
	v_cvt_u32_f64_e32 v0, v[0:1]
	global_store_b8 v[4:5], v0, off
.LBB12_182:
	s_or_b32 exec_lo, exec_lo, s1
	s_waitcnt lgkmcnt(0)
	s_and_b32 s44, s0, exec_lo
                                        ; implicit-def: $vgpr3
                                        ; implicit-def: $vgpr41
.LBB12_183:
	s_or_saveexec_b32 s45, s63
	s_mov_b32 s0, 0
                                        ; implicit-def: $vgpr6
                                        ; implicit-def: $vgpr4_vgpr5
                                        ; implicit-def: $vgpr0_vgpr1
	s_xor_b32 exec_lo, exec_lo, s45
	s_cbranch_execz .LBB12_668
; %bb.184:
	v_cndmask_b32_e64 v0, 0, 1, s62
	s_and_not1_b32 vcc_lo, exec_lo, s62
	s_cbranch_vccnz .LBB12_190
; %bb.185:
	v_dual_mov_b32 v75, 0 :: v_dual_mov_b32 v2, 0
	s_cmp_lg_u32 s39, 0
	s_mov_b32 s4, 0
	s_cbranch_scc0 .LBB12_194
; %bb.186:
	s_min_u32 s5, s60, 15
	v_mov_b32_e32 v75, 0
	s_add_i32 s5, s5, 1
	s_cmp_eq_u32 s60, 2
	s_mov_b32 s6, 0
	s_cbranch_scc1 .LBB12_191
; %bb.187:
	v_dual_mov_b32 v2, 0 :: v_dual_mov_b32 v75, 0
	v_mov_b32_e32 v1, v41
	s_add_u32 s0, s42, 0xc4
	s_addc_u32 s1, s43, 0
	s_and_b32 s6, s5, 28
	s_mov_b32 s7, 0
	s_mov_b64 s[2:3], s[42:43]
.LBB12_188:                             ; =>This Inner Loop Header: Depth=1
	s_clause 0x1
	s_load_b256 s[8:15], s[2:3], 0x4
	s_load_b128 s[24:27], s[2:3], 0x24
	s_load_b256 s[16:23], s[0:1], 0x0
	s_add_u32 s2, s2, 48
	s_addc_u32 s3, s3, 0
	s_add_i32 s7, s7, 4
	s_add_u32 s0, s0, 32
	s_addc_u32 s1, s1, 0
	s_cmp_lg_u32 s6, s7
	s_waitcnt lgkmcnt(0)
	v_mul_hi_u32 v4, s9, v1
	s_delay_alu instid0(VALU_DEP_1) | instskip(NEXT) | instid1(VALU_DEP_1)
	v_add_nc_u32_e32 v4, v1, v4
	v_lshrrev_b32_e32 v4, s10, v4
	s_delay_alu instid0(VALU_DEP_1) | instskip(SKIP_1) | instid1(VALU_DEP_2)
	v_mul_hi_u32 v5, s12, v4
	v_mul_lo_u32 v7, v4, s8
	v_add_nc_u32_e32 v5, v4, v5
	s_delay_alu instid0(VALU_DEP_2) | instskip(NEXT) | instid1(VALU_DEP_2)
	v_sub_nc_u32_e32 v1, v1, v7
	v_lshrrev_b32_e32 v5, s13, v5
	s_delay_alu instid0(VALU_DEP_2) | instskip(SKIP_1) | instid1(VALU_DEP_3)
	v_mul_lo_u32 v7, v1, s16
	v_mul_lo_u32 v9, v1, s17
	v_mul_hi_u32 v6, s15, v5
	s_delay_alu instid0(VALU_DEP_1) | instskip(NEXT) | instid1(VALU_DEP_1)
	v_add_nc_u32_e32 v6, v5, v6
	v_lshrrev_b32_e32 v6, s24, v6
	s_delay_alu instid0(VALU_DEP_1) | instskip(SKIP_1) | instid1(VALU_DEP_2)
	v_mul_hi_u32 v8, s26, v6
	v_mul_lo_u32 v10, v6, s14
	v_add_nc_u32_e32 v1, v6, v8
	v_mul_lo_u32 v8, v5, s11
	s_delay_alu instid0(VALU_DEP_3) | instskip(NEXT) | instid1(VALU_DEP_3)
	v_sub_nc_u32_e32 v5, v5, v10
	v_lshrrev_b32_e32 v1, s27, v1
	s_delay_alu instid0(VALU_DEP_2) | instskip(SKIP_2) | instid1(VALU_DEP_4)
	v_mul_lo_u32 v10, v5, s20
	v_mul_lo_u32 v5, v5, s21
	v_sub_nc_u32_e32 v4, v4, v8
	v_mul_lo_u32 v11, v1, s25
	s_delay_alu instid0(VALU_DEP_2) | instskip(SKIP_1) | instid1(VALU_DEP_3)
	v_mul_lo_u32 v8, v4, s18
	v_mul_lo_u32 v4, v4, s19
	v_sub_nc_u32_e32 v6, v6, v11
	s_delay_alu instid0(VALU_DEP_3) | instskip(NEXT) | instid1(VALU_DEP_2)
	v_add3_u32 v7, v7, v75, v8
	v_mul_lo_u32 v11, v6, s22
	v_mul_lo_u32 v6, v6, s23
	v_add3_u32 v2, v9, v2, v4
	s_delay_alu instid0(VALU_DEP_3) | instskip(NEXT) | instid1(VALU_DEP_2)
	v_add3_u32 v75, v10, v7, v11
	v_add3_u32 v2, v5, v2, v6
	s_cbranch_scc1 .LBB12_188
; %bb.189:
	s_and_b32 s5, s5, 3
	s_delay_alu instid0(SALU_CYCLE_1)
	s_cmp_eq_u32 s5, 0
	s_cbranch_scc0 .LBB12_192
	s_branch .LBB12_194
.LBB12_190:
	s_mov_b32 s4, -1
                                        ; implicit-def: $vgpr75
                                        ; implicit-def: $vgpr2
	s_branch .LBB12_194
.LBB12_191:
	v_dual_mov_b32 v1, v41 :: v_dual_mov_b32 v2, 0
	s_and_b32 s5, s5, 3
	s_delay_alu instid0(SALU_CYCLE_1)
	s_cmp_eq_u32 s5, 0
	s_cbranch_scc1 .LBB12_194
.LBB12_192:
	s_lshl_b32 s0, s6, 3
	s_mul_i32 s2, s6, 12
	s_add_u32 s0, s0, s42
	s_addc_u32 s1, 0, s43
	s_add_u32 s0, s0, 0xc4
	s_addc_u32 s1, s1, 0
	;; [unrolled: 2-line block ×3, first 2 shown]
	.p2align	6
.LBB12_193:                             ; =>This Inner Loop Header: Depth=1
	s_clause 0x1
	s_load_b64 s[6:7], s[2:3], 0x4
	s_load_b32 s10, s[2:3], 0xc
	s_load_b64 s[8:9], s[0:1], 0x0
	s_add_u32 s2, s2, 12
	s_addc_u32 s3, s3, 0
	s_add_u32 s0, s0, 8
	s_addc_u32 s1, s1, 0
	s_add_i32 s5, s5, -1
	s_delay_alu instid0(SALU_CYCLE_1) | instskip(SKIP_2) | instid1(VALU_DEP_1)
	s_cmp_lg_u32 s5, 0
	s_waitcnt lgkmcnt(0)
	v_mul_hi_u32 v4, s7, v1
	v_add_nc_u32_e32 v4, v1, v4
	s_delay_alu instid0(VALU_DEP_1) | instskip(NEXT) | instid1(VALU_DEP_1)
	v_lshrrev_b32_e32 v7, s10, v4
	v_mul_lo_u32 v4, v7, s6
	s_delay_alu instid0(VALU_DEP_1) | instskip(NEXT) | instid1(VALU_DEP_1)
	v_sub_nc_u32_e32 v1, v1, v4
	v_mad_u64_u32 v[4:5], null, v1, s8, v[75:76]
	v_mad_u64_u32 v[5:6], null, v1, s9, v[2:3]
	v_mov_b32_e32 v1, v7
	s_delay_alu instid0(VALU_DEP_2)
	v_dual_mov_b32 v75, v4 :: v_dual_mov_b32 v2, v5
	s_cbranch_scc1 .LBB12_193
.LBB12_194:
	s_and_not1_b32 vcc_lo, exec_lo, s4
	s_cbranch_vccnz .LBB12_197
; %bb.195:
	s_clause 0x1
	s_load_b128 s[0:3], s[42:43], 0x4
	s_load_b64 s[4:5], s[42:43], 0xc4
	s_cmp_lt_u32 s39, 2
	s_waitcnt lgkmcnt(0)
	v_mul_hi_u32 v1, s1, v41
	s_delay_alu instid0(VALU_DEP_1) | instskip(NEXT) | instid1(VALU_DEP_1)
	v_add_nc_u32_e32 v1, v41, v1
	v_lshrrev_b32_e32 v1, s2, v1
	s_delay_alu instid0(VALU_DEP_1) | instskip(NEXT) | instid1(VALU_DEP_1)
	v_mul_lo_u32 v2, v1, s0
	v_sub_nc_u32_e32 v2, v41, v2
	s_delay_alu instid0(VALU_DEP_1)
	v_mul_lo_u32 v75, v2, s4
	v_mul_lo_u32 v2, v2, s5
	s_cbranch_scc1 .LBB12_197
; %bb.196:
	s_clause 0x1
	s_load_b128 s[0:3], s[42:43], 0x10
	s_load_b64 s[4:5], s[42:43], 0xcc
	s_waitcnt lgkmcnt(0)
	v_mul_hi_u32 v4, s1, v1
	s_delay_alu instid0(VALU_DEP_1) | instskip(NEXT) | instid1(VALU_DEP_1)
	v_add_nc_u32_e32 v4, v1, v4
	v_lshrrev_b32_e32 v4, s2, v4
	s_delay_alu instid0(VALU_DEP_1) | instskip(NEXT) | instid1(VALU_DEP_1)
	v_mul_lo_u32 v4, v4, s0
	v_sub_nc_u32_e32 v1, v1, v4
	s_delay_alu instid0(VALU_DEP_1) | instskip(SKIP_1) | instid1(VALU_DEP_1)
	v_mad_u64_u32 v[4:5], null, v1, s4, v[75:76]
	v_mad_u64_u32 v[5:6], null, v1, s5, v[2:3]
	v_dual_mov_b32 v75, v4 :: v_dual_mov_b32 v2, v5
.LBB12_197:
	v_cmp_ne_u32_e32 vcc_lo, 1, v0
	v_add_nc_u32_e32 v1, 0x80, v41
	s_cbranch_vccnz .LBB12_203
; %bb.198:
	v_mov_b32_e32 v74, 0
	v_mov_b32_e32 v46, 0
	s_cmp_lg_u32 s39, 0
	s_mov_b32 s4, 0
	s_cbranch_scc0 .LBB12_207
; %bb.199:
	s_min_u32 s5, s60, 15
	v_mov_b32_e32 v74, 0
	s_add_i32 s5, s5, 1
	s_cmp_eq_u32 s60, 2
	s_mov_b32 s6, 0
	s_cbranch_scc1 .LBB12_204
; %bb.200:
	v_mov_b32_e32 v46, 0
	v_mov_b32_e32 v74, 0
	;; [unrolled: 1-line block ×3, first 2 shown]
	s_add_u32 s0, s42, 0xc4
	s_addc_u32 s1, s43, 0
	s_and_b32 s6, s5, 28
	s_mov_b32 s7, 0
	s_mov_b64 s[2:3], s[42:43]
.LBB12_201:                             ; =>This Inner Loop Header: Depth=1
	s_clause 0x1
	s_load_b256 s[8:15], s[2:3], 0x4
	s_load_b128 s[24:27], s[2:3], 0x24
	s_load_b256 s[16:23], s[0:1], 0x0
	s_add_u32 s2, s2, 48
	s_addc_u32 s3, s3, 0
	s_add_i32 s7, s7, 4
	s_add_u32 s0, s0, 32
	s_addc_u32 s1, s1, 0
	s_cmp_lg_u32 s6, s7
	s_waitcnt lgkmcnt(0)
	v_mul_hi_u32 v5, s9, v4
	s_delay_alu instid0(VALU_DEP_1) | instskip(NEXT) | instid1(VALU_DEP_1)
	v_add_nc_u32_e32 v5, v4, v5
	v_lshrrev_b32_e32 v5, s10, v5
	s_delay_alu instid0(VALU_DEP_1) | instskip(SKIP_1) | instid1(VALU_DEP_2)
	v_mul_hi_u32 v6, s12, v5
	v_mul_lo_u32 v8, v5, s8
	v_add_nc_u32_e32 v6, v5, v6
	s_delay_alu instid0(VALU_DEP_2) | instskip(NEXT) | instid1(VALU_DEP_2)
	v_sub_nc_u32_e32 v4, v4, v8
	v_lshrrev_b32_e32 v6, s13, v6
	s_delay_alu instid0(VALU_DEP_2) | instskip(SKIP_1) | instid1(VALU_DEP_3)
	v_mul_lo_u32 v8, v4, s16
	v_mul_lo_u32 v10, v4, s17
	v_mul_hi_u32 v7, s15, v6
	s_delay_alu instid0(VALU_DEP_1) | instskip(NEXT) | instid1(VALU_DEP_1)
	v_add_nc_u32_e32 v7, v6, v7
	v_lshrrev_b32_e32 v7, s24, v7
	s_delay_alu instid0(VALU_DEP_1) | instskip(SKIP_1) | instid1(VALU_DEP_2)
	v_mul_hi_u32 v9, s26, v7
	v_mul_lo_u32 v11, v7, s14
	v_add_nc_u32_e32 v4, v7, v9
	v_mul_lo_u32 v9, v6, s11
	s_delay_alu instid0(VALU_DEP_3) | instskip(NEXT) | instid1(VALU_DEP_3)
	v_sub_nc_u32_e32 v6, v6, v11
	v_lshrrev_b32_e32 v4, s27, v4
	s_delay_alu instid0(VALU_DEP_2) | instskip(SKIP_2) | instid1(VALU_DEP_4)
	v_mul_lo_u32 v11, v6, s20
	v_mul_lo_u32 v6, v6, s21
	v_sub_nc_u32_e32 v5, v5, v9
	v_mul_lo_u32 v12, v4, s25
	s_delay_alu instid0(VALU_DEP_2) | instskip(SKIP_1) | instid1(VALU_DEP_3)
	v_mul_lo_u32 v9, v5, s18
	v_mul_lo_u32 v5, v5, s19
	v_sub_nc_u32_e32 v7, v7, v12
	s_delay_alu instid0(VALU_DEP_3) | instskip(NEXT) | instid1(VALU_DEP_2)
	v_add3_u32 v8, v8, v74, v9
	v_mul_lo_u32 v12, v7, s22
	v_mul_lo_u32 v7, v7, s23
	v_add3_u32 v5, v10, v46, v5
	s_delay_alu instid0(VALU_DEP_3) | instskip(NEXT) | instid1(VALU_DEP_2)
	v_add3_u32 v74, v11, v8, v12
	v_add3_u32 v46, v6, v5, v7
	s_cbranch_scc1 .LBB12_201
; %bb.202:
	s_and_b32 s5, s5, 3
	s_delay_alu instid0(SALU_CYCLE_1)
	s_cmp_eq_u32 s5, 0
	s_cbranch_scc0 .LBB12_205
	s_branch .LBB12_207
.LBB12_203:
	s_mov_b32 s4, -1
                                        ; implicit-def: $vgpr74
                                        ; implicit-def: $vgpr46
	s_branch .LBB12_207
.LBB12_204:
	v_mov_b32_e32 v4, v1
	v_mov_b32_e32 v46, 0
	s_and_b32 s5, s5, 3
	s_delay_alu instid0(SALU_CYCLE_1)
	s_cmp_eq_u32 s5, 0
	s_cbranch_scc1 .LBB12_207
.LBB12_205:
	s_lshl_b32 s0, s6, 3
	s_mul_i32 s2, s6, 12
	s_add_u32 s0, s0, s42
	s_addc_u32 s1, 0, s43
	s_add_u32 s0, s0, 0xc4
	s_addc_u32 s1, s1, 0
	s_add_u32 s2, s42, s2
	s_addc_u32 s3, 0, s43
	.p2align	6
.LBB12_206:                             ; =>This Inner Loop Header: Depth=1
	s_clause 0x1
	s_load_b64 s[6:7], s[2:3], 0x4
	s_load_b32 s10, s[2:3], 0xc
	s_load_b64 s[8:9], s[0:1], 0x0
	s_add_u32 s2, s2, 12
	s_addc_u32 s3, s3, 0
	s_add_u32 s0, s0, 8
	s_addc_u32 s1, s1, 0
	s_add_i32 s5, s5, -1
	s_delay_alu instid0(SALU_CYCLE_1) | instskip(SKIP_2) | instid1(VALU_DEP_1)
	s_cmp_lg_u32 s5, 0
	s_waitcnt lgkmcnt(0)
	v_mul_hi_u32 v5, s7, v4
	v_add_nc_u32_e32 v5, v4, v5
	s_delay_alu instid0(VALU_DEP_1) | instskip(NEXT) | instid1(VALU_DEP_1)
	v_lshrrev_b32_e32 v8, s10, v5
	v_mul_lo_u32 v5, v8, s6
	s_delay_alu instid0(VALU_DEP_1) | instskip(NEXT) | instid1(VALU_DEP_1)
	v_sub_nc_u32_e32 v4, v4, v5
	v_mad_u64_u32 v[5:6], null, v4, s8, v[74:75]
	v_mad_u64_u32 v[6:7], null, v4, s9, v[46:47]
	v_mov_b32_e32 v4, v8
	s_delay_alu instid0(VALU_DEP_3) | instskip(NEXT) | instid1(VALU_DEP_3)
	v_mov_b32_e32 v74, v5
	v_mov_b32_e32 v46, v6
	s_cbranch_scc1 .LBB12_206
.LBB12_207:
	s_and_not1_b32 vcc_lo, exec_lo, s4
	s_cbranch_vccnz .LBB12_210
; %bb.208:
	s_clause 0x1
	s_load_b128 s[0:3], s[42:43], 0x4
	s_load_b64 s[4:5], s[42:43], 0xc4
	s_cmp_lt_u32 s39, 2
	s_waitcnt lgkmcnt(0)
	v_mul_hi_u32 v4, s1, v1
	s_delay_alu instid0(VALU_DEP_1) | instskip(NEXT) | instid1(VALU_DEP_1)
	v_add_nc_u32_e32 v4, v1, v4
	v_lshrrev_b32_e32 v4, s2, v4
	s_delay_alu instid0(VALU_DEP_1) | instskip(NEXT) | instid1(VALU_DEP_1)
	v_mul_lo_u32 v5, v4, s0
	v_sub_nc_u32_e32 v1, v1, v5
	s_delay_alu instid0(VALU_DEP_1)
	v_mul_lo_u32 v74, v1, s4
	v_mul_lo_u32 v46, v1, s5
	s_cbranch_scc1 .LBB12_210
; %bb.209:
	s_clause 0x1
	s_load_b128 s[0:3], s[42:43], 0x10
	s_load_b64 s[4:5], s[42:43], 0xcc
	s_waitcnt lgkmcnt(0)
	v_mul_hi_u32 v1, s1, v4
	s_delay_alu instid0(VALU_DEP_1) | instskip(NEXT) | instid1(VALU_DEP_1)
	v_add_nc_u32_e32 v1, v4, v1
	v_lshrrev_b32_e32 v1, s2, v1
	s_delay_alu instid0(VALU_DEP_1) | instskip(NEXT) | instid1(VALU_DEP_1)
	v_mul_lo_u32 v1, v1, s0
	v_sub_nc_u32_e32 v1, v4, v1
	s_delay_alu instid0(VALU_DEP_1) | instskip(SKIP_1) | instid1(VALU_DEP_2)
	v_mad_u64_u32 v[4:5], null, v1, s4, v[74:75]
	v_mad_u64_u32 v[5:6], null, v1, s5, v[46:47]
	v_mov_b32_e32 v74, v4
	s_delay_alu instid0(VALU_DEP_2)
	v_mov_b32_e32 v46, v5
.LBB12_210:
	v_cmp_ne_u32_e32 vcc_lo, 1, v0
	v_add_nc_u32_e32 v1, 0x100, v41
	s_cbranch_vccnz .LBB12_216
; %bb.211:
	v_dual_mov_b32 v73, 0 :: v_dual_mov_b32 v56, 0
	s_cmp_lg_u32 s39, 0
	s_mov_b32 s4, 0
	s_cbranch_scc0 .LBB12_220
; %bb.212:
	s_min_u32 s5, s60, 15
	v_mov_b32_e32 v73, 0
	s_add_i32 s5, s5, 1
	s_cmp_eq_u32 s60, 2
	s_mov_b32 s6, 0
	s_cbranch_scc1 .LBB12_217
; %bb.213:
	v_dual_mov_b32 v56, 0 :: v_dual_mov_b32 v73, 0
	v_mov_b32_e32 v4, v1
	s_add_u32 s0, s42, 0xc4
	s_addc_u32 s1, s43, 0
	s_and_b32 s6, s5, 28
	s_mov_b32 s7, 0
	s_mov_b64 s[2:3], s[42:43]
.LBB12_214:                             ; =>This Inner Loop Header: Depth=1
	s_clause 0x1
	s_load_b256 s[8:15], s[2:3], 0x4
	s_load_b128 s[24:27], s[2:3], 0x24
	s_load_b256 s[16:23], s[0:1], 0x0
	s_add_u32 s2, s2, 48
	s_addc_u32 s3, s3, 0
	s_add_i32 s7, s7, 4
	s_add_u32 s0, s0, 32
	s_addc_u32 s1, s1, 0
	s_cmp_lg_u32 s6, s7
	s_waitcnt lgkmcnt(0)
	v_mul_hi_u32 v5, s9, v4
	s_delay_alu instid0(VALU_DEP_1) | instskip(NEXT) | instid1(VALU_DEP_1)
	v_add_nc_u32_e32 v5, v4, v5
	v_lshrrev_b32_e32 v5, s10, v5
	s_delay_alu instid0(VALU_DEP_1) | instskip(SKIP_1) | instid1(VALU_DEP_2)
	v_mul_hi_u32 v6, s12, v5
	v_mul_lo_u32 v8, v5, s8
	v_add_nc_u32_e32 v6, v5, v6
	s_delay_alu instid0(VALU_DEP_2) | instskip(NEXT) | instid1(VALU_DEP_2)
	v_sub_nc_u32_e32 v4, v4, v8
	v_lshrrev_b32_e32 v6, s13, v6
	s_delay_alu instid0(VALU_DEP_2) | instskip(SKIP_1) | instid1(VALU_DEP_3)
	v_mul_lo_u32 v8, v4, s16
	v_mul_lo_u32 v10, v4, s17
	v_mul_hi_u32 v7, s15, v6
	s_delay_alu instid0(VALU_DEP_1) | instskip(NEXT) | instid1(VALU_DEP_1)
	v_add_nc_u32_e32 v7, v6, v7
	v_lshrrev_b32_e32 v7, s24, v7
	s_delay_alu instid0(VALU_DEP_1) | instskip(SKIP_1) | instid1(VALU_DEP_2)
	v_mul_hi_u32 v9, s26, v7
	v_mul_lo_u32 v11, v7, s14
	v_add_nc_u32_e32 v4, v7, v9
	v_mul_lo_u32 v9, v6, s11
	s_delay_alu instid0(VALU_DEP_3) | instskip(NEXT) | instid1(VALU_DEP_3)
	v_sub_nc_u32_e32 v6, v6, v11
	v_lshrrev_b32_e32 v4, s27, v4
	s_delay_alu instid0(VALU_DEP_2) | instskip(SKIP_2) | instid1(VALU_DEP_4)
	v_mul_lo_u32 v11, v6, s20
	v_mul_lo_u32 v6, v6, s21
	v_sub_nc_u32_e32 v5, v5, v9
	v_mul_lo_u32 v12, v4, s25
	s_delay_alu instid0(VALU_DEP_2) | instskip(SKIP_1) | instid1(VALU_DEP_3)
	v_mul_lo_u32 v9, v5, s18
	v_mul_lo_u32 v5, v5, s19
	v_sub_nc_u32_e32 v7, v7, v12
	s_delay_alu instid0(VALU_DEP_3) | instskip(NEXT) | instid1(VALU_DEP_2)
	v_add3_u32 v8, v8, v73, v9
	v_mul_lo_u32 v12, v7, s22
	v_mul_lo_u32 v7, v7, s23
	v_add3_u32 v5, v10, v56, v5
	s_delay_alu instid0(VALU_DEP_3) | instskip(NEXT) | instid1(VALU_DEP_2)
	v_add3_u32 v73, v11, v8, v12
	v_add3_u32 v56, v6, v5, v7
	s_cbranch_scc1 .LBB12_214
; %bb.215:
	s_and_b32 s5, s5, 3
	s_delay_alu instid0(SALU_CYCLE_1)
	s_cmp_eq_u32 s5, 0
	s_cbranch_scc0 .LBB12_218
	s_branch .LBB12_220
.LBB12_216:
	s_mov_b32 s4, -1
                                        ; implicit-def: $vgpr73
                                        ; implicit-def: $vgpr56
	s_branch .LBB12_220
.LBB12_217:
	v_mov_b32_e32 v4, v1
	v_mov_b32_e32 v56, 0
	s_and_b32 s5, s5, 3
	s_delay_alu instid0(SALU_CYCLE_1)
	s_cmp_eq_u32 s5, 0
	s_cbranch_scc1 .LBB12_220
.LBB12_218:
	s_lshl_b32 s0, s6, 3
	s_mul_i32 s2, s6, 12
	s_add_u32 s0, s0, s42
	s_addc_u32 s1, 0, s43
	s_add_u32 s0, s0, 0xc4
	s_addc_u32 s1, s1, 0
	;; [unrolled: 2-line block ×3, first 2 shown]
	.p2align	6
.LBB12_219:                             ; =>This Inner Loop Header: Depth=1
	s_clause 0x1
	s_load_b64 s[6:7], s[2:3], 0x4
	s_load_b32 s10, s[2:3], 0xc
	s_load_b64 s[8:9], s[0:1], 0x0
	s_add_u32 s2, s2, 12
	s_addc_u32 s3, s3, 0
	s_add_u32 s0, s0, 8
	s_addc_u32 s1, s1, 0
	s_add_i32 s5, s5, -1
	s_delay_alu instid0(SALU_CYCLE_1) | instskip(SKIP_2) | instid1(VALU_DEP_1)
	s_cmp_lg_u32 s5, 0
	s_waitcnt lgkmcnt(0)
	v_mul_hi_u32 v5, s7, v4
	v_add_nc_u32_e32 v5, v4, v5
	s_delay_alu instid0(VALU_DEP_1) | instskip(NEXT) | instid1(VALU_DEP_1)
	v_lshrrev_b32_e32 v8, s10, v5
	v_mul_lo_u32 v5, v8, s6
	s_delay_alu instid0(VALU_DEP_1) | instskip(NEXT) | instid1(VALU_DEP_1)
	v_sub_nc_u32_e32 v4, v4, v5
	v_mad_u64_u32 v[5:6], null, v4, s8, v[73:74]
	v_mad_u64_u32 v[6:7], null, v4, s9, v[56:57]
	s_delay_alu instid0(VALU_DEP_2) | instskip(NEXT) | instid1(VALU_DEP_2)
	v_dual_mov_b32 v4, v8 :: v_dual_mov_b32 v73, v5
	v_mov_b32_e32 v56, v6
	s_cbranch_scc1 .LBB12_219
.LBB12_220:
	s_and_not1_b32 vcc_lo, exec_lo, s4
	s_cbranch_vccnz .LBB12_223
; %bb.221:
	s_clause 0x1
	s_load_b128 s[0:3], s[42:43], 0x4
	s_load_b64 s[4:5], s[42:43], 0xc4
	s_cmp_lt_u32 s39, 2
	s_waitcnt lgkmcnt(0)
	v_mul_hi_u32 v4, s1, v1
	s_delay_alu instid0(VALU_DEP_1) | instskip(NEXT) | instid1(VALU_DEP_1)
	v_add_nc_u32_e32 v4, v1, v4
	v_lshrrev_b32_e32 v4, s2, v4
	s_delay_alu instid0(VALU_DEP_1) | instskip(NEXT) | instid1(VALU_DEP_1)
	v_mul_lo_u32 v5, v4, s0
	v_sub_nc_u32_e32 v1, v1, v5
	s_delay_alu instid0(VALU_DEP_1)
	v_mul_lo_u32 v73, v1, s4
	v_mul_lo_u32 v56, v1, s5
	s_cbranch_scc1 .LBB12_223
; %bb.222:
	s_clause 0x1
	s_load_b128 s[0:3], s[42:43], 0x10
	s_load_b64 s[4:5], s[42:43], 0xcc
	s_waitcnt lgkmcnt(0)
	v_mul_hi_u32 v1, s1, v4
	s_delay_alu instid0(VALU_DEP_1) | instskip(NEXT) | instid1(VALU_DEP_1)
	v_add_nc_u32_e32 v1, v4, v1
	v_lshrrev_b32_e32 v1, s2, v1
	s_delay_alu instid0(VALU_DEP_1) | instskip(NEXT) | instid1(VALU_DEP_1)
	v_mul_lo_u32 v1, v1, s0
	v_sub_nc_u32_e32 v1, v4, v1
	s_delay_alu instid0(VALU_DEP_1) | instskip(SKIP_1) | instid1(VALU_DEP_1)
	v_mad_u64_u32 v[4:5], null, v1, s4, v[73:74]
	v_mad_u64_u32 v[5:6], null, v1, s5, v[56:57]
	v_dual_mov_b32 v73, v4 :: v_dual_mov_b32 v56, v5
.LBB12_223:
	v_cmp_ne_u32_e32 vcc_lo, 1, v0
	s_cbranch_vccnz .LBB12_229
; %bb.224:
	v_mov_b32_e32 v72, 0
	v_mov_b32_e32 v62, 0
	s_cmp_lg_u32 s39, 0
	s_mov_b32 s4, 0
	s_cbranch_scc0 .LBB12_233
; %bb.225:
	s_min_u32 s5, s60, 15
	v_mov_b32_e32 v72, 0
	s_add_i32 s5, s5, 1
	s_cmp_eq_u32 s60, 2
	s_mov_b32 s6, 0
	s_cbranch_scc1 .LBB12_230
; %bb.226:
	v_mov_b32_e32 v62, 0
	v_mov_b32_e32 v72, 0
	v_mov_b32_e32 v0, v3
	s_add_u32 s0, s42, 0xc4
	s_addc_u32 s1, s43, 0
	s_and_b32 s6, s5, 28
	s_mov_b32 s7, 0
	s_mov_b64 s[2:3], s[42:43]
.LBB12_227:                             ; =>This Inner Loop Header: Depth=1
	s_clause 0x1
	s_load_b256 s[8:15], s[2:3], 0x4
	s_load_b128 s[24:27], s[2:3], 0x24
	s_load_b256 s[16:23], s[0:1], 0x0
	s_add_u32 s2, s2, 48
	s_addc_u32 s3, s3, 0
	s_add_i32 s7, s7, 4
	s_add_u32 s0, s0, 32
	s_addc_u32 s1, s1, 0
	s_cmp_lg_u32 s6, s7
	s_waitcnt lgkmcnt(0)
	v_mul_hi_u32 v1, s9, v0
	s_delay_alu instid0(VALU_DEP_1) | instskip(NEXT) | instid1(VALU_DEP_1)
	v_add_nc_u32_e32 v1, v0, v1
	v_lshrrev_b32_e32 v1, s10, v1
	s_delay_alu instid0(VALU_DEP_1) | instskip(SKIP_1) | instid1(VALU_DEP_2)
	v_mul_hi_u32 v4, s12, v1
	v_mul_lo_u32 v6, v1, s8
	v_add_nc_u32_e32 v4, v1, v4
	s_delay_alu instid0(VALU_DEP_2) | instskip(NEXT) | instid1(VALU_DEP_2)
	v_sub_nc_u32_e32 v0, v0, v6
	v_lshrrev_b32_e32 v4, s13, v4
	s_delay_alu instid0(VALU_DEP_2) | instskip(SKIP_1) | instid1(VALU_DEP_3)
	v_mul_lo_u32 v6, v0, s16
	v_mul_lo_u32 v8, v0, s17
	v_mul_hi_u32 v5, s15, v4
	s_delay_alu instid0(VALU_DEP_1) | instskip(NEXT) | instid1(VALU_DEP_1)
	v_add_nc_u32_e32 v5, v4, v5
	v_lshrrev_b32_e32 v5, s24, v5
	s_delay_alu instid0(VALU_DEP_1) | instskip(SKIP_1) | instid1(VALU_DEP_2)
	v_mul_hi_u32 v7, s26, v5
	v_mul_lo_u32 v9, v5, s14
	v_add_nc_u32_e32 v0, v5, v7
	v_mul_lo_u32 v7, v4, s11
	s_delay_alu instid0(VALU_DEP_3) | instskip(NEXT) | instid1(VALU_DEP_3)
	v_sub_nc_u32_e32 v4, v4, v9
	v_lshrrev_b32_e32 v0, s27, v0
	s_delay_alu instid0(VALU_DEP_2) | instskip(SKIP_2) | instid1(VALU_DEP_4)
	v_mul_lo_u32 v9, v4, s20
	v_mul_lo_u32 v4, v4, s21
	v_sub_nc_u32_e32 v1, v1, v7
	v_mul_lo_u32 v10, v0, s25
	s_delay_alu instid0(VALU_DEP_2) | instskip(SKIP_1) | instid1(VALU_DEP_3)
	v_mul_lo_u32 v7, v1, s18
	v_mul_lo_u32 v1, v1, s19
	v_sub_nc_u32_e32 v5, v5, v10
	s_delay_alu instid0(VALU_DEP_3) | instskip(NEXT) | instid1(VALU_DEP_2)
	v_add3_u32 v6, v6, v72, v7
	v_mul_lo_u32 v10, v5, s22
	v_mul_lo_u32 v5, v5, s23
	v_add3_u32 v1, v8, v62, v1
	s_delay_alu instid0(VALU_DEP_3) | instskip(NEXT) | instid1(VALU_DEP_2)
	v_add3_u32 v72, v9, v6, v10
	v_add3_u32 v62, v4, v1, v5
	s_cbranch_scc1 .LBB12_227
; %bb.228:
	s_and_b32 s5, s5, 3
	s_delay_alu instid0(SALU_CYCLE_1)
	s_cmp_eq_u32 s5, 0
	s_cbranch_scc0 .LBB12_231
	s_branch .LBB12_233
.LBB12_229:
	s_mov_b32 s4, -1
                                        ; implicit-def: $vgpr72
                                        ; implicit-def: $vgpr62
	s_branch .LBB12_233
.LBB12_230:
	v_mov_b32_e32 v0, v3
	v_mov_b32_e32 v62, 0
	s_and_b32 s5, s5, 3
	s_delay_alu instid0(SALU_CYCLE_1)
	s_cmp_eq_u32 s5, 0
	s_cbranch_scc1 .LBB12_233
.LBB12_231:
	s_lshl_b32 s0, s6, 3
	s_mul_i32 s2, s6, 12
	s_add_u32 s0, s0, s42
	s_addc_u32 s1, 0, s43
	s_add_u32 s0, s0, 0xc4
	s_addc_u32 s1, s1, 0
	;; [unrolled: 2-line block ×3, first 2 shown]
	.p2align	6
.LBB12_232:                             ; =>This Inner Loop Header: Depth=1
	s_clause 0x1
	s_load_b64 s[6:7], s[2:3], 0x4
	s_load_b32 s10, s[2:3], 0xc
	s_load_b64 s[8:9], s[0:1], 0x0
	s_add_u32 s2, s2, 12
	s_addc_u32 s3, s3, 0
	s_add_u32 s0, s0, 8
	s_addc_u32 s1, s1, 0
	s_add_i32 s5, s5, -1
	s_delay_alu instid0(SALU_CYCLE_1) | instskip(SKIP_2) | instid1(VALU_DEP_1)
	s_cmp_lg_u32 s5, 0
	s_waitcnt lgkmcnt(0)
	v_mul_hi_u32 v1, s7, v0
	v_add_nc_u32_e32 v1, v0, v1
	s_delay_alu instid0(VALU_DEP_1) | instskip(NEXT) | instid1(VALU_DEP_1)
	v_lshrrev_b32_e32 v1, s10, v1
	v_mul_lo_u32 v4, v1, s6
	s_delay_alu instid0(VALU_DEP_1) | instskip(NEXT) | instid1(VALU_DEP_1)
	v_sub_nc_u32_e32 v0, v0, v4
	v_mad_u64_u32 v[4:5], null, v0, s8, v[72:73]
	v_mad_u64_u32 v[5:6], null, v0, s9, v[62:63]
	v_mov_b32_e32 v0, v1
	s_delay_alu instid0(VALU_DEP_3) | instskip(NEXT) | instid1(VALU_DEP_3)
	v_mov_b32_e32 v72, v4
	v_mov_b32_e32 v62, v5
	s_cbranch_scc1 .LBB12_232
.LBB12_233:
	s_and_not1_b32 vcc_lo, exec_lo, s4
	s_cbranch_vccnz .LBB12_236
; %bb.234:
	s_clause 0x1
	s_load_b128 s[0:3], s[42:43], 0x4
	s_load_b64 s[4:5], s[42:43], 0xc4
	s_cmp_lt_u32 s39, 2
	s_waitcnt lgkmcnt(0)
	v_mul_hi_u32 v0, s1, v3
	s_delay_alu instid0(VALU_DEP_1) | instskip(NEXT) | instid1(VALU_DEP_1)
	v_add_nc_u32_e32 v0, v3, v0
	v_lshrrev_b32_e32 v0, s2, v0
	s_delay_alu instid0(VALU_DEP_1) | instskip(NEXT) | instid1(VALU_DEP_1)
	v_mul_lo_u32 v1, v0, s0
	v_sub_nc_u32_e32 v1, v3, v1
	s_delay_alu instid0(VALU_DEP_1)
	v_mul_lo_u32 v72, v1, s4
	v_mul_lo_u32 v62, v1, s5
	s_cbranch_scc1 .LBB12_236
; %bb.235:
	s_clause 0x1
	s_load_b128 s[0:3], s[42:43], 0x10
	s_load_b64 s[4:5], s[42:43], 0xcc
	s_waitcnt lgkmcnt(0)
	v_mul_hi_u32 v1, s1, v0
	s_delay_alu instid0(VALU_DEP_1) | instskip(NEXT) | instid1(VALU_DEP_1)
	v_add_nc_u32_e32 v1, v0, v1
	v_lshrrev_b32_e32 v1, s2, v1
	s_delay_alu instid0(VALU_DEP_1) | instskip(NEXT) | instid1(VALU_DEP_1)
	v_mul_lo_u32 v1, v1, s0
	v_sub_nc_u32_e32 v5, v0, v1
	s_delay_alu instid0(VALU_DEP_1) | instskip(SKIP_1) | instid1(VALU_DEP_2)
	v_mad_u64_u32 v[0:1], null, v5, s4, v[72:73]
	v_mad_u64_u32 v[3:4], null, v5, s5, v[62:63]
	v_mov_b32_e32 v72, v0
	s_delay_alu instid0(VALU_DEP_2)
	v_mov_b32_e32 v62, v3
.LBB12_236:
	s_clause 0x1
	s_load_b32 s39, s[40:41], 0x160
	s_load_b128 s[40:43], s[42:43], 0x148
	s_getpc_b64 s[46:47]
	s_add_u32 s46, s46, _ZN2at6native6invokeIZZZNS0_12_GLOBAL__N_121bessel_y1_kernel_cudaERNS_18TensorIteratorBaseEENKUlvE_clEvENKUlvE_clEvEUldE_j15function_traitsIS7_EEENT1_11result_typeERKT_PrKPcPKT0_PKN3c1010ScalarTypeEi@rel32@lo+4
	s_addc_u32 s47, s47, _ZN2at6native6invokeIZZZNS0_12_GLOBAL__N_121bessel_y1_kernel_cudaERNS_18TensorIteratorBaseEENKUlvE_clEvENKUlvE_clEvEUldE_j15function_traitsIS7_EEENT1_11result_typeERKT_PrKPcPKT0_PKN3c1010ScalarTypeEi@rel32@hi+12
	s_waitcnt lgkmcnt(0)
	s_lshr_b32 s48, s39, 16
	v_dual_mov_b32 v0, s42 :: v_dual_mov_b32 v1, s43
	v_mov_b32_e32 v3, s48
	s_swappc_b64 s[30:31], s[46:47]
	s_delay_alu instid0(VALU_DEP_2) | instskip(SKIP_3) | instid1(VALU_DEP_2)
	v_dual_mov_b32 v60, v0 :: v_dual_mov_b32 v61, v1
	v_dual_mov_b32 v0, s42 :: v_dual_mov_b32 v1, s43
	;; [unrolled: 1-line block ×3, first 2 shown]
	s_swappc_b64 s[30:31], s[46:47]
	v_dual_mov_b32 v58, v0 :: v_dual_mov_b32 v59, v1
	v_dual_mov_b32 v0, s42 :: v_dual_mov_b32 v1, s43
	v_dual_mov_b32 v2, v56 :: v_dual_mov_b32 v3, s48
	s_swappc_b64 s[30:31], s[46:47]
	s_delay_alu instid0(VALU_DEP_2)
	v_dual_mov_b32 v56, v0 :: v_dual_mov_b32 v57, v1
	v_dual_mov_b32 v0, s42 :: v_dual_mov_b32 v1, s43
	;; [unrolled: 1-line block ×3, first 2 shown]
	s_swappc_b64 s[30:31], s[46:47]
	s_lshr_b32 s0, s39, 8
	s_mov_b32 s3, 0
	v_and_b32_e64 v6, 0xff, s0
	v_add_co_u32 v2, s0, s40, v75
	s_delay_alu instid0(VALU_DEP_1) | instskip(NEXT) | instid1(VALU_DEP_3)
	v_add_co_ci_u32_e64 v3, null, s41, 0, s0
	v_cmp_gt_i16_e32 vcc_lo, 11, v6
	s_mov_b32 s0, -1
	s_mov_b32 s1, s44
	s_cbranch_vccnz .LBB12_314
; %bb.237:
	v_cmp_lt_i16_e32 vcc_lo, 25, v6
	s_mov_b32 s1, -1
	s_mov_b32 s2, 0
	s_mov_b32 s0, 0
	s_cbranch_vccz .LBB12_270
; %bb.238:
	v_cmp_lt_i16_e32 vcc_lo, 28, v6
	s_cbranch_vccz .LBB12_253
; %bb.239:
	v_cmp_lt_i16_e32 vcc_lo, 43, v6
	s_cbranch_vccz .LBB12_249
; %bb.240:
	v_cmp_lt_i16_e32 vcc_lo, 45, v6
	s_cbranch_vccz .LBB12_243
; %bb.241:
	v_cmp_eq_u16_e32 vcc_lo, 46, v6
	s_mov_b32 s0, -1
	s_mov_b32 s1, 0
	s_cbranch_vccz .LBB12_243
; %bb.242:
	v_cvt_f32_f64_e32 v4, v[60:61]
	s_mov_b32 s0, 0
	s_mov_b32 s3, -1
	s_delay_alu instid0(VALU_DEP_1) | instskip(SKIP_1) | instid1(VALU_DEP_2)
	v_bfe_u32 v5, v4, 16, 1
	v_cmp_o_f32_e32 vcc_lo, v4, v4
	v_add3_u32 v5, v4, v5, 0x7fff
	s_delay_alu instid0(VALU_DEP_1) | instskip(NEXT) | instid1(VALU_DEP_1)
	v_lshrrev_b32_e32 v5, 16, v5
	v_cndmask_b32_e32 v4, 0x7fc0, v5, vcc_lo
	global_store_b32 v[2:3], v4, off
.LBB12_243:
	s_and_b32 vcc_lo, exec_lo, s1
	s_cbranch_vccz .LBB12_248
; %bb.244:
	v_cmp_eq_u16_e32 vcc_lo, 44, v6
	s_mov_b32 s0, -1
	s_cbranch_vccz .LBB12_248
; %bb.245:
	v_cvt_f32_f64_e32 v4, v[60:61]
	v_mov_b32_e32 v5, 0xff
	s_mov_b32 s1, exec_lo
	s_delay_alu instid0(VALU_DEP_2) | instskip(NEXT) | instid1(VALU_DEP_1)
	v_bfe_u32 v7, v4, 23, 8
	v_cmpx_ne_u32_e32 0xff, v7
; %bb.246:
	v_and_b32_e32 v5, 0x400000, v4
	v_and_or_b32 v7, 0x3fffff, v4, v7
	v_lshrrev_b32_e32 v4, 23, v4
	s_delay_alu instid0(VALU_DEP_3) | instskip(NEXT) | instid1(VALU_DEP_3)
	v_cmp_ne_u32_e32 vcc_lo, 0, v5
	v_cmp_ne_u32_e64 s0, 0, v7
	s_delay_alu instid0(VALU_DEP_1) | instskip(NEXT) | instid1(SALU_CYCLE_1)
	s_and_b32 s0, vcc_lo, s0
	v_cndmask_b32_e64 v5, 0, 1, s0
	s_delay_alu instid0(VALU_DEP_1)
	v_add_nc_u32_e32 v5, v4, v5
; %bb.247:
	s_or_b32 exec_lo, exec_lo, s1
	s_mov_b32 s0, 0
	s_mov_b32 s3, -1
	global_store_b8 v[2:3], v5, off
.LBB12_248:
	s_mov_b32 s1, 0
.LBB12_249:
	s_delay_alu instid0(SALU_CYCLE_1)
	s_and_b32 vcc_lo, exec_lo, s1
	s_cbranch_vccz .LBB12_252
; %bb.250:
	v_cmp_eq_u16_e32 vcc_lo, 29, v6
	s_mov_b32 s0, -1
	s_cbranch_vccz .LBB12_252
; %bb.251:
	v_trunc_f64_e32 v[4:5], v[60:61]
	s_mov_b32 s0, 0
	s_mov_b32 s3, -1
	s_delay_alu instid0(VALU_DEP_1) | instskip(NEXT) | instid1(VALU_DEP_1)
	v_ldexp_f64 v[7:8], v[4:5], 0xffffffe0
	v_floor_f64_e32 v[7:8], v[7:8]
	s_delay_alu instid0(VALU_DEP_1) | instskip(SKIP_1) | instid1(VALU_DEP_2)
	v_fma_f64 v[4:5], 0xc1f00000, v[7:8], v[4:5]
	v_cvt_u32_f64_e32 v8, v[7:8]
	v_cvt_u32_f64_e32 v7, v[4:5]
	global_store_b64 v[2:3], v[7:8], off
.LBB12_252:
	s_mov_b32 s1, 0
.LBB12_253:
	s_delay_alu instid0(SALU_CYCLE_1)
	s_and_b32 vcc_lo, exec_lo, s1
	s_cbranch_vccz .LBB12_269
; %bb.254:
	v_cmp_gt_i16_e32 vcc_lo, 27, v6
	s_mov_b32 s1, -1
	s_cbranch_vccnz .LBB12_260
; %bb.255:
	v_cmp_lt_i16_e32 vcc_lo, 27, v6
	s_cbranch_vccz .LBB12_257
; %bb.256:
	v_cvt_u32_f64_e32 v4, v[60:61]
	s_mov_b32 s1, 0
	global_store_b32 v[2:3], v4, off
.LBB12_257:
	s_and_not1_b32 vcc_lo, exec_lo, s1
	s_cbranch_vccnz .LBB12_259
; %bb.258:
	v_cvt_u32_f64_e32 v4, v[60:61]
	global_store_b16 v[2:3], v4, off
.LBB12_259:
	s_mov_b32 s1, 0
.LBB12_260:
	s_delay_alu instid0(SALU_CYCLE_1)
	s_and_not1_b32 vcc_lo, exec_lo, s1
	s_cbranch_vccnz .LBB12_268
; %bb.261:
	v_cvt_f32_f64_e32 v4, v[60:61]
	v_mov_b32_e32 v7, 0x80
	s_mov_b32 s1, exec_lo
	s_delay_alu instid0(VALU_DEP_2) | instskip(NEXT) | instid1(VALU_DEP_1)
	v_and_b32_e32 v5, 0x7fffffff, v4
	v_cmpx_gt_u32_e32 0x43800000, v5
	s_cbranch_execz .LBB12_267
; %bb.262:
	v_cmp_lt_u32_e32 vcc_lo, 0x3bffffff, v5
	s_mov_b32 s3, 0
                                        ; implicit-def: $vgpr5
	s_and_saveexec_b32 s4, vcc_lo
	s_delay_alu instid0(SALU_CYCLE_1)
	s_xor_b32 s4, exec_lo, s4
	s_cbranch_execz .LBB12_768
; %bb.263:
	v_bfe_u32 v5, v4, 20, 1
	s_mov_b32 s3, exec_lo
	s_delay_alu instid0(VALU_DEP_1) | instskip(NEXT) | instid1(VALU_DEP_1)
	v_add3_u32 v5, v4, v5, 0x487ffff
	v_lshrrev_b32_e32 v5, 20, v5
	s_or_saveexec_b32 s4, s4
                                        ; implicit-def: $sgpr5
	s_delay_alu instid0(SALU_CYCLE_1)
	s_xor_b32 exec_lo, exec_lo, s4
	s_cbranch_execnz .LBB12_769
.LBB12_264:
	s_or_b32 exec_lo, exec_lo, s4
	v_mov_b32_e32 v7, s5
	s_and_saveexec_b32 s4, s3
.LBB12_265:
	v_lshrrev_b32_e32 v4, 24, v4
	s_delay_alu instid0(VALU_DEP_1)
	v_and_or_b32 v7, 0x80, v4, v5
.LBB12_266:
	s_or_b32 exec_lo, exec_lo, s4
.LBB12_267:
	s_delay_alu instid0(SALU_CYCLE_1)
	s_or_b32 exec_lo, exec_lo, s1
	global_store_b8 v[2:3], v7, off
.LBB12_268:
	s_mov_b32 s3, -1
.LBB12_269:
	s_mov_b32 s1, 0
.LBB12_270:
	s_delay_alu instid0(SALU_CYCLE_1)
	s_and_b32 vcc_lo, exec_lo, s1
	s_cbranch_vccz .LBB12_310
; %bb.271:
	v_cmp_lt_i16_e32 vcc_lo, 22, v6
	s_mov_b32 s1, -1
	s_cbranch_vccz .LBB12_303
; %bb.272:
	v_cmp_gt_i16_e32 vcc_lo, 24, v6
	s_cbranch_vccnz .LBB12_292
; %bb.273:
	v_cmp_lt_i16_e32 vcc_lo, 24, v6
	s_cbranch_vccz .LBB12_281
; %bb.274:
	v_cvt_f32_f64_e32 v4, v[60:61]
	v_mov_b32_e32 v7, 0x80
	s_mov_b32 s1, exec_lo
	s_delay_alu instid0(VALU_DEP_2) | instskip(NEXT) | instid1(VALU_DEP_1)
	v_and_b32_e32 v5, 0x7fffffff, v4
	v_cmpx_gt_u32_e32 0x47800000, v5
	s_cbranch_execz .LBB12_280
; %bb.275:
	v_cmp_lt_u32_e32 vcc_lo, 0x37ffffff, v5
                                        ; implicit-def: $vgpr5
	s_and_saveexec_b32 s3, vcc_lo
	s_delay_alu instid0(SALU_CYCLE_1)
	s_xor_b32 s3, exec_lo, s3
	s_cbranch_execz .LBB12_775
; %bb.276:
	v_bfe_u32 v5, v4, 21, 1
	s_mov_b32 s2, exec_lo
	s_delay_alu instid0(VALU_DEP_1) | instskip(NEXT) | instid1(VALU_DEP_1)
	v_add3_u32 v5, v4, v5, 0x88fffff
	v_lshrrev_b32_e32 v5, 21, v5
	s_or_saveexec_b32 s3, s3
                                        ; implicit-def: $sgpr4
	s_delay_alu instid0(SALU_CYCLE_1)
	s_xor_b32 exec_lo, exec_lo, s3
	s_cbranch_execnz .LBB12_776
.LBB12_277:
	s_or_b32 exec_lo, exec_lo, s3
	v_mov_b32_e32 v7, s4
	s_and_saveexec_b32 s3, s2
.LBB12_278:
	v_lshrrev_b32_e32 v4, 24, v4
	s_delay_alu instid0(VALU_DEP_1)
	v_and_or_b32 v7, 0x80, v4, v5
.LBB12_279:
	s_or_b32 exec_lo, exec_lo, s3
.LBB12_280:
	s_delay_alu instid0(SALU_CYCLE_1)
	s_or_b32 exec_lo, exec_lo, s1
	s_mov_b32 s1, 0
	global_store_b8 v[2:3], v7, off
.LBB12_281:
	s_and_b32 vcc_lo, exec_lo, s1
	s_cbranch_vccz .LBB12_291
; %bb.282:
	v_cvt_f32_f64_e32 v4, v[60:61]
	s_mov_b32 s1, exec_lo
                                        ; implicit-def: $vgpr5
	s_delay_alu instid0(VALU_DEP_1) | instskip(NEXT) | instid1(VALU_DEP_1)
	v_and_b32_e32 v7, 0x7fffffff, v4
	v_cmpx_gt_u32_e32 0x43f00000, v7
	s_xor_b32 s1, exec_lo, s1
	s_cbranch_execz .LBB12_288
; %bb.283:
	s_mov_b32 s2, exec_lo
                                        ; implicit-def: $vgpr5
	v_cmpx_lt_u32_e32 0x3c7fffff, v7
	s_xor_b32 s2, exec_lo, s2
; %bb.284:
	v_bfe_u32 v5, v4, 20, 1
	s_delay_alu instid0(VALU_DEP_1) | instskip(NEXT) | instid1(VALU_DEP_1)
	v_add3_u32 v5, v4, v5, 0x407ffff
	v_and_b32_e32 v7, 0xff00000, v5
	v_lshrrev_b32_e32 v5, 20, v5
	s_delay_alu instid0(VALU_DEP_2) | instskip(NEXT) | instid1(VALU_DEP_2)
	v_cmp_ne_u32_e32 vcc_lo, 0x7f00000, v7
	v_cndmask_b32_e32 v5, 0x7e, v5, vcc_lo
; %bb.285:
	s_and_not1_saveexec_b32 s2, s2
; %bb.286:
	v_add_f32_e64 v5, 0x46800000, |v4|
; %bb.287:
	s_or_b32 exec_lo, exec_lo, s2
                                        ; implicit-def: $vgpr7
.LBB12_288:
	s_and_not1_saveexec_b32 s1, s1
; %bb.289:
	v_mov_b32_e32 v5, 0x7f
	v_cmp_lt_u32_e32 vcc_lo, 0x7f800000, v7
	s_delay_alu instid0(VALU_DEP_2)
	v_cndmask_b32_e32 v5, 0x7e, v5, vcc_lo
; %bb.290:
	s_or_b32 exec_lo, exec_lo, s1
	v_lshrrev_b32_e32 v4, 24, v4
	s_delay_alu instid0(VALU_DEP_1)
	v_and_or_b32 v4, 0x80, v4, v5
	global_store_b8 v[2:3], v4, off
.LBB12_291:
	s_mov_b32 s1, 0
.LBB12_292:
	s_delay_alu instid0(SALU_CYCLE_1)
	s_and_not1_b32 vcc_lo, exec_lo, s1
	s_cbranch_vccnz .LBB12_302
; %bb.293:
	v_cvt_f32_f64_e32 v4, v[60:61]
	s_mov_b32 s1, exec_lo
                                        ; implicit-def: $vgpr5
	s_delay_alu instid0(VALU_DEP_1) | instskip(NEXT) | instid1(VALU_DEP_1)
	v_and_b32_e32 v7, 0x7fffffff, v4
	v_cmpx_gt_u32_e32 0x47800000, v7
	s_xor_b32 s1, exec_lo, s1
	s_cbranch_execz .LBB12_299
; %bb.294:
	s_mov_b32 s2, exec_lo
                                        ; implicit-def: $vgpr5
	v_cmpx_lt_u32_e32 0x387fffff, v7
	s_xor_b32 s2, exec_lo, s2
; %bb.295:
	v_bfe_u32 v5, v4, 21, 1
	s_delay_alu instid0(VALU_DEP_1) | instskip(NEXT) | instid1(VALU_DEP_1)
	v_add3_u32 v5, v4, v5, 0x80fffff
	v_lshrrev_b32_e32 v5, 21, v5
; %bb.296:
	s_and_not1_saveexec_b32 s2, s2
; %bb.297:
	v_add_f32_e64 v5, 0x43000000, |v4|
; %bb.298:
	s_or_b32 exec_lo, exec_lo, s2
                                        ; implicit-def: $vgpr7
.LBB12_299:
	s_and_not1_saveexec_b32 s1, s1
; %bb.300:
	v_mov_b32_e32 v5, 0x7f
	v_cmp_lt_u32_e32 vcc_lo, 0x7f800000, v7
	s_delay_alu instid0(VALU_DEP_2)
	v_cndmask_b32_e32 v5, 0x7c, v5, vcc_lo
; %bb.301:
	s_or_b32 exec_lo, exec_lo, s1
	v_lshrrev_b32_e32 v4, 24, v4
	s_delay_alu instid0(VALU_DEP_1)
	v_and_or_b32 v4, 0x80, v4, v5
	global_store_b8 v[2:3], v4, off
.LBB12_302:
	s_mov_b32 s1, 0
	s_mov_b32 s3, -1
.LBB12_303:
	s_and_not1_b32 vcc_lo, exec_lo, s1
	s_mov_b32 s2, 0
	s_cbranch_vccnz .LBB12_310
; %bb.304:
	v_cmp_lt_i16_e32 vcc_lo, 14, v6
	s_mov_b32 s1, -1
	s_cbranch_vccz .LBB12_308
; %bb.305:
	v_cmp_eq_u16_e32 vcc_lo, 15, v6
	s_mov_b32 s0, -1
	s_cbranch_vccz .LBB12_307
; %bb.306:
	v_cvt_f32_f64_e32 v4, v[60:61]
	s_mov_b32 s0, 0
	s_mov_b32 s3, -1
	s_delay_alu instid0(VALU_DEP_1) | instskip(SKIP_1) | instid1(VALU_DEP_2)
	v_bfe_u32 v5, v4, 16, 1
	v_cmp_o_f32_e32 vcc_lo, v4, v4
	v_add3_u32 v5, v4, v5, 0x7fff
	s_delay_alu instid0(VALU_DEP_1) | instskip(NEXT) | instid1(VALU_DEP_1)
	v_lshrrev_b32_e32 v5, 16, v5
	v_cndmask_b32_e32 v4, 0x7fc0, v5, vcc_lo
	global_store_b16 v[2:3], v4, off
.LBB12_307:
	s_mov_b32 s1, 0
.LBB12_308:
	s_delay_alu instid0(SALU_CYCLE_1)
	s_and_b32 vcc_lo, exec_lo, s1
	s_cbranch_vccz .LBB12_310
; %bb.309:
	v_cmp_ne_u16_e64 s0, 11, v6
	s_mov_b32 s2, -1
.LBB12_310:
	s_delay_alu instid0(VALU_DEP_1)
	s_and_b32 vcc_lo, exec_lo, s0
	s_mov_b32 s1, s44
	s_cbranch_vccnz .LBB12_770
; %bb.311:
	s_and_not1_b32 vcc_lo, exec_lo, s2
	s_cbranch_vccnz .LBB12_313
.LBB12_312:
	v_cmp_neq_f64_e32 vcc_lo, 0, v[60:61]
	s_mov_b32 s3, -1
	v_cndmask_b32_e64 v4, 0, 1, vcc_lo
	global_store_b8 v[2:3], v4, off
.LBB12_313:
	s_mov_b32 s0, 0
.LBB12_314:
	s_delay_alu instid0(SALU_CYCLE_1)
	s_and_b32 vcc_lo, exec_lo, s0
	s_cbranch_vccz .LBB12_353
; %bb.315:
	v_cmp_gt_i16_e32 vcc_lo, 5, v6
	s_mov_b32 s0, -1
	s_cbranch_vccnz .LBB12_336
; %bb.316:
	v_cmp_gt_i16_e32 vcc_lo, 8, v6
	s_cbranch_vccnz .LBB12_326
; %bb.317:
	v_cmp_gt_i16_e32 vcc_lo, 9, v6
	s_cbranch_vccnz .LBB12_323
; %bb.318:
	v_cmp_lt_i16_e32 vcc_lo, 9, v6
	s_cbranch_vccz .LBB12_320
; %bb.319:
	v_mov_b32_e32 v62, 0
	s_mov_b32 s0, 0
	s_delay_alu instid0(VALU_DEP_1)
	v_mov_b32_e32 v63, v62
	global_store_b128 v[2:3], v[60:63], off
.LBB12_320:
	s_and_not1_b32 vcc_lo, exec_lo, s0
	s_cbranch_vccnz .LBB12_322
; %bb.321:
	v_cvt_f32_f64_e32 v4, v[60:61]
	v_mov_b32_e32 v5, 0
	global_store_b64 v[2:3], v[4:5], off
.LBB12_322:
	s_mov_b32 s0, 0
.LBB12_323:
	s_delay_alu instid0(SALU_CYCLE_1)
	s_and_not1_b32 vcc_lo, exec_lo, s0
	s_cbranch_vccnz .LBB12_325
; %bb.324:
	v_cvt_f32_f64_e32 v4, v[60:61]
	s_delay_alu instid0(VALU_DEP_1) | instskip(NEXT) | instid1(VALU_DEP_1)
	v_cvt_f16_f32_e32 v4, v4
	v_and_b32_e32 v4, 0xffff, v4
	global_store_b32 v[2:3], v4, off
.LBB12_325:
	s_mov_b32 s0, 0
.LBB12_326:
	s_delay_alu instid0(SALU_CYCLE_1)
	s_and_not1_b32 vcc_lo, exec_lo, s0
	s_cbranch_vccnz .LBB12_335
; %bb.327:
	v_cmp_gt_i16_e32 vcc_lo, 6, v6
	s_mov_b32 s0, -1
	s_cbranch_vccnz .LBB12_333
; %bb.328:
	v_cmp_lt_i16_e32 vcc_lo, 6, v6
	s_cbranch_vccz .LBB12_330
; %bb.329:
	s_mov_b32 s0, 0
	global_store_b64 v[2:3], v[60:61], off
.LBB12_330:
	s_and_not1_b32 vcc_lo, exec_lo, s0
	s_cbranch_vccnz .LBB12_332
; %bb.331:
	v_cvt_f32_f64_e32 v4, v[60:61]
	global_store_b32 v[2:3], v4, off
.LBB12_332:
	s_mov_b32 s0, 0
.LBB12_333:
	s_delay_alu instid0(SALU_CYCLE_1)
	s_and_not1_b32 vcc_lo, exec_lo, s0
	s_cbranch_vccnz .LBB12_335
; %bb.334:
	v_cvt_f32_f64_e32 v4, v[60:61]
	s_delay_alu instid0(VALU_DEP_1)
	v_cvt_f16_f32_e32 v4, v4
	global_store_b16 v[2:3], v4, off
.LBB12_335:
	s_mov_b32 s0, 0
.LBB12_336:
	s_delay_alu instid0(SALU_CYCLE_1)
	s_and_not1_b32 vcc_lo, exec_lo, s0
	s_cbranch_vccnz .LBB12_352
; %bb.337:
	v_cmp_gt_i16_e32 vcc_lo, 2, v6
	s_mov_b32 s0, -1
	s_cbranch_vccnz .LBB12_347
; %bb.338:
	v_cmp_gt_i16_e32 vcc_lo, 3, v6
	s_cbranch_vccnz .LBB12_344
; %bb.339:
	v_cmp_lt_i16_e32 vcc_lo, 3, v6
	s_cbranch_vccz .LBB12_341
; %bb.340:
	v_trunc_f64_e32 v[4:5], v[60:61]
	s_mov_b32 s0, 0
	s_delay_alu instid0(VALU_DEP_1) | instskip(NEXT) | instid1(VALU_DEP_1)
	v_ldexp_f64 v[7:8], v[4:5], 0xffffffe0
	v_floor_f64_e32 v[7:8], v[7:8]
	s_delay_alu instid0(VALU_DEP_1) | instskip(SKIP_1) | instid1(VALU_DEP_2)
	v_fma_f64 v[4:5], 0xc1f00000, v[7:8], v[4:5]
	v_cvt_i32_f64_e32 v8, v[7:8]
	v_cvt_u32_f64_e32 v7, v[4:5]
	global_store_b64 v[2:3], v[7:8], off
.LBB12_341:
	s_and_not1_b32 vcc_lo, exec_lo, s0
	s_cbranch_vccnz .LBB12_343
; %bb.342:
	v_cvt_i32_f64_e32 v4, v[60:61]
	global_store_b32 v[2:3], v4, off
.LBB12_343:
	s_mov_b32 s0, 0
.LBB12_344:
	s_delay_alu instid0(SALU_CYCLE_1)
	s_and_not1_b32 vcc_lo, exec_lo, s0
	s_cbranch_vccnz .LBB12_346
; %bb.345:
	v_cvt_i32_f64_e32 v4, v[60:61]
	global_store_b16 v[2:3], v4, off
.LBB12_346:
	s_mov_b32 s0, 0
.LBB12_347:
	s_delay_alu instid0(SALU_CYCLE_1)
	s_and_not1_b32 vcc_lo, exec_lo, s0
	s_cbranch_vccnz .LBB12_352
; %bb.348:
	v_cmp_lt_i16_e32 vcc_lo, 0, v6
	s_mov_b32 s0, -1
	s_cbranch_vccz .LBB12_350
; %bb.349:
	v_cvt_i32_f64_e32 v4, v[60:61]
	s_mov_b32 s0, 0
	global_store_b8 v[2:3], v4, off
.LBB12_350:
	s_and_not1_b32 vcc_lo, exec_lo, s0
	s_cbranch_vccnz .LBB12_352
; %bb.351:
	v_trunc_f64_e32 v[4:5], v[60:61]
	s_delay_alu instid0(VALU_DEP_1) | instskip(NEXT) | instid1(VALU_DEP_1)
	v_ldexp_f64 v[7:8], v[4:5], 0xffffffe0
	v_floor_f64_e32 v[7:8], v[7:8]
	s_delay_alu instid0(VALU_DEP_1) | instskip(NEXT) | instid1(VALU_DEP_1)
	v_fma_f64 v[4:5], 0xc1f00000, v[7:8], v[4:5]
	v_cvt_u32_f64_e32 v4, v[4:5]
	global_store_b8 v[2:3], v4, off
.LBB12_352:
	s_mov_b32 s3, -1
.LBB12_353:
	s_delay_alu instid0(SALU_CYCLE_1)
	s_and_not1_b32 vcc_lo, exec_lo, s3
	s_cbranch_vccnz .LBB12_666
; %bb.354:
	v_cmp_gt_i16_e32 vcc_lo, 11, v6
	v_add_co_u32 v2, s0, s40, v74
	s_delay_alu instid0(VALU_DEP_1)
	v_add_co_ci_u32_e64 v3, null, s41, 0, s0
	s_mov_b32 s3, 0
	s_mov_b32 s0, -1
	s_cbranch_vccnz .LBB12_432
; %bb.355:
	v_cmp_lt_i16_e32 vcc_lo, 25, v6
	s_mov_b32 s4, -1
	s_mov_b32 s2, 0
	s_mov_b32 s0, 0
	s_cbranch_vccz .LBB12_388
; %bb.356:
	v_cmp_lt_i16_e32 vcc_lo, 28, v6
	s_cbranch_vccz .LBB12_371
; %bb.357:
	v_cmp_lt_i16_e32 vcc_lo, 43, v6
	;; [unrolled: 3-line block ×3, first 2 shown]
	s_cbranch_vccz .LBB12_361
; %bb.359:
	v_cmp_eq_u16_e32 vcc_lo, 46, v6
	s_mov_b32 s0, -1
	s_mov_b32 s4, 0
	s_cbranch_vccz .LBB12_361
; %bb.360:
	v_cvt_f32_f64_e32 v4, v[58:59]
	s_mov_b32 s0, 0
	s_mov_b32 s3, -1
	s_delay_alu instid0(VALU_DEP_1) | instskip(SKIP_1) | instid1(VALU_DEP_2)
	v_bfe_u32 v5, v4, 16, 1
	v_cmp_o_f32_e32 vcc_lo, v4, v4
	v_add3_u32 v5, v4, v5, 0x7fff
	s_delay_alu instid0(VALU_DEP_1) | instskip(NEXT) | instid1(VALU_DEP_1)
	v_lshrrev_b32_e32 v5, 16, v5
	v_cndmask_b32_e32 v4, 0x7fc0, v5, vcc_lo
	global_store_b32 v[2:3], v4, off
.LBB12_361:
	s_and_b32 vcc_lo, exec_lo, s4
	s_cbranch_vccz .LBB12_366
; %bb.362:
	v_cmp_eq_u16_e32 vcc_lo, 44, v6
	s_mov_b32 s0, -1
	s_cbranch_vccz .LBB12_366
; %bb.363:
	v_cvt_f32_f64_e32 v4, v[58:59]
	v_mov_b32_e32 v5, 0xff
	s_mov_b32 s3, exec_lo
	s_delay_alu instid0(VALU_DEP_2) | instskip(NEXT) | instid1(VALU_DEP_1)
	v_bfe_u32 v7, v4, 23, 8
	v_cmpx_ne_u32_e32 0xff, v7
; %bb.364:
	v_and_b32_e32 v5, 0x400000, v4
	v_and_or_b32 v7, 0x3fffff, v4, v7
	v_lshrrev_b32_e32 v4, 23, v4
	s_delay_alu instid0(VALU_DEP_3) | instskip(NEXT) | instid1(VALU_DEP_3)
	v_cmp_ne_u32_e32 vcc_lo, 0, v5
	v_cmp_ne_u32_e64 s0, 0, v7
	s_delay_alu instid0(VALU_DEP_1) | instskip(NEXT) | instid1(SALU_CYCLE_1)
	s_and_b32 s0, vcc_lo, s0
	v_cndmask_b32_e64 v5, 0, 1, s0
	s_delay_alu instid0(VALU_DEP_1)
	v_add_nc_u32_e32 v5, v4, v5
; %bb.365:
	s_or_b32 exec_lo, exec_lo, s3
	s_mov_b32 s0, 0
	s_mov_b32 s3, -1
	global_store_b8 v[2:3], v5, off
.LBB12_366:
	s_mov_b32 s4, 0
.LBB12_367:
	s_delay_alu instid0(SALU_CYCLE_1)
	s_and_b32 vcc_lo, exec_lo, s4
	s_cbranch_vccz .LBB12_370
; %bb.368:
	v_cmp_eq_u16_e32 vcc_lo, 29, v6
	s_mov_b32 s0, -1
	s_cbranch_vccz .LBB12_370
; %bb.369:
	v_trunc_f64_e32 v[4:5], v[58:59]
	s_mov_b32 s0, 0
	s_mov_b32 s3, -1
	s_delay_alu instid0(VALU_DEP_1) | instskip(NEXT) | instid1(VALU_DEP_1)
	v_ldexp_f64 v[7:8], v[4:5], 0xffffffe0
	v_floor_f64_e32 v[7:8], v[7:8]
	s_delay_alu instid0(VALU_DEP_1) | instskip(SKIP_1) | instid1(VALU_DEP_2)
	v_fma_f64 v[4:5], 0xc1f00000, v[7:8], v[4:5]
	v_cvt_u32_f64_e32 v8, v[7:8]
	v_cvt_u32_f64_e32 v7, v[4:5]
	global_store_b64 v[2:3], v[7:8], off
.LBB12_370:
	s_mov_b32 s4, 0
.LBB12_371:
	s_delay_alu instid0(SALU_CYCLE_1)
	s_and_b32 vcc_lo, exec_lo, s4
	s_cbranch_vccz .LBB12_387
; %bb.372:
	v_cmp_gt_i16_e32 vcc_lo, 27, v6
	s_mov_b32 s3, -1
	s_cbranch_vccnz .LBB12_378
; %bb.373:
	v_cvt_u32_f64_e32 v4, v[58:59]
	v_cmp_lt_i16_e32 vcc_lo, 27, v6
	s_cbranch_vccz .LBB12_375
; %bb.374:
	s_mov_b32 s3, 0
	global_store_b32 v[2:3], v4, off
.LBB12_375:
	s_and_not1_b32 vcc_lo, exec_lo, s3
	s_cbranch_vccnz .LBB12_377
; %bb.376:
	global_store_b16 v[2:3], v4, off
.LBB12_377:
	s_mov_b32 s3, 0
.LBB12_378:
	s_delay_alu instid0(SALU_CYCLE_1)
	s_and_not1_b32 vcc_lo, exec_lo, s3
	s_cbranch_vccnz .LBB12_386
; %bb.379:
	v_cvt_f32_f64_e32 v4, v[58:59]
	v_mov_b32_e32 v7, 0x80
	s_mov_b32 s3, exec_lo
	s_delay_alu instid0(VALU_DEP_2) | instskip(NEXT) | instid1(VALU_DEP_1)
	v_and_b32_e32 v5, 0x7fffffff, v4
	v_cmpx_gt_u32_e32 0x43800000, v5
	s_cbranch_execz .LBB12_385
; %bb.380:
	v_cmp_lt_u32_e32 vcc_lo, 0x3bffffff, v5
	s_mov_b32 s4, 0
                                        ; implicit-def: $vgpr5
	s_and_saveexec_b32 s5, vcc_lo
	s_delay_alu instid0(SALU_CYCLE_1)
	s_xor_b32 s5, exec_lo, s5
	s_cbranch_execz .LBB12_777
; %bb.381:
	v_bfe_u32 v5, v4, 20, 1
	s_mov_b32 s4, exec_lo
	s_delay_alu instid0(VALU_DEP_1) | instskip(NEXT) | instid1(VALU_DEP_1)
	v_add3_u32 v5, v4, v5, 0x487ffff
	v_lshrrev_b32_e32 v5, 20, v5
	s_or_saveexec_b32 s5, s5
                                        ; implicit-def: $sgpr6
	s_delay_alu instid0(SALU_CYCLE_1)
	s_xor_b32 exec_lo, exec_lo, s5
	s_cbranch_execnz .LBB12_778
.LBB12_382:
	s_or_b32 exec_lo, exec_lo, s5
	v_mov_b32_e32 v7, s6
	s_and_saveexec_b32 s5, s4
.LBB12_383:
	v_lshrrev_b32_e32 v4, 24, v4
	s_delay_alu instid0(VALU_DEP_1)
	v_and_or_b32 v7, 0x80, v4, v5
.LBB12_384:
	s_or_b32 exec_lo, exec_lo, s5
.LBB12_385:
	s_delay_alu instid0(SALU_CYCLE_1)
	s_or_b32 exec_lo, exec_lo, s3
	global_store_b8 v[2:3], v7, off
.LBB12_386:
	s_mov_b32 s3, -1
.LBB12_387:
	s_mov_b32 s4, 0
.LBB12_388:
	s_delay_alu instid0(SALU_CYCLE_1)
	s_and_b32 vcc_lo, exec_lo, s4
	s_cbranch_vccz .LBB12_428
; %bb.389:
	v_cmp_lt_i16_e32 vcc_lo, 22, v6
	s_mov_b32 s2, -1
	s_cbranch_vccz .LBB12_421
; %bb.390:
	v_cmp_gt_i16_e32 vcc_lo, 24, v6
	s_cbranch_vccnz .LBB12_410
; %bb.391:
	v_cmp_lt_i16_e32 vcc_lo, 24, v6
	s_cbranch_vccz .LBB12_399
; %bb.392:
	v_cvt_f32_f64_e32 v4, v[58:59]
	v_mov_b32_e32 v7, 0x80
	s_mov_b32 s2, exec_lo
	s_delay_alu instid0(VALU_DEP_2) | instskip(NEXT) | instid1(VALU_DEP_1)
	v_and_b32_e32 v5, 0x7fffffff, v4
	v_cmpx_gt_u32_e32 0x47800000, v5
	s_cbranch_execz .LBB12_398
; %bb.393:
	v_cmp_lt_u32_e32 vcc_lo, 0x37ffffff, v5
	s_mov_b32 s3, 0
                                        ; implicit-def: $vgpr5
	s_and_saveexec_b32 s4, vcc_lo
	s_delay_alu instid0(SALU_CYCLE_1)
	s_xor_b32 s4, exec_lo, s4
	s_cbranch_execz .LBB12_925
; %bb.394:
	v_bfe_u32 v5, v4, 21, 1
	s_mov_b32 s3, exec_lo
	s_delay_alu instid0(VALU_DEP_1) | instskip(NEXT) | instid1(VALU_DEP_1)
	v_add3_u32 v5, v4, v5, 0x88fffff
	v_lshrrev_b32_e32 v5, 21, v5
	s_or_saveexec_b32 s4, s4
                                        ; implicit-def: $sgpr5
	s_delay_alu instid0(SALU_CYCLE_1)
	s_xor_b32 exec_lo, exec_lo, s4
	s_cbranch_execnz .LBB12_926
.LBB12_395:
	s_or_b32 exec_lo, exec_lo, s4
	v_mov_b32_e32 v7, s5
	s_and_saveexec_b32 s4, s3
.LBB12_396:
	v_lshrrev_b32_e32 v4, 24, v4
	s_delay_alu instid0(VALU_DEP_1)
	v_and_or_b32 v7, 0x80, v4, v5
.LBB12_397:
	s_or_b32 exec_lo, exec_lo, s4
.LBB12_398:
	s_delay_alu instid0(SALU_CYCLE_1)
	s_or_b32 exec_lo, exec_lo, s2
	s_mov_b32 s2, 0
	global_store_b8 v[2:3], v7, off
.LBB12_399:
	s_and_b32 vcc_lo, exec_lo, s2
	s_cbranch_vccz .LBB12_409
; %bb.400:
	v_cvt_f32_f64_e32 v4, v[58:59]
	s_mov_b32 s2, exec_lo
                                        ; implicit-def: $vgpr5
	s_delay_alu instid0(VALU_DEP_1) | instskip(NEXT) | instid1(VALU_DEP_1)
	v_and_b32_e32 v7, 0x7fffffff, v4
	v_cmpx_gt_u32_e32 0x43f00000, v7
	s_xor_b32 s2, exec_lo, s2
	s_cbranch_execz .LBB12_406
; %bb.401:
	s_mov_b32 s3, exec_lo
                                        ; implicit-def: $vgpr5
	v_cmpx_lt_u32_e32 0x3c7fffff, v7
	s_xor_b32 s3, exec_lo, s3
; %bb.402:
	v_bfe_u32 v5, v4, 20, 1
	s_delay_alu instid0(VALU_DEP_1) | instskip(NEXT) | instid1(VALU_DEP_1)
	v_add3_u32 v5, v4, v5, 0x407ffff
	v_and_b32_e32 v7, 0xff00000, v5
	v_lshrrev_b32_e32 v5, 20, v5
	s_delay_alu instid0(VALU_DEP_2) | instskip(NEXT) | instid1(VALU_DEP_2)
	v_cmp_ne_u32_e32 vcc_lo, 0x7f00000, v7
	v_cndmask_b32_e32 v5, 0x7e, v5, vcc_lo
; %bb.403:
	s_and_not1_saveexec_b32 s3, s3
; %bb.404:
	v_add_f32_e64 v5, 0x46800000, |v4|
; %bb.405:
	s_or_b32 exec_lo, exec_lo, s3
                                        ; implicit-def: $vgpr7
.LBB12_406:
	s_and_not1_saveexec_b32 s2, s2
; %bb.407:
	v_mov_b32_e32 v5, 0x7f
	v_cmp_lt_u32_e32 vcc_lo, 0x7f800000, v7
	s_delay_alu instid0(VALU_DEP_2)
	v_cndmask_b32_e32 v5, 0x7e, v5, vcc_lo
; %bb.408:
	s_or_b32 exec_lo, exec_lo, s2
	v_lshrrev_b32_e32 v4, 24, v4
	s_delay_alu instid0(VALU_DEP_1)
	v_and_or_b32 v4, 0x80, v4, v5
	global_store_b8 v[2:3], v4, off
.LBB12_409:
	s_mov_b32 s2, 0
.LBB12_410:
	s_delay_alu instid0(SALU_CYCLE_1)
	s_and_not1_b32 vcc_lo, exec_lo, s2
	s_cbranch_vccnz .LBB12_420
; %bb.411:
	v_cvt_f32_f64_e32 v4, v[58:59]
	s_mov_b32 s2, exec_lo
                                        ; implicit-def: $vgpr5
	s_delay_alu instid0(VALU_DEP_1) | instskip(NEXT) | instid1(VALU_DEP_1)
	v_and_b32_e32 v7, 0x7fffffff, v4
	v_cmpx_gt_u32_e32 0x47800000, v7
	s_xor_b32 s2, exec_lo, s2
	s_cbranch_execz .LBB12_417
; %bb.412:
	s_mov_b32 s3, exec_lo
                                        ; implicit-def: $vgpr5
	v_cmpx_lt_u32_e32 0x387fffff, v7
	s_xor_b32 s3, exec_lo, s3
; %bb.413:
	v_bfe_u32 v5, v4, 21, 1
	s_delay_alu instid0(VALU_DEP_1) | instskip(NEXT) | instid1(VALU_DEP_1)
	v_add3_u32 v5, v4, v5, 0x80fffff
	v_lshrrev_b32_e32 v5, 21, v5
; %bb.414:
	s_and_not1_saveexec_b32 s3, s3
; %bb.415:
	v_add_f32_e64 v5, 0x43000000, |v4|
; %bb.416:
	s_or_b32 exec_lo, exec_lo, s3
                                        ; implicit-def: $vgpr7
.LBB12_417:
	s_and_not1_saveexec_b32 s2, s2
; %bb.418:
	v_mov_b32_e32 v5, 0x7f
	v_cmp_lt_u32_e32 vcc_lo, 0x7f800000, v7
	s_delay_alu instid0(VALU_DEP_2)
	v_cndmask_b32_e32 v5, 0x7c, v5, vcc_lo
; %bb.419:
	s_or_b32 exec_lo, exec_lo, s2
	v_lshrrev_b32_e32 v4, 24, v4
	s_delay_alu instid0(VALU_DEP_1)
	v_and_or_b32 v4, 0x80, v4, v5
	global_store_b8 v[2:3], v4, off
.LBB12_420:
	s_mov_b32 s2, 0
	s_mov_b32 s3, -1
.LBB12_421:
	s_and_not1_b32 vcc_lo, exec_lo, s2
	s_mov_b32 s2, 0
	s_cbranch_vccnz .LBB12_428
; %bb.422:
	v_cmp_lt_i16_e32 vcc_lo, 14, v6
	s_mov_b32 s2, -1
	s_cbranch_vccz .LBB12_426
; %bb.423:
	v_cmp_eq_u16_e32 vcc_lo, 15, v6
	s_mov_b32 s0, -1
	s_cbranch_vccz .LBB12_425
; %bb.424:
	v_cvt_f32_f64_e32 v4, v[58:59]
	s_mov_b32 s0, 0
	s_mov_b32 s3, -1
	s_delay_alu instid0(VALU_DEP_1) | instskip(SKIP_1) | instid1(VALU_DEP_2)
	v_bfe_u32 v5, v4, 16, 1
	v_cmp_o_f32_e32 vcc_lo, v4, v4
	v_add3_u32 v5, v4, v5, 0x7fff
	s_delay_alu instid0(VALU_DEP_1) | instskip(NEXT) | instid1(VALU_DEP_1)
	v_lshrrev_b32_e32 v5, 16, v5
	v_cndmask_b32_e32 v4, 0x7fc0, v5, vcc_lo
	global_store_b16 v[2:3], v4, off
.LBB12_425:
	s_mov_b32 s2, 0
.LBB12_426:
	s_delay_alu instid0(SALU_CYCLE_1)
	s_and_b32 vcc_lo, exec_lo, s2
	s_mov_b32 s2, 0
	s_cbranch_vccz .LBB12_428
; %bb.427:
	v_cmp_ne_u16_e64 s0, 11, v6
	s_mov_b32 s2, -1
.LBB12_428:
	s_delay_alu instid0(VALU_DEP_1)
	s_and_b32 vcc_lo, exec_lo, s0
	s_cbranch_vccnz .LBB12_781
; %bb.429:
	s_and_not1_b32 vcc_lo, exec_lo, s2
	s_cbranch_vccnz .LBB12_431
.LBB12_430:
	v_cmp_neq_f64_e32 vcc_lo, 0, v[58:59]
	s_mov_b32 s3, -1
	v_cndmask_b32_e64 v4, 0, 1, vcc_lo
	global_store_b8 v[2:3], v4, off
.LBB12_431:
	s_mov_b32 s0, 0
.LBB12_432:
	s_delay_alu instid0(SALU_CYCLE_1)
	s_and_b32 vcc_lo, exec_lo, s0
	s_cbranch_vccz .LBB12_471
; %bb.433:
	v_cmp_gt_i16_e32 vcc_lo, 5, v6
	s_mov_b32 s0, -1
	s_cbranch_vccnz .LBB12_454
; %bb.434:
	v_cmp_gt_i16_e32 vcc_lo, 8, v6
	s_cbranch_vccnz .LBB12_444
; %bb.435:
	v_cmp_gt_i16_e32 vcc_lo, 9, v6
	s_cbranch_vccnz .LBB12_441
; %bb.436:
	v_cmp_lt_i16_e32 vcc_lo, 9, v6
	s_cbranch_vccz .LBB12_438
; %bb.437:
	v_mov_b32_e32 v60, 0
	s_mov_b32 s0, 0
	s_delay_alu instid0(VALU_DEP_1)
	v_mov_b32_e32 v61, v60
	global_store_b128 v[2:3], v[58:61], off
.LBB12_438:
	s_and_not1_b32 vcc_lo, exec_lo, s0
	s_cbranch_vccnz .LBB12_440
; %bb.439:
	v_cvt_f32_f64_e32 v4, v[58:59]
	v_mov_b32_e32 v5, 0
	global_store_b64 v[2:3], v[4:5], off
.LBB12_440:
	s_mov_b32 s0, 0
.LBB12_441:
	s_delay_alu instid0(SALU_CYCLE_1)
	s_and_not1_b32 vcc_lo, exec_lo, s0
	s_cbranch_vccnz .LBB12_443
; %bb.442:
	v_cvt_f32_f64_e32 v4, v[58:59]
	s_delay_alu instid0(VALU_DEP_1) | instskip(NEXT) | instid1(VALU_DEP_1)
	v_cvt_f16_f32_e32 v4, v4
	v_and_b32_e32 v4, 0xffff, v4
	global_store_b32 v[2:3], v4, off
.LBB12_443:
	s_mov_b32 s0, 0
.LBB12_444:
	s_delay_alu instid0(SALU_CYCLE_1)
	s_and_not1_b32 vcc_lo, exec_lo, s0
	s_cbranch_vccnz .LBB12_453
; %bb.445:
	v_cmp_gt_i16_e32 vcc_lo, 6, v6
	s_mov_b32 s0, -1
	s_cbranch_vccnz .LBB12_451
; %bb.446:
	v_cmp_lt_i16_e32 vcc_lo, 6, v6
	s_cbranch_vccz .LBB12_448
; %bb.447:
	s_mov_b32 s0, 0
	global_store_b64 v[2:3], v[58:59], off
.LBB12_448:
	s_and_not1_b32 vcc_lo, exec_lo, s0
	s_cbranch_vccnz .LBB12_450
; %bb.449:
	v_cvt_f32_f64_e32 v4, v[58:59]
	global_store_b32 v[2:3], v4, off
.LBB12_450:
	s_mov_b32 s0, 0
.LBB12_451:
	s_delay_alu instid0(SALU_CYCLE_1)
	s_and_not1_b32 vcc_lo, exec_lo, s0
	s_cbranch_vccnz .LBB12_453
; %bb.452:
	v_cvt_f32_f64_e32 v4, v[58:59]
	s_delay_alu instid0(VALU_DEP_1)
	v_cvt_f16_f32_e32 v4, v4
	global_store_b16 v[2:3], v4, off
.LBB12_453:
	s_mov_b32 s0, 0
.LBB12_454:
	s_delay_alu instid0(SALU_CYCLE_1)
	s_and_not1_b32 vcc_lo, exec_lo, s0
	s_cbranch_vccnz .LBB12_470
; %bb.455:
	v_cmp_gt_i16_e32 vcc_lo, 2, v6
	s_mov_b32 s0, -1
	s_cbranch_vccnz .LBB12_465
; %bb.456:
	v_cmp_gt_i16_e32 vcc_lo, 3, v6
	s_cbranch_vccnz .LBB12_462
; %bb.457:
	v_cmp_lt_i16_e32 vcc_lo, 3, v6
	s_cbranch_vccz .LBB12_459
; %bb.458:
	v_trunc_f64_e32 v[4:5], v[58:59]
	s_mov_b32 s0, 0
	s_delay_alu instid0(VALU_DEP_1) | instskip(NEXT) | instid1(VALU_DEP_1)
	v_ldexp_f64 v[7:8], v[4:5], 0xffffffe0
	v_floor_f64_e32 v[7:8], v[7:8]
	s_delay_alu instid0(VALU_DEP_1) | instskip(SKIP_1) | instid1(VALU_DEP_2)
	v_fma_f64 v[4:5], 0xc1f00000, v[7:8], v[4:5]
	v_cvt_i32_f64_e32 v8, v[7:8]
	v_cvt_u32_f64_e32 v7, v[4:5]
	global_store_b64 v[2:3], v[7:8], off
.LBB12_459:
	s_and_not1_b32 vcc_lo, exec_lo, s0
	s_cbranch_vccnz .LBB12_461
; %bb.460:
	v_cvt_i32_f64_e32 v4, v[58:59]
	global_store_b32 v[2:3], v4, off
.LBB12_461:
	s_mov_b32 s0, 0
.LBB12_462:
	s_delay_alu instid0(SALU_CYCLE_1)
	s_and_not1_b32 vcc_lo, exec_lo, s0
	s_cbranch_vccnz .LBB12_464
; %bb.463:
	v_cvt_i32_f64_e32 v4, v[58:59]
	global_store_b16 v[2:3], v4, off
.LBB12_464:
	s_mov_b32 s0, 0
.LBB12_465:
	s_delay_alu instid0(SALU_CYCLE_1)
	s_and_not1_b32 vcc_lo, exec_lo, s0
	s_cbranch_vccnz .LBB12_470
; %bb.466:
	v_cmp_lt_i16_e32 vcc_lo, 0, v6
	s_mov_b32 s0, -1
	s_cbranch_vccz .LBB12_468
; %bb.467:
	v_cvt_i32_f64_e32 v4, v[58:59]
	s_mov_b32 s0, 0
	global_store_b8 v[2:3], v4, off
.LBB12_468:
	s_and_not1_b32 vcc_lo, exec_lo, s0
	s_cbranch_vccnz .LBB12_470
; %bb.469:
	v_trunc_f64_e32 v[4:5], v[58:59]
	s_delay_alu instid0(VALU_DEP_1) | instskip(NEXT) | instid1(VALU_DEP_1)
	v_ldexp_f64 v[7:8], v[4:5], 0xffffffe0
	v_floor_f64_e32 v[7:8], v[7:8]
	s_delay_alu instid0(VALU_DEP_1) | instskip(NEXT) | instid1(VALU_DEP_1)
	v_fma_f64 v[4:5], 0xc1f00000, v[7:8], v[4:5]
	v_cvt_u32_f64_e32 v4, v[4:5]
	global_store_b8 v[2:3], v4, off
.LBB12_470:
	s_mov_b32 s3, -1
.LBB12_471:
	s_delay_alu instid0(SALU_CYCLE_1)
	s_and_not1_b32 vcc_lo, exec_lo, s3
	s_cbranch_vccnz .LBB12_666
; %bb.472:
	v_cmp_gt_i16_e32 vcc_lo, 11, v6
	v_add_co_u32 v2, s0, s40, v73
	s_delay_alu instid0(VALU_DEP_1)
	v_add_co_ci_u32_e64 v3, null, s41, 0, s0
	s_mov_b32 s3, 0
	s_mov_b32 s0, -1
	s_cbranch_vccnz .LBB12_550
; %bb.473:
	v_cmp_lt_i16_e32 vcc_lo, 25, v6
	s_mov_b32 s4, -1
	s_mov_b32 s2, 0
	s_mov_b32 s0, 0
	s_cbranch_vccz .LBB12_506
; %bb.474:
	v_cmp_lt_i16_e32 vcc_lo, 28, v6
	s_cbranch_vccz .LBB12_489
; %bb.475:
	v_cmp_lt_i16_e32 vcc_lo, 43, v6
	;; [unrolled: 3-line block ×3, first 2 shown]
	s_cbranch_vccz .LBB12_479
; %bb.477:
	v_cmp_eq_u16_e32 vcc_lo, 46, v6
	s_mov_b32 s0, -1
	s_mov_b32 s4, 0
	s_cbranch_vccz .LBB12_479
; %bb.478:
	v_cvt_f32_f64_e32 v4, v[56:57]
	s_mov_b32 s0, 0
	s_mov_b32 s3, -1
	s_delay_alu instid0(VALU_DEP_1) | instskip(SKIP_1) | instid1(VALU_DEP_2)
	v_bfe_u32 v5, v4, 16, 1
	v_cmp_o_f32_e32 vcc_lo, v4, v4
	v_add3_u32 v5, v4, v5, 0x7fff
	s_delay_alu instid0(VALU_DEP_1) | instskip(NEXT) | instid1(VALU_DEP_1)
	v_lshrrev_b32_e32 v5, 16, v5
	v_cndmask_b32_e32 v4, 0x7fc0, v5, vcc_lo
	global_store_b32 v[2:3], v4, off
.LBB12_479:
	s_and_b32 vcc_lo, exec_lo, s4
	s_cbranch_vccz .LBB12_484
; %bb.480:
	v_cmp_eq_u16_e32 vcc_lo, 44, v6
	s_mov_b32 s0, -1
	s_cbranch_vccz .LBB12_484
; %bb.481:
	v_cvt_f32_f64_e32 v4, v[56:57]
	v_mov_b32_e32 v5, 0xff
	s_mov_b32 s3, exec_lo
	s_delay_alu instid0(VALU_DEP_2) | instskip(NEXT) | instid1(VALU_DEP_1)
	v_bfe_u32 v7, v4, 23, 8
	v_cmpx_ne_u32_e32 0xff, v7
; %bb.482:
	v_and_b32_e32 v5, 0x400000, v4
	v_and_or_b32 v7, 0x3fffff, v4, v7
	v_lshrrev_b32_e32 v4, 23, v4
	s_delay_alu instid0(VALU_DEP_3) | instskip(NEXT) | instid1(VALU_DEP_3)
	v_cmp_ne_u32_e32 vcc_lo, 0, v5
	v_cmp_ne_u32_e64 s0, 0, v7
	s_delay_alu instid0(VALU_DEP_1) | instskip(NEXT) | instid1(SALU_CYCLE_1)
	s_and_b32 s0, vcc_lo, s0
	v_cndmask_b32_e64 v5, 0, 1, s0
	s_delay_alu instid0(VALU_DEP_1)
	v_add_nc_u32_e32 v5, v4, v5
; %bb.483:
	s_or_b32 exec_lo, exec_lo, s3
	s_mov_b32 s0, 0
	s_mov_b32 s3, -1
	global_store_b8 v[2:3], v5, off
.LBB12_484:
	s_mov_b32 s4, 0
.LBB12_485:
	s_delay_alu instid0(SALU_CYCLE_1)
	s_and_b32 vcc_lo, exec_lo, s4
	s_cbranch_vccz .LBB12_488
; %bb.486:
	v_cmp_eq_u16_e32 vcc_lo, 29, v6
	s_mov_b32 s0, -1
	s_cbranch_vccz .LBB12_488
; %bb.487:
	v_trunc_f64_e32 v[4:5], v[56:57]
	s_mov_b32 s0, 0
	s_mov_b32 s3, -1
	s_delay_alu instid0(VALU_DEP_1) | instskip(NEXT) | instid1(VALU_DEP_1)
	v_ldexp_f64 v[7:8], v[4:5], 0xffffffe0
	v_floor_f64_e32 v[7:8], v[7:8]
	s_delay_alu instid0(VALU_DEP_1) | instskip(SKIP_1) | instid1(VALU_DEP_2)
	v_fma_f64 v[4:5], 0xc1f00000, v[7:8], v[4:5]
	v_cvt_u32_f64_e32 v8, v[7:8]
	v_cvt_u32_f64_e32 v7, v[4:5]
	global_store_b64 v[2:3], v[7:8], off
.LBB12_488:
	s_mov_b32 s4, 0
.LBB12_489:
	s_delay_alu instid0(SALU_CYCLE_1)
	s_and_b32 vcc_lo, exec_lo, s4
	s_cbranch_vccz .LBB12_505
; %bb.490:
	v_cmp_gt_i16_e32 vcc_lo, 27, v6
	s_mov_b32 s3, -1
	s_cbranch_vccnz .LBB12_496
; %bb.491:
	v_cvt_u32_f64_e32 v4, v[56:57]
	v_cmp_lt_i16_e32 vcc_lo, 27, v6
	s_cbranch_vccz .LBB12_493
; %bb.492:
	s_mov_b32 s3, 0
	global_store_b32 v[2:3], v4, off
.LBB12_493:
	s_and_not1_b32 vcc_lo, exec_lo, s3
	s_cbranch_vccnz .LBB12_495
; %bb.494:
	global_store_b16 v[2:3], v4, off
.LBB12_495:
	s_mov_b32 s3, 0
.LBB12_496:
	s_delay_alu instid0(SALU_CYCLE_1)
	s_and_not1_b32 vcc_lo, exec_lo, s3
	s_cbranch_vccnz .LBB12_504
; %bb.497:
	v_cvt_f32_f64_e32 v4, v[56:57]
	v_mov_b32_e32 v7, 0x80
	s_mov_b32 s3, exec_lo
	s_delay_alu instid0(VALU_DEP_2) | instskip(NEXT) | instid1(VALU_DEP_1)
	v_and_b32_e32 v5, 0x7fffffff, v4
	v_cmpx_gt_u32_e32 0x43800000, v5
	s_cbranch_execz .LBB12_503
; %bb.498:
	v_cmp_lt_u32_e32 vcc_lo, 0x3bffffff, v5
	s_mov_b32 s4, 0
                                        ; implicit-def: $vgpr5
	s_and_saveexec_b32 s5, vcc_lo
	s_delay_alu instid0(SALU_CYCLE_1)
	s_xor_b32 s5, exec_lo, s5
	s_cbranch_execz .LBB12_927
; %bb.499:
	v_bfe_u32 v5, v4, 20, 1
	s_mov_b32 s4, exec_lo
	s_delay_alu instid0(VALU_DEP_1) | instskip(NEXT) | instid1(VALU_DEP_1)
	v_add3_u32 v5, v4, v5, 0x487ffff
	v_lshrrev_b32_e32 v5, 20, v5
	s_or_saveexec_b32 s5, s5
                                        ; implicit-def: $sgpr6
	s_delay_alu instid0(SALU_CYCLE_1)
	s_xor_b32 exec_lo, exec_lo, s5
	s_cbranch_execnz .LBB12_928
.LBB12_500:
	s_or_b32 exec_lo, exec_lo, s5
	v_mov_b32_e32 v7, s6
	s_and_saveexec_b32 s5, s4
.LBB12_501:
	v_lshrrev_b32_e32 v4, 24, v4
	s_delay_alu instid0(VALU_DEP_1)
	v_and_or_b32 v7, 0x80, v4, v5
.LBB12_502:
	s_or_b32 exec_lo, exec_lo, s5
.LBB12_503:
	s_delay_alu instid0(SALU_CYCLE_1)
	s_or_b32 exec_lo, exec_lo, s3
	global_store_b8 v[2:3], v7, off
.LBB12_504:
	s_mov_b32 s3, -1
.LBB12_505:
	s_mov_b32 s4, 0
.LBB12_506:
	s_delay_alu instid0(SALU_CYCLE_1)
	s_and_b32 vcc_lo, exec_lo, s4
	s_cbranch_vccz .LBB12_546
; %bb.507:
	v_cmp_lt_i16_e32 vcc_lo, 22, v6
	s_mov_b32 s2, -1
	s_cbranch_vccz .LBB12_539
; %bb.508:
	v_cmp_gt_i16_e32 vcc_lo, 24, v6
	s_cbranch_vccnz .LBB12_528
; %bb.509:
	v_cmp_lt_i16_e32 vcc_lo, 24, v6
	s_cbranch_vccz .LBB12_517
; %bb.510:
	v_cvt_f32_f64_e32 v4, v[56:57]
	v_mov_b32_e32 v7, 0x80
	s_mov_b32 s2, exec_lo
	s_delay_alu instid0(VALU_DEP_2) | instskip(NEXT) | instid1(VALU_DEP_1)
	v_and_b32_e32 v5, 0x7fffffff, v4
	v_cmpx_gt_u32_e32 0x47800000, v5
	s_cbranch_execz .LBB12_516
; %bb.511:
	v_cmp_lt_u32_e32 vcc_lo, 0x37ffffff, v5
	s_mov_b32 s3, 0
                                        ; implicit-def: $vgpr5
	s_and_saveexec_b32 s4, vcc_lo
	s_delay_alu instid0(SALU_CYCLE_1)
	s_xor_b32 s4, exec_lo, s4
	s_cbranch_execz .LBB12_1108
; %bb.512:
	v_bfe_u32 v5, v4, 21, 1
	s_mov_b32 s3, exec_lo
	s_delay_alu instid0(VALU_DEP_1) | instskip(NEXT) | instid1(VALU_DEP_1)
	v_add3_u32 v5, v4, v5, 0x88fffff
	v_lshrrev_b32_e32 v5, 21, v5
	s_or_saveexec_b32 s4, s4
                                        ; implicit-def: $sgpr5
	s_delay_alu instid0(SALU_CYCLE_1)
	s_xor_b32 exec_lo, exec_lo, s4
	s_cbranch_execnz .LBB12_1109
.LBB12_513:
	s_or_b32 exec_lo, exec_lo, s4
	v_mov_b32_e32 v7, s5
	s_and_saveexec_b32 s4, s3
.LBB12_514:
	v_lshrrev_b32_e32 v4, 24, v4
	s_delay_alu instid0(VALU_DEP_1)
	v_and_or_b32 v7, 0x80, v4, v5
.LBB12_515:
	s_or_b32 exec_lo, exec_lo, s4
.LBB12_516:
	s_delay_alu instid0(SALU_CYCLE_1)
	s_or_b32 exec_lo, exec_lo, s2
	s_mov_b32 s2, 0
	global_store_b8 v[2:3], v7, off
.LBB12_517:
	s_and_b32 vcc_lo, exec_lo, s2
	s_cbranch_vccz .LBB12_527
; %bb.518:
	v_cvt_f32_f64_e32 v4, v[56:57]
	s_mov_b32 s2, exec_lo
                                        ; implicit-def: $vgpr5
	s_delay_alu instid0(VALU_DEP_1) | instskip(NEXT) | instid1(VALU_DEP_1)
	v_and_b32_e32 v7, 0x7fffffff, v4
	v_cmpx_gt_u32_e32 0x43f00000, v7
	s_xor_b32 s2, exec_lo, s2
	s_cbranch_execz .LBB12_524
; %bb.519:
	s_mov_b32 s3, exec_lo
                                        ; implicit-def: $vgpr5
	v_cmpx_lt_u32_e32 0x3c7fffff, v7
	s_xor_b32 s3, exec_lo, s3
; %bb.520:
	v_bfe_u32 v5, v4, 20, 1
	s_delay_alu instid0(VALU_DEP_1) | instskip(NEXT) | instid1(VALU_DEP_1)
	v_add3_u32 v5, v4, v5, 0x407ffff
	v_and_b32_e32 v7, 0xff00000, v5
	v_lshrrev_b32_e32 v5, 20, v5
	s_delay_alu instid0(VALU_DEP_2) | instskip(NEXT) | instid1(VALU_DEP_2)
	v_cmp_ne_u32_e32 vcc_lo, 0x7f00000, v7
	v_cndmask_b32_e32 v5, 0x7e, v5, vcc_lo
; %bb.521:
	s_and_not1_saveexec_b32 s3, s3
; %bb.522:
	v_add_f32_e64 v5, 0x46800000, |v4|
; %bb.523:
	s_or_b32 exec_lo, exec_lo, s3
                                        ; implicit-def: $vgpr7
.LBB12_524:
	s_and_not1_saveexec_b32 s2, s2
; %bb.525:
	v_mov_b32_e32 v5, 0x7f
	v_cmp_lt_u32_e32 vcc_lo, 0x7f800000, v7
	s_delay_alu instid0(VALU_DEP_2)
	v_cndmask_b32_e32 v5, 0x7e, v5, vcc_lo
; %bb.526:
	s_or_b32 exec_lo, exec_lo, s2
	v_lshrrev_b32_e32 v4, 24, v4
	s_delay_alu instid0(VALU_DEP_1)
	v_and_or_b32 v4, 0x80, v4, v5
	global_store_b8 v[2:3], v4, off
.LBB12_527:
	s_mov_b32 s2, 0
.LBB12_528:
	s_delay_alu instid0(SALU_CYCLE_1)
	s_and_not1_b32 vcc_lo, exec_lo, s2
	s_cbranch_vccnz .LBB12_538
; %bb.529:
	v_cvt_f32_f64_e32 v4, v[56:57]
	s_mov_b32 s2, exec_lo
                                        ; implicit-def: $vgpr5
	s_delay_alu instid0(VALU_DEP_1) | instskip(NEXT) | instid1(VALU_DEP_1)
	v_and_b32_e32 v7, 0x7fffffff, v4
	v_cmpx_gt_u32_e32 0x47800000, v7
	s_xor_b32 s2, exec_lo, s2
	s_cbranch_execz .LBB12_535
; %bb.530:
	s_mov_b32 s3, exec_lo
                                        ; implicit-def: $vgpr5
	v_cmpx_lt_u32_e32 0x387fffff, v7
	s_xor_b32 s3, exec_lo, s3
; %bb.531:
	v_bfe_u32 v5, v4, 21, 1
	s_delay_alu instid0(VALU_DEP_1) | instskip(NEXT) | instid1(VALU_DEP_1)
	v_add3_u32 v5, v4, v5, 0x80fffff
	v_lshrrev_b32_e32 v5, 21, v5
; %bb.532:
	s_and_not1_saveexec_b32 s3, s3
; %bb.533:
	v_add_f32_e64 v5, 0x43000000, |v4|
; %bb.534:
	s_or_b32 exec_lo, exec_lo, s3
                                        ; implicit-def: $vgpr7
.LBB12_535:
	s_and_not1_saveexec_b32 s2, s2
; %bb.536:
	v_mov_b32_e32 v5, 0x7f
	v_cmp_lt_u32_e32 vcc_lo, 0x7f800000, v7
	s_delay_alu instid0(VALU_DEP_2)
	v_cndmask_b32_e32 v5, 0x7c, v5, vcc_lo
; %bb.537:
	s_or_b32 exec_lo, exec_lo, s2
	v_lshrrev_b32_e32 v4, 24, v4
	s_delay_alu instid0(VALU_DEP_1)
	v_and_or_b32 v4, 0x80, v4, v5
	global_store_b8 v[2:3], v4, off
.LBB12_538:
	s_mov_b32 s2, 0
	s_mov_b32 s3, -1
.LBB12_539:
	s_and_not1_b32 vcc_lo, exec_lo, s2
	s_mov_b32 s2, 0
	s_cbranch_vccnz .LBB12_546
; %bb.540:
	v_cmp_lt_i16_e32 vcc_lo, 14, v6
	s_mov_b32 s2, -1
	s_cbranch_vccz .LBB12_544
; %bb.541:
	v_cmp_eq_u16_e32 vcc_lo, 15, v6
	s_mov_b32 s0, -1
	s_cbranch_vccz .LBB12_543
; %bb.542:
	v_cvt_f32_f64_e32 v4, v[56:57]
	s_mov_b32 s0, 0
	s_mov_b32 s3, -1
	s_delay_alu instid0(VALU_DEP_1) | instskip(SKIP_1) | instid1(VALU_DEP_2)
	v_bfe_u32 v5, v4, 16, 1
	v_cmp_o_f32_e32 vcc_lo, v4, v4
	v_add3_u32 v5, v4, v5, 0x7fff
	s_delay_alu instid0(VALU_DEP_1) | instskip(NEXT) | instid1(VALU_DEP_1)
	v_lshrrev_b32_e32 v5, 16, v5
	v_cndmask_b32_e32 v4, 0x7fc0, v5, vcc_lo
	global_store_b16 v[2:3], v4, off
.LBB12_543:
	s_mov_b32 s2, 0
.LBB12_544:
	s_delay_alu instid0(SALU_CYCLE_1)
	s_and_b32 vcc_lo, exec_lo, s2
	s_mov_b32 s2, 0
	s_cbranch_vccz .LBB12_546
; %bb.545:
	v_cmp_ne_u16_e64 s0, 11, v6
	s_mov_b32 s2, -1
.LBB12_546:
	s_delay_alu instid0(VALU_DEP_1)
	s_and_b32 vcc_lo, exec_lo, s0
	s_cbranch_vccnz .LBB12_931
; %bb.547:
	s_and_not1_b32 vcc_lo, exec_lo, s2
	s_cbranch_vccnz .LBB12_549
.LBB12_548:
	v_cmp_neq_f64_e32 vcc_lo, 0, v[56:57]
	s_mov_b32 s3, -1
	v_cndmask_b32_e64 v4, 0, 1, vcc_lo
	global_store_b8 v[2:3], v4, off
.LBB12_549:
	s_mov_b32 s0, 0
.LBB12_550:
	s_delay_alu instid0(SALU_CYCLE_1)
	s_and_b32 vcc_lo, exec_lo, s0
	s_cbranch_vccz .LBB12_589
; %bb.551:
	v_cmp_gt_i16_e32 vcc_lo, 5, v6
	s_mov_b32 s0, -1
	s_cbranch_vccnz .LBB12_572
; %bb.552:
	v_cmp_gt_i16_e32 vcc_lo, 8, v6
	s_cbranch_vccnz .LBB12_562
; %bb.553:
	v_cmp_gt_i16_e32 vcc_lo, 9, v6
	s_cbranch_vccnz .LBB12_559
; %bb.554:
	v_cmp_lt_i16_e32 vcc_lo, 9, v6
	s_cbranch_vccz .LBB12_556
; %bb.555:
	v_mov_b32_e32 v58, 0
	s_mov_b32 s0, 0
	s_delay_alu instid0(VALU_DEP_1)
	v_mov_b32_e32 v59, v58
	global_store_b128 v[2:3], v[56:59], off
.LBB12_556:
	s_and_not1_b32 vcc_lo, exec_lo, s0
	s_cbranch_vccnz .LBB12_558
; %bb.557:
	v_cvt_f32_f64_e32 v4, v[56:57]
	v_mov_b32_e32 v5, 0
	global_store_b64 v[2:3], v[4:5], off
.LBB12_558:
	s_mov_b32 s0, 0
.LBB12_559:
	s_delay_alu instid0(SALU_CYCLE_1)
	s_and_not1_b32 vcc_lo, exec_lo, s0
	s_cbranch_vccnz .LBB12_561
; %bb.560:
	v_cvt_f32_f64_e32 v4, v[56:57]
	s_delay_alu instid0(VALU_DEP_1) | instskip(NEXT) | instid1(VALU_DEP_1)
	v_cvt_f16_f32_e32 v4, v4
	v_and_b32_e32 v4, 0xffff, v4
	global_store_b32 v[2:3], v4, off
.LBB12_561:
	s_mov_b32 s0, 0
.LBB12_562:
	s_delay_alu instid0(SALU_CYCLE_1)
	s_and_not1_b32 vcc_lo, exec_lo, s0
	s_cbranch_vccnz .LBB12_571
; %bb.563:
	v_cmp_gt_i16_e32 vcc_lo, 6, v6
	s_mov_b32 s0, -1
	s_cbranch_vccnz .LBB12_569
; %bb.564:
	v_cmp_lt_i16_e32 vcc_lo, 6, v6
	s_cbranch_vccz .LBB12_566
; %bb.565:
	s_mov_b32 s0, 0
	global_store_b64 v[2:3], v[56:57], off
.LBB12_566:
	s_and_not1_b32 vcc_lo, exec_lo, s0
	s_cbranch_vccnz .LBB12_568
; %bb.567:
	v_cvt_f32_f64_e32 v4, v[56:57]
	global_store_b32 v[2:3], v4, off
.LBB12_568:
	s_mov_b32 s0, 0
.LBB12_569:
	s_delay_alu instid0(SALU_CYCLE_1)
	s_and_not1_b32 vcc_lo, exec_lo, s0
	s_cbranch_vccnz .LBB12_571
; %bb.570:
	v_cvt_f32_f64_e32 v4, v[56:57]
	s_delay_alu instid0(VALU_DEP_1)
	v_cvt_f16_f32_e32 v4, v4
	global_store_b16 v[2:3], v4, off
.LBB12_571:
	s_mov_b32 s0, 0
.LBB12_572:
	s_delay_alu instid0(SALU_CYCLE_1)
	s_and_not1_b32 vcc_lo, exec_lo, s0
	s_cbranch_vccnz .LBB12_588
; %bb.573:
	v_cmp_gt_i16_e32 vcc_lo, 2, v6
	s_mov_b32 s0, -1
	s_cbranch_vccnz .LBB12_583
; %bb.574:
	v_cmp_gt_i16_e32 vcc_lo, 3, v6
	s_cbranch_vccnz .LBB12_580
; %bb.575:
	v_cmp_lt_i16_e32 vcc_lo, 3, v6
	s_cbranch_vccz .LBB12_577
; %bb.576:
	v_trunc_f64_e32 v[4:5], v[56:57]
	s_mov_b32 s0, 0
	s_delay_alu instid0(VALU_DEP_1) | instskip(NEXT) | instid1(VALU_DEP_1)
	v_ldexp_f64 v[7:8], v[4:5], 0xffffffe0
	v_floor_f64_e32 v[7:8], v[7:8]
	s_delay_alu instid0(VALU_DEP_1) | instskip(SKIP_1) | instid1(VALU_DEP_2)
	v_fma_f64 v[4:5], 0xc1f00000, v[7:8], v[4:5]
	v_cvt_i32_f64_e32 v8, v[7:8]
	v_cvt_u32_f64_e32 v7, v[4:5]
	global_store_b64 v[2:3], v[7:8], off
.LBB12_577:
	s_and_not1_b32 vcc_lo, exec_lo, s0
	s_cbranch_vccnz .LBB12_579
; %bb.578:
	v_cvt_i32_f64_e32 v4, v[56:57]
	global_store_b32 v[2:3], v4, off
.LBB12_579:
	s_mov_b32 s0, 0
.LBB12_580:
	s_delay_alu instid0(SALU_CYCLE_1)
	s_and_not1_b32 vcc_lo, exec_lo, s0
	s_cbranch_vccnz .LBB12_582
; %bb.581:
	v_cvt_i32_f64_e32 v4, v[56:57]
	global_store_b16 v[2:3], v4, off
.LBB12_582:
	s_mov_b32 s0, 0
.LBB12_583:
	s_delay_alu instid0(SALU_CYCLE_1)
	s_and_not1_b32 vcc_lo, exec_lo, s0
	s_cbranch_vccnz .LBB12_588
; %bb.584:
	v_cmp_lt_i16_e32 vcc_lo, 0, v6
	s_mov_b32 s0, -1
	s_cbranch_vccz .LBB12_586
; %bb.585:
	v_cvt_i32_f64_e32 v4, v[56:57]
	s_mov_b32 s0, 0
	global_store_b8 v[2:3], v4, off
.LBB12_586:
	s_and_not1_b32 vcc_lo, exec_lo, s0
	s_cbranch_vccnz .LBB12_588
; %bb.587:
	v_trunc_f64_e32 v[4:5], v[56:57]
	s_delay_alu instid0(VALU_DEP_1) | instskip(NEXT) | instid1(VALU_DEP_1)
	v_ldexp_f64 v[7:8], v[4:5], 0xffffffe0
	v_floor_f64_e32 v[7:8], v[7:8]
	s_delay_alu instid0(VALU_DEP_1) | instskip(NEXT) | instid1(VALU_DEP_1)
	v_fma_f64 v[4:5], 0xc1f00000, v[7:8], v[4:5]
	v_cvt_u32_f64_e32 v4, v[4:5]
	global_store_b8 v[2:3], v4, off
.LBB12_588:
	s_mov_b32 s3, -1
.LBB12_589:
	s_delay_alu instid0(SALU_CYCLE_1)
	s_and_not1_b32 vcc_lo, exec_lo, s3
	s_cbranch_vccnz .LBB12_666
; %bb.590:
	v_cmp_gt_i16_e32 vcc_lo, 11, v6
	v_add_co_u32 v4, s0, s40, v72
	s_delay_alu instid0(VALU_DEP_1)
	v_add_co_ci_u32_e64 v5, null, s41, 0, s0
	s_mov_b32 s2, 0
	s_mov_b32 s0, -1
	s_cbranch_vccnz .LBB12_667
; %bb.591:
	v_cmp_lt_i16_e32 vcc_lo, 25, v6
	s_mov_b32 s3, -1
	s_mov_b32 s0, 0
	s_cbranch_vccz .LBB12_624
; %bb.592:
	v_cmp_lt_i16_e32 vcc_lo, 28, v6
	s_cbranch_vccz .LBB12_608
; %bb.593:
	v_cmp_lt_i16_e32 vcc_lo, 43, v6
	;; [unrolled: 3-line block ×3, first 2 shown]
	s_cbranch_vccz .LBB12_598
; %bb.595:
	v_cmp_eq_u16_e32 vcc_lo, 46, v6
	s_mov_b32 s0, -1
	s_cbranch_vccz .LBB12_597
; %bb.596:
	v_cvt_f32_f64_e32 v2, v[0:1]
	s_mov_b32 s0, 0
	s_delay_alu instid0(VALU_DEP_1) | instskip(SKIP_1) | instid1(VALU_DEP_2)
	v_bfe_u32 v3, v2, 16, 1
	v_cmp_o_f32_e32 vcc_lo, v2, v2
	v_add3_u32 v3, v2, v3, 0x7fff
	s_delay_alu instid0(VALU_DEP_1) | instskip(NEXT) | instid1(VALU_DEP_1)
	v_lshrrev_b32_e32 v3, 16, v3
	v_cndmask_b32_e32 v2, 0x7fc0, v3, vcc_lo
	global_store_b32 v[4:5], v2, off
.LBB12_597:
	s_mov_b32 s3, 0
.LBB12_598:
	s_delay_alu instid0(SALU_CYCLE_1)
	s_and_b32 vcc_lo, exec_lo, s3
	s_cbranch_vccz .LBB12_603
; %bb.599:
	v_cmp_eq_u16_e32 vcc_lo, 44, v6
	s_mov_b32 s0, -1
	s_cbranch_vccz .LBB12_603
; %bb.600:
	v_cvt_f32_f64_e32 v2, v[0:1]
	v_mov_b32_e32 v3, 0xff
	s_mov_b32 s3, exec_lo
	s_delay_alu instid0(VALU_DEP_2) | instskip(NEXT) | instid1(VALU_DEP_1)
	v_bfe_u32 v7, v2, 23, 8
	v_cmpx_ne_u32_e32 0xff, v7
; %bb.601:
	v_and_b32_e32 v3, 0x400000, v2
	v_and_or_b32 v7, 0x3fffff, v2, v7
	v_lshrrev_b32_e32 v2, 23, v2
	s_delay_alu instid0(VALU_DEP_3) | instskip(NEXT) | instid1(VALU_DEP_3)
	v_cmp_ne_u32_e32 vcc_lo, 0, v3
	v_cmp_ne_u32_e64 s0, 0, v7
	s_delay_alu instid0(VALU_DEP_1) | instskip(NEXT) | instid1(SALU_CYCLE_1)
	s_and_b32 s0, vcc_lo, s0
	v_cndmask_b32_e64 v3, 0, 1, s0
	s_delay_alu instid0(VALU_DEP_1)
	v_add_nc_u32_e32 v3, v2, v3
; %bb.602:
	s_or_b32 exec_lo, exec_lo, s3
	s_mov_b32 s0, 0
	global_store_b8 v[4:5], v3, off
.LBB12_603:
	s_mov_b32 s3, 0
.LBB12_604:
	s_delay_alu instid0(SALU_CYCLE_1)
	s_and_b32 vcc_lo, exec_lo, s3
	s_cbranch_vccz .LBB12_607
; %bb.605:
	v_cmp_eq_u16_e32 vcc_lo, 29, v6
	s_mov_b32 s0, -1
	s_cbranch_vccz .LBB12_607
; %bb.606:
	v_trunc_f64_e32 v[2:3], v[0:1]
	s_mov_b32 s0, 0
	s_delay_alu instid0(VALU_DEP_1) | instskip(NEXT) | instid1(VALU_DEP_1)
	v_ldexp_f64 v[7:8], v[2:3], 0xffffffe0
	v_floor_f64_e32 v[7:8], v[7:8]
	s_delay_alu instid0(VALU_DEP_1) | instskip(SKIP_1) | instid1(VALU_DEP_2)
	v_fma_f64 v[2:3], 0xc1f00000, v[7:8], v[2:3]
	v_cvt_u32_f64_e32 v8, v[7:8]
	v_cvt_u32_f64_e32 v7, v[2:3]
	global_store_b64 v[4:5], v[7:8], off
.LBB12_607:
	s_mov_b32 s3, 0
.LBB12_608:
	s_delay_alu instid0(SALU_CYCLE_1)
	s_and_b32 vcc_lo, exec_lo, s3
	s_cbranch_vccz .LBB12_623
; %bb.609:
	v_cmp_gt_i16_e32 vcc_lo, 27, v6
	s_mov_b32 s3, -1
	s_cbranch_vccnz .LBB12_615
; %bb.610:
	v_cvt_u32_f64_e32 v2, v[0:1]
	v_cmp_lt_i16_e32 vcc_lo, 27, v6
	s_cbranch_vccz .LBB12_612
; %bb.611:
	s_mov_b32 s3, 0
	global_store_b32 v[4:5], v2, off
.LBB12_612:
	s_and_not1_b32 vcc_lo, exec_lo, s3
	s_cbranch_vccnz .LBB12_614
; %bb.613:
	global_store_b16 v[4:5], v2, off
.LBB12_614:
	s_mov_b32 s3, 0
.LBB12_615:
	s_delay_alu instid0(SALU_CYCLE_1)
	s_and_not1_b32 vcc_lo, exec_lo, s3
	s_cbranch_vccnz .LBB12_623
; %bb.616:
	v_cvt_f32_f64_e32 v2, v[0:1]
	v_mov_b32_e32 v7, 0x80
	s_mov_b32 s3, exec_lo
	s_delay_alu instid0(VALU_DEP_2) | instskip(NEXT) | instid1(VALU_DEP_1)
	v_and_b32_e32 v3, 0x7fffffff, v2
	v_cmpx_gt_u32_e32 0x43800000, v3
	s_cbranch_execz .LBB12_622
; %bb.617:
	v_cmp_lt_u32_e32 vcc_lo, 0x3bffffff, v3
	s_mov_b32 s4, 0
                                        ; implicit-def: $vgpr3
	s_and_saveexec_b32 s5, vcc_lo
	s_delay_alu instid0(SALU_CYCLE_1)
	s_xor_b32 s5, exec_lo, s5
	s_cbranch_execz .LBB12_1110
; %bb.618:
	v_bfe_u32 v3, v2, 20, 1
	s_mov_b32 s4, exec_lo
	s_delay_alu instid0(VALU_DEP_1) | instskip(NEXT) | instid1(VALU_DEP_1)
	v_add3_u32 v3, v2, v3, 0x487ffff
	v_lshrrev_b32_e32 v3, 20, v3
	s_or_saveexec_b32 s5, s5
                                        ; implicit-def: $sgpr6
	s_delay_alu instid0(SALU_CYCLE_1)
	s_xor_b32 exec_lo, exec_lo, s5
	s_cbranch_execnz .LBB12_1111
.LBB12_619:
	s_or_b32 exec_lo, exec_lo, s5
	v_mov_b32_e32 v7, s6
	s_and_saveexec_b32 s5, s4
.LBB12_620:
	v_lshrrev_b32_e32 v2, 24, v2
	s_delay_alu instid0(VALU_DEP_1)
	v_and_or_b32 v7, 0x80, v2, v3
.LBB12_621:
	s_or_b32 exec_lo, exec_lo, s5
.LBB12_622:
	s_delay_alu instid0(SALU_CYCLE_1)
	s_or_b32 exec_lo, exec_lo, s3
	global_store_b8 v[4:5], v7, off
.LBB12_623:
	s_mov_b32 s3, 0
.LBB12_624:
	s_delay_alu instid0(SALU_CYCLE_1)
	s_and_b32 vcc_lo, exec_lo, s3
	s_cbranch_vccz .LBB12_664
; %bb.625:
	v_cmp_lt_i16_e32 vcc_lo, 22, v6
	s_mov_b32 s2, -1
	s_cbranch_vccz .LBB12_657
; %bb.626:
	v_cmp_gt_i16_e32 vcc_lo, 24, v6
	s_cbranch_vccnz .LBB12_646
; %bb.627:
	v_cmp_lt_i16_e32 vcc_lo, 24, v6
	s_cbranch_vccz .LBB12_635
; %bb.628:
	v_cvt_f32_f64_e32 v2, v[0:1]
	v_mov_b32_e32 v7, 0x80
	s_mov_b32 s2, exec_lo
	s_delay_alu instid0(VALU_DEP_2) | instskip(NEXT) | instid1(VALU_DEP_1)
	v_and_b32_e32 v3, 0x7fffffff, v2
	v_cmpx_gt_u32_e32 0x47800000, v3
	s_cbranch_execz .LBB12_634
; %bb.629:
	v_cmp_lt_u32_e32 vcc_lo, 0x37ffffff, v3
	s_mov_b32 s3, 0
                                        ; implicit-def: $vgpr3
	s_and_saveexec_b32 s4, vcc_lo
	s_delay_alu instid0(SALU_CYCLE_1)
	s_xor_b32 s4, exec_lo, s4
	s_cbranch_execz .LBB12_1120
; %bb.630:
	v_bfe_u32 v3, v2, 21, 1
	s_mov_b32 s3, exec_lo
	s_delay_alu instid0(VALU_DEP_1) | instskip(NEXT) | instid1(VALU_DEP_1)
	v_add3_u32 v3, v2, v3, 0x88fffff
	v_lshrrev_b32_e32 v3, 21, v3
	s_or_saveexec_b32 s4, s4
                                        ; implicit-def: $sgpr5
	s_delay_alu instid0(SALU_CYCLE_1)
	s_xor_b32 exec_lo, exec_lo, s4
	s_cbranch_execnz .LBB12_1121
.LBB12_631:
	s_or_b32 exec_lo, exec_lo, s4
	v_mov_b32_e32 v7, s5
	s_and_saveexec_b32 s4, s3
.LBB12_632:
	v_lshrrev_b32_e32 v2, 24, v2
	s_delay_alu instid0(VALU_DEP_1)
	v_and_or_b32 v7, 0x80, v2, v3
.LBB12_633:
	s_or_b32 exec_lo, exec_lo, s4
.LBB12_634:
	s_delay_alu instid0(SALU_CYCLE_1)
	s_or_b32 exec_lo, exec_lo, s2
	s_mov_b32 s2, 0
	global_store_b8 v[4:5], v7, off
.LBB12_635:
	s_and_b32 vcc_lo, exec_lo, s2
	s_cbranch_vccz .LBB12_645
; %bb.636:
	v_cvt_f32_f64_e32 v2, v[0:1]
	s_mov_b32 s2, exec_lo
                                        ; implicit-def: $vgpr3
	s_delay_alu instid0(VALU_DEP_1) | instskip(NEXT) | instid1(VALU_DEP_1)
	v_and_b32_e32 v7, 0x7fffffff, v2
	v_cmpx_gt_u32_e32 0x43f00000, v7
	s_xor_b32 s2, exec_lo, s2
	s_cbranch_execz .LBB12_642
; %bb.637:
	s_mov_b32 s3, exec_lo
                                        ; implicit-def: $vgpr3
	v_cmpx_lt_u32_e32 0x3c7fffff, v7
	s_xor_b32 s3, exec_lo, s3
; %bb.638:
	v_bfe_u32 v3, v2, 20, 1
	s_delay_alu instid0(VALU_DEP_1) | instskip(NEXT) | instid1(VALU_DEP_1)
	v_add3_u32 v3, v2, v3, 0x407ffff
	v_and_b32_e32 v7, 0xff00000, v3
	v_lshrrev_b32_e32 v3, 20, v3
	s_delay_alu instid0(VALU_DEP_2) | instskip(NEXT) | instid1(VALU_DEP_2)
	v_cmp_ne_u32_e32 vcc_lo, 0x7f00000, v7
	v_cndmask_b32_e32 v3, 0x7e, v3, vcc_lo
; %bb.639:
	s_and_not1_saveexec_b32 s3, s3
; %bb.640:
	v_add_f32_e64 v3, 0x46800000, |v2|
; %bb.641:
	s_or_b32 exec_lo, exec_lo, s3
                                        ; implicit-def: $vgpr7
.LBB12_642:
	s_and_not1_saveexec_b32 s2, s2
; %bb.643:
	v_mov_b32_e32 v3, 0x7f
	v_cmp_lt_u32_e32 vcc_lo, 0x7f800000, v7
	s_delay_alu instid0(VALU_DEP_2)
	v_cndmask_b32_e32 v3, 0x7e, v3, vcc_lo
; %bb.644:
	s_or_b32 exec_lo, exec_lo, s2
	v_lshrrev_b32_e32 v2, 24, v2
	s_delay_alu instid0(VALU_DEP_1)
	v_and_or_b32 v2, 0x80, v2, v3
	global_store_b8 v[4:5], v2, off
.LBB12_645:
	s_mov_b32 s2, 0
.LBB12_646:
	s_delay_alu instid0(SALU_CYCLE_1)
	s_and_not1_b32 vcc_lo, exec_lo, s2
	s_cbranch_vccnz .LBB12_656
; %bb.647:
	v_cvt_f32_f64_e32 v2, v[0:1]
	s_mov_b32 s2, exec_lo
                                        ; implicit-def: $vgpr3
	s_delay_alu instid0(VALU_DEP_1) | instskip(NEXT) | instid1(VALU_DEP_1)
	v_and_b32_e32 v7, 0x7fffffff, v2
	v_cmpx_gt_u32_e32 0x47800000, v7
	s_xor_b32 s2, exec_lo, s2
	s_cbranch_execz .LBB12_653
; %bb.648:
	s_mov_b32 s3, exec_lo
                                        ; implicit-def: $vgpr3
	v_cmpx_lt_u32_e32 0x387fffff, v7
	s_xor_b32 s3, exec_lo, s3
; %bb.649:
	v_bfe_u32 v3, v2, 21, 1
	s_delay_alu instid0(VALU_DEP_1) | instskip(NEXT) | instid1(VALU_DEP_1)
	v_add3_u32 v3, v2, v3, 0x80fffff
	v_lshrrev_b32_e32 v3, 21, v3
; %bb.650:
	s_and_not1_saveexec_b32 s3, s3
; %bb.651:
	v_add_f32_e64 v3, 0x43000000, |v2|
; %bb.652:
	s_or_b32 exec_lo, exec_lo, s3
                                        ; implicit-def: $vgpr7
.LBB12_653:
	s_and_not1_saveexec_b32 s2, s2
; %bb.654:
	v_mov_b32_e32 v3, 0x7f
	v_cmp_lt_u32_e32 vcc_lo, 0x7f800000, v7
	s_delay_alu instid0(VALU_DEP_2)
	v_cndmask_b32_e32 v3, 0x7c, v3, vcc_lo
; %bb.655:
	s_or_b32 exec_lo, exec_lo, s2
	v_lshrrev_b32_e32 v2, 24, v2
	s_delay_alu instid0(VALU_DEP_1)
	v_and_or_b32 v2, 0x80, v2, v3
	global_store_b8 v[4:5], v2, off
.LBB12_656:
	s_mov_b32 s2, 0
.LBB12_657:
	s_delay_alu instid0(SALU_CYCLE_1)
	s_and_not1_b32 vcc_lo, exec_lo, s2
	s_mov_b32 s2, 0
	s_cbranch_vccnz .LBB12_664
; %bb.658:
	v_cmp_lt_i16_e32 vcc_lo, 14, v6
	s_mov_b32 s2, -1
	s_cbranch_vccz .LBB12_662
; %bb.659:
	v_cmp_eq_u16_e32 vcc_lo, 15, v6
	s_mov_b32 s0, -1
	s_cbranch_vccz .LBB12_661
; %bb.660:
	v_cvt_f32_f64_e32 v2, v[0:1]
	s_mov_b32 s0, 0
	s_delay_alu instid0(VALU_DEP_1) | instskip(SKIP_1) | instid1(VALU_DEP_2)
	v_bfe_u32 v3, v2, 16, 1
	v_cmp_o_f32_e32 vcc_lo, v2, v2
	v_add3_u32 v3, v2, v3, 0x7fff
	s_delay_alu instid0(VALU_DEP_1) | instskip(NEXT) | instid1(VALU_DEP_1)
	v_lshrrev_b32_e32 v3, 16, v3
	v_cndmask_b32_e32 v2, 0x7fc0, v3, vcc_lo
	global_store_b16 v[4:5], v2, off
.LBB12_661:
	s_mov_b32 s2, 0
.LBB12_662:
	s_delay_alu instid0(SALU_CYCLE_1)
	s_and_b32 vcc_lo, exec_lo, s2
	s_mov_b32 s2, 0
	s_cbranch_vccz .LBB12_664
; %bb.663:
	v_cmp_ne_u16_e64 s0, 11, v6
	s_mov_b32 s2, -1
.LBB12_664:
	s_delay_alu instid0(VALU_DEP_1)
	s_and_b32 vcc_lo, exec_lo, s0
	s_cbranch_vccnz .LBB12_1114
.LBB12_665:
	s_mov_b32 s0, 0
	s_branch .LBB12_667
.LBB12_666:
	s_mov_b32 s0, 0
	s_mov_b32 s2, 0
                                        ; implicit-def: $vgpr6
                                        ; implicit-def: $vgpr4_vgpr5
.LBB12_667:
	s_and_not1_b32 s3, s44, exec_lo
	s_and_b32 s1, s1, exec_lo
	s_and_b32 s0, s0, exec_lo
	;; [unrolled: 1-line block ×3, first 2 shown]
	s_or_b32 s44, s3, s1
.LBB12_668:
	s_or_b32 exec_lo, exec_lo, s45
	s_and_saveexec_b32 s1, s44
	s_cbranch_execz .LBB12_671
; %bb.669:
	; divergent unreachable
	s_or_b32 exec_lo, exec_lo, s1
	s_and_saveexec_b32 s1, s61
	s_delay_alu instid0(SALU_CYCLE_1)
	s_xor_b32 s1, exec_lo, s1
	s_cbranch_execnz .LBB12_672
.LBB12_670:
	s_or_b32 exec_lo, exec_lo, s1
	s_and_saveexec_b32 s1, s0
	s_cbranch_execnz .LBB12_673
	s_branch .LBB12_710
.LBB12_671:
	s_or_b32 exec_lo, exec_lo, s1
	s_and_saveexec_b32 s1, s61
	s_delay_alu instid0(SALU_CYCLE_1)
	s_xor_b32 s1, exec_lo, s1
	s_cbranch_execz .LBB12_670
.LBB12_672:
	v_cmp_neq_f64_e32 vcc_lo, 0, v[0:1]
	v_cndmask_b32_e64 v2, 0, 1, vcc_lo
	global_store_b8 v[4:5], v2, off
	s_or_b32 exec_lo, exec_lo, s1
	s_and_saveexec_b32 s1, s0
	s_cbranch_execz .LBB12_710
.LBB12_673:
	v_cmp_gt_i16_e32 vcc_lo, 5, v6
	s_mov_b32 s0, -1
	s_cbranch_vccnz .LBB12_694
; %bb.674:
	v_cmp_gt_i16_e32 vcc_lo, 8, v6
	s_cbranch_vccnz .LBB12_684
; %bb.675:
	v_cmp_gt_i16_e32 vcc_lo, 9, v6
	s_cbranch_vccnz .LBB12_681
; %bb.676:
	v_cmp_lt_i16_e32 vcc_lo, 9, v6
	s_cbranch_vccz .LBB12_678
; %bb.677:
	v_mov_b32_e32 v2, 0
	s_mov_b32 s0, 0
	s_delay_alu instid0(VALU_DEP_1)
	v_mov_b32_e32 v3, v2
	global_store_b128 v[4:5], v[0:3], off
.LBB12_678:
	s_and_not1_b32 vcc_lo, exec_lo, s0
	s_cbranch_vccnz .LBB12_680
; %bb.679:
	v_cvt_f32_f64_e32 v2, v[0:1]
	v_mov_b32_e32 v3, 0
	global_store_b64 v[4:5], v[2:3], off
.LBB12_680:
	s_mov_b32 s0, 0
.LBB12_681:
	s_delay_alu instid0(SALU_CYCLE_1)
	s_and_not1_b32 vcc_lo, exec_lo, s0
	s_cbranch_vccnz .LBB12_683
; %bb.682:
	v_cvt_f32_f64_e32 v2, v[0:1]
	s_delay_alu instid0(VALU_DEP_1) | instskip(NEXT) | instid1(VALU_DEP_1)
	v_cvt_f16_f32_e32 v2, v2
	v_and_b32_e32 v2, 0xffff, v2
	global_store_b32 v[4:5], v2, off
.LBB12_683:
	s_mov_b32 s0, 0
.LBB12_684:
	s_delay_alu instid0(SALU_CYCLE_1)
	s_and_not1_b32 vcc_lo, exec_lo, s0
	s_cbranch_vccnz .LBB12_693
; %bb.685:
	v_cmp_gt_i16_e32 vcc_lo, 6, v6
	s_mov_b32 s0, -1
	s_cbranch_vccnz .LBB12_691
; %bb.686:
	v_cmp_lt_i16_e32 vcc_lo, 6, v6
	s_cbranch_vccz .LBB12_688
; %bb.687:
	s_mov_b32 s0, 0
	global_store_b64 v[4:5], v[0:1], off
.LBB12_688:
	s_and_not1_b32 vcc_lo, exec_lo, s0
	s_cbranch_vccnz .LBB12_690
; %bb.689:
	v_cvt_f32_f64_e32 v2, v[0:1]
	global_store_b32 v[4:5], v2, off
.LBB12_690:
	s_mov_b32 s0, 0
.LBB12_691:
	s_delay_alu instid0(SALU_CYCLE_1)
	s_and_not1_b32 vcc_lo, exec_lo, s0
	s_cbranch_vccnz .LBB12_693
; %bb.692:
	v_cvt_f32_f64_e32 v2, v[0:1]
	s_delay_alu instid0(VALU_DEP_1)
	v_cvt_f16_f32_e32 v2, v2
	global_store_b16 v[4:5], v2, off
.LBB12_693:
	s_mov_b32 s0, 0
.LBB12_694:
	s_delay_alu instid0(SALU_CYCLE_1)
	s_and_not1_b32 vcc_lo, exec_lo, s0
	s_cbranch_vccnz .LBB12_710
; %bb.695:
	v_cmp_gt_i16_e32 vcc_lo, 2, v6
	s_mov_b32 s0, -1
	s_cbranch_vccnz .LBB12_705
; %bb.696:
	v_cmp_gt_i16_e32 vcc_lo, 3, v6
	s_cbranch_vccnz .LBB12_702
; %bb.697:
	v_cmp_lt_i16_e32 vcc_lo, 3, v6
	s_cbranch_vccz .LBB12_699
; %bb.698:
	v_trunc_f64_e32 v[2:3], v[0:1]
	s_mov_b32 s0, 0
	s_delay_alu instid0(VALU_DEP_1) | instskip(NEXT) | instid1(VALU_DEP_1)
	v_ldexp_f64 v[7:8], v[2:3], 0xffffffe0
	v_floor_f64_e32 v[7:8], v[7:8]
	s_delay_alu instid0(VALU_DEP_1) | instskip(SKIP_1) | instid1(VALU_DEP_2)
	v_fma_f64 v[2:3], 0xc1f00000, v[7:8], v[2:3]
	v_cvt_i32_f64_e32 v8, v[7:8]
	v_cvt_u32_f64_e32 v7, v[2:3]
	global_store_b64 v[4:5], v[7:8], off
.LBB12_699:
	s_and_not1_b32 vcc_lo, exec_lo, s0
	s_cbranch_vccnz .LBB12_701
; %bb.700:
	v_cvt_i32_f64_e32 v2, v[0:1]
	global_store_b32 v[4:5], v2, off
.LBB12_701:
	s_mov_b32 s0, 0
.LBB12_702:
	s_delay_alu instid0(SALU_CYCLE_1)
	s_and_not1_b32 vcc_lo, exec_lo, s0
	s_cbranch_vccnz .LBB12_704
; %bb.703:
	v_cvt_i32_f64_e32 v2, v[0:1]
	global_store_b16 v[4:5], v2, off
.LBB12_704:
	s_mov_b32 s0, 0
.LBB12_705:
	s_delay_alu instid0(SALU_CYCLE_1)
	s_and_not1_b32 vcc_lo, exec_lo, s0
	s_cbranch_vccnz .LBB12_710
; %bb.706:
	v_cmp_lt_i16_e32 vcc_lo, 0, v6
	s_mov_b32 s0, -1
	s_cbranch_vccz .LBB12_708
; %bb.707:
	v_cvt_i32_f64_e32 v2, v[0:1]
	s_mov_b32 s0, 0
	global_store_b8 v[4:5], v2, off
.LBB12_708:
	s_and_not1_b32 vcc_lo, exec_lo, s0
	s_cbranch_vccnz .LBB12_710
; %bb.709:
	v_trunc_f64_e32 v[0:1], v[0:1]
	s_delay_alu instid0(VALU_DEP_1) | instskip(NEXT) | instid1(VALU_DEP_1)
	v_ldexp_f64 v[2:3], v[0:1], 0xffffffe0
	v_floor_f64_e32 v[2:3], v[2:3]
	s_delay_alu instid0(VALU_DEP_1) | instskip(NEXT) | instid1(VALU_DEP_1)
	v_fma_f64 v[0:1], 0xc1f00000, v[2:3], v[0:1]
	v_cvt_u32_f64_e32 v0, v[0:1]
	global_store_b8 v[4:5], v0, off
	s_endpgm
.LBB12_710:
	s_endpgm
.LBB12_711:
	s_mov_b32 s4, -1
                                        ; implicit-def: $vgpr46
                                        ; implicit-def: $vgpr2
	s_branch .LBB12_716
.LBB12_712:
	v_mov_b32_e32 v0, v41
	v_mov_b32_e32 v2, 0
.LBB12_713:
	s_and_b32 s6, s6, 3
	s_delay_alu instid0(SALU_CYCLE_1)
	s_cmp_eq_u32 s6, 0
	s_cbranch_scc1 .LBB12_716
; %bb.714:
	s_lshl_b32 s0, s5, 3
	s_mul_i32 s2, s5, 12
	s_add_u32 s0, s0, s42
	s_addc_u32 s1, s43, 0
	s_add_u32 s0, s0, 0xc4
	s_addc_u32 s1, s1, 0
	;; [unrolled: 2-line block ×3, first 2 shown]
	.p2align	6
.LBB12_715:                             ; =>This Inner Loop Header: Depth=1
	s_clause 0x1
	s_load_b64 s[8:9], s[2:3], 0x4
	s_load_b32 s5, s[2:3], 0xc
	s_load_b64 s[10:11], s[0:1], 0x0
	s_add_u32 s2, s2, 12
	s_addc_u32 s3, s3, 0
	s_add_u32 s0, s0, 8
	s_addc_u32 s1, s1, 0
	s_add_i32 s6, s6, -1
	s_delay_alu instid0(SALU_CYCLE_1) | instskip(SKIP_2) | instid1(VALU_DEP_1)
	s_cmp_lg_u32 s6, 0
	s_waitcnt lgkmcnt(0)
	v_mul_hi_u32 v1, s9, v0
	v_add_nc_u32_e32 v1, v0, v1
	s_delay_alu instid0(VALU_DEP_1) | instskip(NEXT) | instid1(VALU_DEP_1)
	v_lshrrev_b32_e32 v1, s5, v1
	v_mul_lo_u32 v3, v1, s8
	s_delay_alu instid0(VALU_DEP_1) | instskip(NEXT) | instid1(VALU_DEP_1)
	v_sub_nc_u32_e32 v0, v0, v3
	v_mad_u64_u32 v[3:4], null, v0, s10, v[46:47]
	s_delay_alu instid0(VALU_DEP_1) | instskip(SKIP_2) | instid1(VALU_DEP_2)
	v_mov_b32_e32 v46, v3
	v_mad_u64_u32 v[4:5], null, v0, s11, v[2:3]
	v_mov_b32_e32 v0, v1
	v_mov_b32_e32 v2, v4
	s_cbranch_scc1 .LBB12_715
.LBB12_716:
	s_and_not1_b32 vcc_lo, exec_lo, s4
	s_cbranch_vccnz .LBB12_719
; %bb.717:
	s_waitcnt lgkmcnt(0)
	v_mul_hi_u32 v0, s53, v41
	s_and_not1_b32 vcc_lo, exec_lo, s64
	s_delay_alu instid0(VALU_DEP_1) | instskip(NEXT) | instid1(VALU_DEP_1)
	v_add_nc_u32_e32 v0, v41, v0
	v_lshrrev_b32_e32 v0, s54, v0
	s_delay_alu instid0(VALU_DEP_1) | instskip(NEXT) | instid1(VALU_DEP_1)
	v_mul_lo_u32 v1, v0, s52
	v_sub_nc_u32_e32 v1, v41, v1
	s_delay_alu instid0(VALU_DEP_1)
	v_mul_lo_u32 v46, v1, s48
	v_mul_lo_u32 v2, v1, s49
	s_cbranch_vccnz .LBB12_719
; %bb.718:
	v_mul_hi_u32 v1, s56, v0
	s_delay_alu instid0(VALU_DEP_1) | instskip(NEXT) | instid1(VALU_DEP_1)
	v_add_nc_u32_e32 v1, v0, v1
	v_lshrrev_b32_e32 v1, s57, v1
	s_delay_alu instid0(VALU_DEP_1) | instskip(NEXT) | instid1(VALU_DEP_1)
	v_mul_lo_u32 v1, v1, s55
	v_sub_nc_u32_e32 v5, v0, v1
	s_delay_alu instid0(VALU_DEP_1) | instskip(SKIP_1) | instid1(VALU_DEP_2)
	v_mad_u64_u32 v[0:1], null, v5, s50, v[46:47]
	v_mad_u64_u32 v[3:4], null, v5, s51, v[2:3]
	v_mov_b32_e32 v46, v0
	s_delay_alu instid0(VALU_DEP_2)
	v_mov_b32_e32 v2, v3
.LBB12_719:
	s_waitcnt lgkmcnt(0)
	v_dual_mov_b32 v0, s46 :: v_dual_mov_b32 v1, s47
	v_mov_b32_e32 v3, v40
	s_getpc_b64 s[0:1]
	s_add_u32 s0, s0, _ZN2at6native6invokeIZZZNS0_12_GLOBAL__N_121bessel_y1_kernel_cudaERNS_18TensorIteratorBaseEENKUlvE_clEvENKUlvE_clEvEUldE_j15function_traitsIS7_EEENT1_11result_typeERKT_PrKPcPKT0_PKN3c1010ScalarTypeEi@rel32@lo+4
	s_addc_u32 s1, s1, _ZN2at6native6invokeIZZZNS0_12_GLOBAL__N_121bessel_y1_kernel_cudaERNS_18TensorIteratorBaseEENKUlvE_clEvENKUlvE_clEvEUldE_j15function_traitsIS7_EEENT1_11result_typeERKT_PrKPcPKT0_PKN3c1010ScalarTypeEi@rel32@hi+12
	s_delay_alu instid0(SALU_CYCLE_1) | instskip(SKIP_2) | instid1(VALU_DEP_1)
	s_swappc_b64 s[30:31], s[0:1]
	v_and_b32_e32 v6, 0xff, v42
	v_add_co_u32 v4, s0, s44, v46
	v_add_co_ci_u32_e64 v5, null, s45, 0, s0
	s_delay_alu instid0(VALU_DEP_3)
	v_cmp_gt_i16_e32 vcc_lo, 11, v6
	s_mov_b32 s1, 0
	s_mov_b32 s2, -1
	s_mov_b32 s0, s68
	s_cbranch_vccnz .LBB12_726
; %bb.720:
	v_cmp_lt_i16_e32 vcc_lo, 25, v6
	s_cbranch_vccz .LBB12_766
; %bb.721:
	v_cmp_lt_i16_e32 vcc_lo, 28, v6
	s_cbranch_vccz .LBB12_767
	;; [unrolled: 3-line block ×4, first 2 shown]
; %bb.724:
	v_cmp_eq_u16_e32 vcc_lo, 46, v6
	s_mov_b32 s2, 0
	s_mov_b32 s0, -1
	s_cbranch_vccz .LBB12_786
; %bb.725:
	v_cvt_f32_f64_e32 v2, v[0:1]
	s_mov_b32 s1, -1
	s_mov_b32 s0, 0
	s_delay_alu instid0(VALU_DEP_1) | instskip(SKIP_1) | instid1(VALU_DEP_2)
	v_bfe_u32 v3, v2, 16, 1
	v_cmp_o_f32_e32 vcc_lo, v2, v2
	v_add3_u32 v3, v2, v3, 0x7fff
	s_delay_alu instid0(VALU_DEP_1) | instskip(NEXT) | instid1(VALU_DEP_1)
	v_lshrrev_b32_e32 v3, 16, v3
	v_cndmask_b32_e32 v2, 0x7fc0, v3, vcc_lo
	global_store_b32 v[4:5], v2, off
	s_branch .LBB12_786
.LBB12_726:
	s_and_b32 vcc_lo, exec_lo, s2
	s_cbranch_vccz .LBB12_855
; %bb.727:
	v_cmp_gt_i16_e32 vcc_lo, 5, v6
	s_mov_b32 s1, -1
	s_cbranch_vccnz .LBB12_748
; %bb.728:
	v_cmp_gt_i16_e32 vcc_lo, 8, v6
	s_cbranch_vccnz .LBB12_738
; %bb.729:
	v_cmp_gt_i16_e32 vcc_lo, 9, v6
	s_cbranch_vccnz .LBB12_735
; %bb.730:
	v_cmp_lt_i16_e32 vcc_lo, 9, v6
	s_cbranch_vccz .LBB12_732
; %bb.731:
	v_mov_b32_e32 v2, 0
	s_mov_b32 s1, 0
	s_delay_alu instid0(VALU_DEP_1)
	v_mov_b32_e32 v3, v2
	global_store_b128 v[4:5], v[0:3], off
.LBB12_732:
	s_and_not1_b32 vcc_lo, exec_lo, s1
	s_cbranch_vccnz .LBB12_734
; %bb.733:
	v_cvt_f32_f64_e32 v2, v[0:1]
	v_mov_b32_e32 v3, 0
	global_store_b64 v[4:5], v[2:3], off
.LBB12_734:
	s_mov_b32 s1, 0
.LBB12_735:
	s_delay_alu instid0(SALU_CYCLE_1)
	s_and_not1_b32 vcc_lo, exec_lo, s1
	s_cbranch_vccnz .LBB12_737
; %bb.736:
	v_cvt_f32_f64_e32 v2, v[0:1]
	s_delay_alu instid0(VALU_DEP_1) | instskip(NEXT) | instid1(VALU_DEP_1)
	v_cvt_f16_f32_e32 v2, v2
	v_and_b32_e32 v2, 0xffff, v2
	global_store_b32 v[4:5], v2, off
.LBB12_737:
	s_mov_b32 s1, 0
.LBB12_738:
	s_delay_alu instid0(SALU_CYCLE_1)
	s_and_not1_b32 vcc_lo, exec_lo, s1
	s_cbranch_vccnz .LBB12_747
; %bb.739:
	v_cmp_gt_i16_e32 vcc_lo, 6, v6
	s_mov_b32 s1, -1
	s_cbranch_vccnz .LBB12_745
; %bb.740:
	v_cmp_lt_i16_e32 vcc_lo, 6, v6
	s_cbranch_vccz .LBB12_742
; %bb.741:
	s_mov_b32 s1, 0
	global_store_b64 v[4:5], v[0:1], off
.LBB12_742:
	s_and_not1_b32 vcc_lo, exec_lo, s1
	s_cbranch_vccnz .LBB12_744
; %bb.743:
	v_cvt_f32_f64_e32 v2, v[0:1]
	global_store_b32 v[4:5], v2, off
.LBB12_744:
	s_mov_b32 s1, 0
.LBB12_745:
	s_delay_alu instid0(SALU_CYCLE_1)
	s_and_not1_b32 vcc_lo, exec_lo, s1
	s_cbranch_vccnz .LBB12_747
; %bb.746:
	v_cvt_f32_f64_e32 v2, v[0:1]
	s_delay_alu instid0(VALU_DEP_1)
	v_cvt_f16_f32_e32 v2, v2
	global_store_b16 v[4:5], v2, off
.LBB12_747:
	s_mov_b32 s1, 0
.LBB12_748:
	s_delay_alu instid0(SALU_CYCLE_1)
	s_and_not1_b32 vcc_lo, exec_lo, s1
	s_cbranch_vccnz .LBB12_764
; %bb.749:
	v_cmp_gt_i16_e32 vcc_lo, 2, v6
	s_mov_b32 s1, -1
	s_cbranch_vccnz .LBB12_759
; %bb.750:
	v_cmp_gt_i16_e32 vcc_lo, 3, v6
	s_cbranch_vccnz .LBB12_756
; %bb.751:
	v_cmp_lt_i16_e32 vcc_lo, 3, v6
	s_cbranch_vccz .LBB12_753
; %bb.752:
	v_trunc_f64_e32 v[2:3], v[0:1]
	s_mov_b32 s1, 0
	s_delay_alu instid0(VALU_DEP_1) | instskip(NEXT) | instid1(VALU_DEP_1)
	v_ldexp_f64 v[7:8], v[2:3], 0xffffffe0
	v_floor_f64_e32 v[7:8], v[7:8]
	s_delay_alu instid0(VALU_DEP_1) | instskip(SKIP_1) | instid1(VALU_DEP_2)
	v_fma_f64 v[2:3], 0xc1f00000, v[7:8], v[2:3]
	v_cvt_i32_f64_e32 v8, v[7:8]
	v_cvt_u32_f64_e32 v7, v[2:3]
	global_store_b64 v[4:5], v[7:8], off
.LBB12_753:
	s_and_not1_b32 vcc_lo, exec_lo, s1
	s_cbranch_vccnz .LBB12_755
; %bb.754:
	v_cvt_i32_f64_e32 v2, v[0:1]
	global_store_b32 v[4:5], v2, off
.LBB12_755:
	s_mov_b32 s1, 0
.LBB12_756:
	s_delay_alu instid0(SALU_CYCLE_1)
	s_and_not1_b32 vcc_lo, exec_lo, s1
	s_cbranch_vccnz .LBB12_758
; %bb.757:
	v_cvt_i32_f64_e32 v2, v[0:1]
	global_store_b16 v[4:5], v2, off
.LBB12_758:
	s_mov_b32 s1, 0
.LBB12_759:
	s_delay_alu instid0(SALU_CYCLE_1)
	s_and_not1_b32 vcc_lo, exec_lo, s1
	s_cbranch_vccnz .LBB12_764
; %bb.760:
	v_cmp_lt_i16_e32 vcc_lo, 0, v6
	s_mov_b32 s1, -1
	s_cbranch_vccz .LBB12_762
; %bb.761:
	v_cvt_i32_f64_e32 v2, v[0:1]
	s_mov_b32 s1, 0
	global_store_b8 v[4:5], v2, off
.LBB12_762:
	s_and_not1_b32 vcc_lo, exec_lo, s1
	s_cbranch_vccnz .LBB12_764
; %bb.763:
	v_trunc_f64_e32 v[0:1], v[0:1]
	s_delay_alu instid0(VALU_DEP_1) | instskip(NEXT) | instid1(VALU_DEP_1)
	v_ldexp_f64 v[2:3], v[0:1], 0xffffffe0
	v_floor_f64_e32 v[2:3], v[2:3]
	s_delay_alu instid0(VALU_DEP_1) | instskip(NEXT) | instid1(VALU_DEP_1)
	v_fma_f64 v[0:1], 0xc1f00000, v[2:3], v[0:1]
	v_cvt_u32_f64_e32 v0, v[0:1]
	global_store_b8 v[4:5], v0, off
.LBB12_764:
	s_branch .LBB12_856
.LBB12_765:
	s_mov_b32 s1, 0
                                        ; implicit-def: $vgpr41
	s_branch .LBB12_857
.LBB12_766:
	s_mov_b32 s0, s68
	s_branch .LBB12_813
.LBB12_767:
	s_mov_b32 s0, s68
	s_branch .LBB12_796
.LBB12_768:
	s_or_saveexec_b32 s4, s4
                                        ; implicit-def: $sgpr5
	s_delay_alu instid0(SALU_CYCLE_1)
	s_xor_b32 exec_lo, exec_lo, s4
	s_cbranch_execz .LBB12_264
.LBB12_769:
	v_add_f32_e64 v5, 0x46000000, |v4|
	s_and_not1_b32 s3, s3, exec_lo
	s_mov_b32 s5, 0
	s_delay_alu instid0(VALU_DEP_1) | instskip(NEXT) | instid1(VALU_DEP_1)
	v_and_b32_e32 v5, 0xff, v5
	v_cmp_ne_u32_e32 vcc_lo, 0, v5
	s_and_b32 s6, vcc_lo, exec_lo
	s_delay_alu instid0(SALU_CYCLE_1)
	s_or_b32 s3, s3, s6
	s_or_b32 exec_lo, exec_lo, s4
	v_mov_b32_e32 v7, s5
	s_and_saveexec_b32 s4, s3
	s_cbranch_execnz .LBB12_265
	s_branch .LBB12_266
.LBB12_770:
	s_cbranch_execnz .LBB12_779
; %bb.771:
	s_or_b32 s1, s44, exec_lo
	s_cbranch_execz .LBB12_312
	s_branch .LBB12_313
.LBB12_772:
	s_or_saveexec_b32 s3, s3
                                        ; implicit-def: $sgpr4
	s_delay_alu instid0(SALU_CYCLE_1)
	s_xor_b32 exec_lo, exec_lo, s3
	s_cbranch_execz .LBB12_43
.LBB12_773:
	v_add_f32_e64 v3, 0x46000000, |v2|
	s_and_not1_b32 s2, s2, exec_lo
	s_mov_b32 s4, 0
	s_delay_alu instid0(VALU_DEP_1) | instskip(NEXT) | instid1(VALU_DEP_1)
	v_and_b32_e32 v3, 0xff, v3
	v_cmp_ne_u32_e32 vcc_lo, 0, v3
	s_and_b32 s5, vcc_lo, exec_lo
	s_delay_alu instid0(SALU_CYCLE_1)
	s_or_b32 s2, s2, s5
	s_or_b32 exec_lo, exec_lo, s3
	v_mov_b32_e32 v7, s4
	s_and_saveexec_b32 s3, s2
	s_cbranch_execnz .LBB12_44
	s_branch .LBB12_45
.LBB12_774:
	s_mov_b32 s0, s68
	s_branch .LBB12_792
.LBB12_775:
	s_or_saveexec_b32 s3, s3
                                        ; implicit-def: $sgpr4
	s_delay_alu instid0(SALU_CYCLE_1)
	s_xor_b32 exec_lo, exec_lo, s3
	s_cbranch_execz .LBB12_277
.LBB12_776:
	v_add_f32_e64 v5, 0x42800000, |v4|
	s_and_not1_b32 s2, s2, exec_lo
	s_mov_b32 s4, 0
	s_delay_alu instid0(VALU_DEP_1) | instskip(NEXT) | instid1(VALU_DEP_1)
	v_and_b32_e32 v5, 0xff, v5
	v_cmp_ne_u32_e32 vcc_lo, 0, v5
	s_and_b32 s5, vcc_lo, exec_lo
	s_delay_alu instid0(SALU_CYCLE_1)
	s_or_b32 s2, s2, s5
	s_or_b32 exec_lo, exec_lo, s3
	v_mov_b32_e32 v7, s4
	s_and_saveexec_b32 s3, s2
	s_cbranch_execnz .LBB12_278
	s_branch .LBB12_279
.LBB12_777:
	s_or_saveexec_b32 s5, s5
                                        ; implicit-def: $sgpr6
	s_delay_alu instid0(SALU_CYCLE_1)
	s_xor_b32 exec_lo, exec_lo, s5
	s_cbranch_execz .LBB12_382
.LBB12_778:
	v_add_f32_e64 v5, 0x46000000, |v4|
	s_and_not1_b32 s4, s4, exec_lo
	s_mov_b32 s6, 0
	s_delay_alu instid0(VALU_DEP_1) | instskip(NEXT) | instid1(VALU_DEP_1)
	v_and_b32_e32 v5, 0xff, v5
	v_cmp_ne_u32_e32 vcc_lo, 0, v5
	s_and_b32 s7, vcc_lo, exec_lo
	s_delay_alu instid0(SALU_CYCLE_1)
	s_or_b32 s4, s4, s7
	s_or_b32 exec_lo, exec_lo, s5
	v_mov_b32_e32 v7, s6
	s_and_saveexec_b32 s5, s4
	s_cbranch_execnz .LBB12_383
	s_branch .LBB12_384
.LBB12_779:
	s_trap 2
	s_sendmsg_rtn_b32 s0, sendmsg(MSG_RTN_GET_DOORBELL)
	s_mov_b32 ttmp2, m0
	s_waitcnt lgkmcnt(0)
	s_and_b32 s0, s0, 0x3ff
	s_delay_alu instid0(SALU_CYCLE_1) | instskip(NEXT) | instid1(SALU_CYCLE_1)
	s_bitset1_b32 s0, 10
	s_mov_b32 m0, s0
	s_sendmsg sendmsg(MSG_INTERRUPT)
	s_mov_b32 m0, ttmp2
.LBB12_780:                             ; =>This Inner Loop Header: Depth=1
	s_sethalt 5
	s_branch .LBB12_780
.LBB12_781:
	s_cbranch_execnz .LBB12_929
; %bb.782:
	s_or_b32 s1, s1, exec_lo
	s_cbranch_execz .LBB12_430
	s_branch .LBB12_431
.LBB12_783:
	s_or_saveexec_b32 s3, s3
                                        ; implicit-def: $sgpr4
	s_delay_alu instid0(SALU_CYCLE_1)
	s_xor_b32 exec_lo, exec_lo, s3
	s_cbranch_execz .LBB12_56
.LBB12_784:
	v_add_f32_e64 v3, 0x42800000, |v2|
	s_and_not1_b32 s2, s2, exec_lo
	s_mov_b32 s4, 0
	s_delay_alu instid0(VALU_DEP_1) | instskip(NEXT) | instid1(VALU_DEP_1)
	v_and_b32_e32 v3, 0xff, v3
	v_cmp_ne_u32_e32 vcc_lo, 0, v3
	s_and_b32 s5, vcc_lo, exec_lo
	s_delay_alu instid0(SALU_CYCLE_1)
	s_or_b32 s2, s2, s5
	s_or_b32 exec_lo, exec_lo, s3
	v_mov_b32_e32 v7, s4
	s_and_saveexec_b32 s3, s2
	s_cbranch_execnz .LBB12_57
	s_branch .LBB12_58
.LBB12_785:
	s_mov_b32 s0, s68
.LBB12_786:
	s_and_b32 vcc_lo, exec_lo, s2
	s_cbranch_vccz .LBB12_791
; %bb.787:
	v_cmp_eq_u16_e32 vcc_lo, 44, v6
	s_mov_b32 s0, -1
	s_cbranch_vccz .LBB12_791
; %bb.788:
	v_cvt_f32_f64_e32 v2, v[0:1]
	v_mov_b32_e32 v3, 0xff
	s_mov_b32 s1, exec_lo
	s_delay_alu instid0(VALU_DEP_2) | instskip(NEXT) | instid1(VALU_DEP_1)
	v_bfe_u32 v7, v2, 23, 8
	v_cmpx_ne_u32_e32 0xff, v7
; %bb.789:
	v_and_b32_e32 v3, 0x400000, v2
	v_and_or_b32 v7, 0x3fffff, v2, v7
	v_lshrrev_b32_e32 v2, 23, v2
	s_delay_alu instid0(VALU_DEP_3) | instskip(NEXT) | instid1(VALU_DEP_3)
	v_cmp_ne_u32_e32 vcc_lo, 0, v3
	v_cmp_ne_u32_e64 s0, 0, v7
	s_delay_alu instid0(VALU_DEP_1) | instskip(NEXT) | instid1(SALU_CYCLE_1)
	s_and_b32 s0, vcc_lo, s0
	v_cndmask_b32_e64 v3, 0, 1, s0
	s_delay_alu instid0(VALU_DEP_1)
	v_add_nc_u32_e32 v3, v2, v3
; %bb.790:
	s_or_b32 exec_lo, exec_lo, s1
	s_mov_b32 s1, -1
	s_mov_b32 s0, 0
	global_store_b8 v[4:5], v3, off
.LBB12_791:
	s_mov_b32 s2, 0
.LBB12_792:
	s_delay_alu instid0(SALU_CYCLE_1)
	s_and_b32 vcc_lo, exec_lo, s2
	s_cbranch_vccz .LBB12_795
; %bb.793:
	v_cmp_eq_u16_e32 vcc_lo, 29, v6
	s_mov_b32 s0, -1
	s_cbranch_vccz .LBB12_795
; %bb.794:
	v_trunc_f64_e32 v[2:3], v[0:1]
	s_mov_b32 s1, -1
	s_mov_b32 s0, 0
	s_mov_b32 s2, 0
	s_delay_alu instid0(VALU_DEP_1) | instskip(NEXT) | instid1(VALU_DEP_1)
	v_ldexp_f64 v[7:8], v[2:3], 0xffffffe0
	v_floor_f64_e32 v[7:8], v[7:8]
	s_delay_alu instid0(VALU_DEP_1) | instskip(SKIP_1) | instid1(VALU_DEP_2)
	v_fma_f64 v[2:3], 0xc1f00000, v[7:8], v[2:3]
	v_cvt_u32_f64_e32 v8, v[7:8]
	v_cvt_u32_f64_e32 v7, v[2:3]
	global_store_b64 v[4:5], v[7:8], off
	s_branch .LBB12_796
.LBB12_795:
	s_mov_b32 s2, 0
.LBB12_796:
	s_delay_alu instid0(SALU_CYCLE_1)
	s_and_b32 vcc_lo, exec_lo, s2
	s_cbranch_vccz .LBB12_812
; %bb.797:
	v_cmp_gt_i16_e32 vcc_lo, 27, v6
	s_mov_b32 s1, -1
	s_cbranch_vccnz .LBB12_803
; %bb.798:
	v_cmp_lt_i16_e32 vcc_lo, 27, v6
	s_cbranch_vccz .LBB12_800
; %bb.799:
	v_cvt_u32_f64_e32 v2, v[0:1]
	s_mov_b32 s1, 0
	global_store_b32 v[4:5], v2, off
.LBB12_800:
	s_and_not1_b32 vcc_lo, exec_lo, s1
	s_cbranch_vccnz .LBB12_802
; %bb.801:
	v_cvt_u32_f64_e32 v2, v[0:1]
	global_store_b16 v[4:5], v2, off
.LBB12_802:
	s_mov_b32 s1, 0
.LBB12_803:
	s_delay_alu instid0(SALU_CYCLE_1)
	s_and_not1_b32 vcc_lo, exec_lo, s1
	s_cbranch_vccnz .LBB12_811
; %bb.804:
	v_cvt_f32_f64_e32 v2, v[0:1]
	v_mov_b32_e32 v7, 0x80
	s_mov_b32 s1, exec_lo
	s_delay_alu instid0(VALU_DEP_2) | instskip(NEXT) | instid1(VALU_DEP_1)
	v_and_b32_e32 v3, 0x7fffffff, v2
	v_cmpx_gt_u32_e32 0x43800000, v3
	s_cbranch_execz .LBB12_810
; %bb.805:
	v_cmp_lt_u32_e32 vcc_lo, 0x3bffffff, v3
	s_mov_b32 s2, 0
                                        ; implicit-def: $vgpr3
	s_and_saveexec_b32 s3, vcc_lo
	s_delay_alu instid0(SALU_CYCLE_1)
	s_xor_b32 s3, exec_lo, s3
	s_cbranch_execz .LBB12_922
; %bb.806:
	v_bfe_u32 v3, v2, 20, 1
	s_mov_b32 s2, exec_lo
	s_delay_alu instid0(VALU_DEP_1) | instskip(NEXT) | instid1(VALU_DEP_1)
	v_add3_u32 v3, v2, v3, 0x487ffff
	v_lshrrev_b32_e32 v3, 20, v3
	s_or_saveexec_b32 s3, s3
                                        ; implicit-def: $sgpr4
	s_delay_alu instid0(SALU_CYCLE_1)
	s_xor_b32 exec_lo, exec_lo, s3
	s_cbranch_execnz .LBB12_923
.LBB12_807:
	s_or_b32 exec_lo, exec_lo, s3
	v_mov_b32_e32 v7, s4
	s_and_saveexec_b32 s3, s2
.LBB12_808:
	v_lshrrev_b32_e32 v2, 24, v2
	s_delay_alu instid0(VALU_DEP_1)
	v_and_or_b32 v7, 0x80, v2, v3
.LBB12_809:
	s_or_b32 exec_lo, exec_lo, s3
.LBB12_810:
	s_delay_alu instid0(SALU_CYCLE_1)
	s_or_b32 exec_lo, exec_lo, s1
	global_store_b8 v[4:5], v7, off
.LBB12_811:
	s_mov_b32 s1, -1
.LBB12_812:
	s_mov_b32 s2, 0
.LBB12_813:
	s_delay_alu instid0(SALU_CYCLE_1)
	s_and_b32 vcc_lo, exec_lo, s2
	s_cbranch_vccz .LBB12_854
; %bb.814:
	v_cmp_lt_i16_e32 vcc_lo, 22, v6
	s_mov_b32 s2, -1
	s_cbranch_vccz .LBB12_846
; %bb.815:
	v_cmp_gt_i16_e32 vcc_lo, 24, v6
	s_mov_b32 s1, -1
	s_cbranch_vccnz .LBB12_835
; %bb.816:
	v_cmp_lt_i16_e32 vcc_lo, 24, v6
	s_cbranch_vccz .LBB12_824
; %bb.817:
	v_cvt_f32_f64_e32 v2, v[0:1]
	v_mov_b32_e32 v7, 0x80
	s_mov_b32 s1, exec_lo
	s_delay_alu instid0(VALU_DEP_2) | instskip(NEXT) | instid1(VALU_DEP_1)
	v_and_b32_e32 v3, 0x7fffffff, v2
	v_cmpx_gt_u32_e32 0x47800000, v3
	s_cbranch_execz .LBB12_823
; %bb.818:
	v_cmp_lt_u32_e32 vcc_lo, 0x37ffffff, v3
	s_mov_b32 s2, 0
                                        ; implicit-def: $vgpr3
	s_and_saveexec_b32 s3, vcc_lo
	s_delay_alu instid0(SALU_CYCLE_1)
	s_xor_b32 s3, exec_lo, s3
	s_cbranch_execz .LBB12_933
; %bb.819:
	v_bfe_u32 v3, v2, 21, 1
	s_mov_b32 s2, exec_lo
	s_delay_alu instid0(VALU_DEP_1) | instskip(NEXT) | instid1(VALU_DEP_1)
	v_add3_u32 v3, v2, v3, 0x88fffff
	v_lshrrev_b32_e32 v3, 21, v3
	s_or_saveexec_b32 s3, s3
                                        ; implicit-def: $sgpr4
	s_delay_alu instid0(SALU_CYCLE_1)
	s_xor_b32 exec_lo, exec_lo, s3
	s_cbranch_execnz .LBB12_934
.LBB12_820:
	s_or_b32 exec_lo, exec_lo, s3
	v_mov_b32_e32 v7, s4
	s_and_saveexec_b32 s3, s2
.LBB12_821:
	v_lshrrev_b32_e32 v2, 24, v2
	s_delay_alu instid0(VALU_DEP_1)
	v_and_or_b32 v7, 0x80, v2, v3
.LBB12_822:
	s_or_b32 exec_lo, exec_lo, s3
.LBB12_823:
	s_delay_alu instid0(SALU_CYCLE_1)
	s_or_b32 exec_lo, exec_lo, s1
	s_mov_b32 s1, 0
	global_store_b8 v[4:5], v7, off
.LBB12_824:
	s_and_b32 vcc_lo, exec_lo, s1
	s_cbranch_vccz .LBB12_834
; %bb.825:
	v_cvt_f32_f64_e32 v2, v[0:1]
	s_mov_b32 s1, exec_lo
                                        ; implicit-def: $vgpr3
	s_delay_alu instid0(VALU_DEP_1) | instskip(NEXT) | instid1(VALU_DEP_1)
	v_and_b32_e32 v7, 0x7fffffff, v2
	v_cmpx_gt_u32_e32 0x43f00000, v7
	s_xor_b32 s1, exec_lo, s1
	s_cbranch_execz .LBB12_831
; %bb.826:
	s_mov_b32 s2, exec_lo
                                        ; implicit-def: $vgpr3
	v_cmpx_lt_u32_e32 0x3c7fffff, v7
	s_xor_b32 s2, exec_lo, s2
; %bb.827:
	v_bfe_u32 v3, v2, 20, 1
	s_delay_alu instid0(VALU_DEP_1) | instskip(NEXT) | instid1(VALU_DEP_1)
	v_add3_u32 v3, v2, v3, 0x407ffff
	v_and_b32_e32 v7, 0xff00000, v3
	v_lshrrev_b32_e32 v3, 20, v3
	s_delay_alu instid0(VALU_DEP_2) | instskip(NEXT) | instid1(VALU_DEP_2)
	v_cmp_ne_u32_e32 vcc_lo, 0x7f00000, v7
	v_cndmask_b32_e32 v3, 0x7e, v3, vcc_lo
; %bb.828:
	s_and_not1_saveexec_b32 s2, s2
; %bb.829:
	v_add_f32_e64 v3, 0x46800000, |v2|
; %bb.830:
	s_or_b32 exec_lo, exec_lo, s2
                                        ; implicit-def: $vgpr7
.LBB12_831:
	s_and_not1_saveexec_b32 s1, s1
; %bb.832:
	v_mov_b32_e32 v3, 0x7f
	v_cmp_lt_u32_e32 vcc_lo, 0x7f800000, v7
	s_delay_alu instid0(VALU_DEP_2)
	v_cndmask_b32_e32 v3, 0x7e, v3, vcc_lo
; %bb.833:
	s_or_b32 exec_lo, exec_lo, s1
	v_lshrrev_b32_e32 v2, 24, v2
	s_delay_alu instid0(VALU_DEP_1)
	v_and_or_b32 v2, 0x80, v2, v3
	global_store_b8 v[4:5], v2, off
.LBB12_834:
	s_mov_b32 s1, 0
.LBB12_835:
	s_delay_alu instid0(SALU_CYCLE_1)
	s_and_not1_b32 vcc_lo, exec_lo, s1
	s_cbranch_vccnz .LBB12_845
; %bb.836:
	v_cvt_f32_f64_e32 v2, v[0:1]
	s_mov_b32 s1, exec_lo
                                        ; implicit-def: $vgpr3
	s_delay_alu instid0(VALU_DEP_1) | instskip(NEXT) | instid1(VALU_DEP_1)
	v_and_b32_e32 v7, 0x7fffffff, v2
	v_cmpx_gt_u32_e32 0x47800000, v7
	s_xor_b32 s1, exec_lo, s1
	s_cbranch_execz .LBB12_842
; %bb.837:
	s_mov_b32 s2, exec_lo
                                        ; implicit-def: $vgpr3
	v_cmpx_lt_u32_e32 0x387fffff, v7
	s_xor_b32 s2, exec_lo, s2
; %bb.838:
	v_bfe_u32 v3, v2, 21, 1
	s_delay_alu instid0(VALU_DEP_1) | instskip(NEXT) | instid1(VALU_DEP_1)
	v_add3_u32 v3, v2, v3, 0x80fffff
	v_lshrrev_b32_e32 v3, 21, v3
; %bb.839:
	s_and_not1_saveexec_b32 s2, s2
; %bb.840:
	v_add_f32_e64 v3, 0x43000000, |v2|
; %bb.841:
	s_or_b32 exec_lo, exec_lo, s2
                                        ; implicit-def: $vgpr7
.LBB12_842:
	s_and_not1_saveexec_b32 s1, s1
; %bb.843:
	v_mov_b32_e32 v3, 0x7f
	v_cmp_lt_u32_e32 vcc_lo, 0x7f800000, v7
	s_delay_alu instid0(VALU_DEP_2)
	v_cndmask_b32_e32 v3, 0x7c, v3, vcc_lo
; %bb.844:
	s_or_b32 exec_lo, exec_lo, s1
	v_lshrrev_b32_e32 v2, 24, v2
	s_delay_alu instid0(VALU_DEP_1)
	v_and_or_b32 v2, 0x80, v2, v3
	global_store_b8 v[4:5], v2, off
.LBB12_845:
	s_mov_b32 s2, 0
	s_mov_b32 s1, -1
.LBB12_846:
	s_and_not1_b32 vcc_lo, exec_lo, s2
	s_cbranch_vccnz .LBB12_854
; %bb.847:
	v_cmp_lt_i16_e32 vcc_lo, 14, v6
	s_mov_b32 s2, -1
	s_cbranch_vccz .LBB12_851
; %bb.848:
	v_cmp_eq_u16_e32 vcc_lo, 15, v6
	s_mov_b32 s0, -1
	s_cbranch_vccz .LBB12_850
; %bb.849:
	v_cvt_f32_f64_e32 v2, v[0:1]
	s_mov_b32 s1, -1
	s_mov_b32 s0, 0
	s_delay_alu instid0(VALU_DEP_1) | instskip(SKIP_1) | instid1(VALU_DEP_2)
	v_bfe_u32 v3, v2, 16, 1
	v_cmp_o_f32_e32 vcc_lo, v2, v2
	v_add3_u32 v3, v2, v3, 0x7fff
	s_delay_alu instid0(VALU_DEP_1) | instskip(NEXT) | instid1(VALU_DEP_1)
	v_lshrrev_b32_e32 v3, 16, v3
	v_cndmask_b32_e32 v2, 0x7fc0, v3, vcc_lo
	global_store_b16 v[4:5], v2, off
.LBB12_850:
	s_mov_b32 s2, 0
.LBB12_851:
	s_delay_alu instid0(SALU_CYCLE_1)
	s_and_b32 vcc_lo, exec_lo, s2
	s_cbranch_vccz .LBB12_854
; %bb.852:
	v_cmp_eq_u16_e32 vcc_lo, 11, v6
	s_mov_b32 s0, -1
	s_cbranch_vccz .LBB12_854
; %bb.853:
	v_cmp_neq_f64_e32 vcc_lo, 0, v[0:1]
	s_mov_b32 s1, -1
	s_mov_b32 s0, 0
	v_cndmask_b32_e64 v2, 0, 1, vcc_lo
	global_store_b8 v[4:5], v2, off
.LBB12_854:
.LBB12_855:
	s_and_not1_b32 vcc_lo, exec_lo, s1
	s_cbranch_vccnz .LBB12_765
.LBB12_856:
	v_add_nc_u32_e32 v41, 0x80, v41
	s_mov_b32 s1, -1
.LBB12_857:
	s_and_not1_b32 s2, s68, exec_lo
	s_and_b32 s0, s0, exec_lo
	s_delay_alu instid0(SALU_CYCLE_1)
	s_or_b32 s70, s2, s0
	s_or_not1_b32 s2, s1, exec_lo
.LBB12_858:
	s_or_b32 exec_lo, exec_lo, s71
	s_mov_b32 s0, 0
	s_mov_b32 s1, 0
                                        ; implicit-def: $vgpr6
                                        ; implicit-def: $vgpr4_vgpr5
                                        ; implicit-def: $vgpr0_vgpr1
	s_and_saveexec_b32 s71, s2
	s_cbranch_execz .LBB12_1101
; %bb.859:
	s_mov_b32 s2, -1
	s_mov_b32 s73, s70
	s_mov_b32 s72, exec_lo
	v_cmpx_gt_i32_e64 s65, v41
	s_cbranch_execz .LBB12_1008
; %bb.860:
	s_and_not1_b32 vcc_lo, exec_lo, s62
	s_cbranch_vccnz .LBB12_865
; %bb.861:
	v_mov_b32_e32 v46, 0
	v_mov_b32_e32 v2, 0
	s_and_not1_b32 vcc_lo, exec_lo, s67
	s_mov_b32 s4, 0
	s_cbranch_vccnz .LBB12_870
; %bb.862:
	v_mov_b32_e32 v46, 0
	s_add_i32 s6, s66, 1
	s_cmp_eq_u32 s60, 2
	s_mov_b32 s5, 0
	s_cbranch_scc1 .LBB12_866
; %bb.863:
	v_mov_b32_e32 v2, 0
	v_mov_b32_e32 v46, 0
	;; [unrolled: 1-line block ×3, first 2 shown]
	s_and_b32 s5, s6, 28
	s_mov_b32 s7, 0
	s_mov_b64 s[0:1], s[58:59]
	s_mov_b64 s[2:3], s[42:43]
.LBB12_864:                             ; =>This Inner Loop Header: Depth=1
	s_clause 0x1
	s_load_b256 s[8:15], s[2:3], 0x4
	s_load_b128 s[24:27], s[2:3], 0x24
	s_load_b256 s[16:23], s[0:1], 0x0
	s_add_u32 s2, s2, 48
	s_addc_u32 s3, s3, 0
	s_add_i32 s7, s7, 4
	s_add_u32 s0, s0, 32
	s_addc_u32 s1, s1, 0
	s_cmp_eq_u32 s5, s7
	s_waitcnt lgkmcnt(0)
	v_mul_hi_u32 v1, s9, v0
	s_delay_alu instid0(VALU_DEP_1) | instskip(NEXT) | instid1(VALU_DEP_1)
	v_add_nc_u32_e32 v1, v0, v1
	v_lshrrev_b32_e32 v1, s10, v1
	s_delay_alu instid0(VALU_DEP_1) | instskip(SKIP_1) | instid1(VALU_DEP_2)
	v_mul_hi_u32 v3, s12, v1
	v_mul_lo_u32 v5, v1, s8
	v_add_nc_u32_e32 v3, v1, v3
	s_delay_alu instid0(VALU_DEP_2) | instskip(NEXT) | instid1(VALU_DEP_2)
	v_sub_nc_u32_e32 v0, v0, v5
	v_lshrrev_b32_e32 v3, s13, v3
	s_delay_alu instid0(VALU_DEP_2) | instskip(SKIP_1) | instid1(VALU_DEP_3)
	v_mul_lo_u32 v5, v0, s16
	v_mul_lo_u32 v7, v0, s17
	v_mul_hi_u32 v4, s15, v3
	s_delay_alu instid0(VALU_DEP_1) | instskip(NEXT) | instid1(VALU_DEP_1)
	v_add_nc_u32_e32 v4, v3, v4
	v_lshrrev_b32_e32 v4, s24, v4
	s_delay_alu instid0(VALU_DEP_1) | instskip(SKIP_1) | instid1(VALU_DEP_2)
	v_mul_hi_u32 v6, s26, v4
	v_mul_lo_u32 v8, v4, s14
	v_add_nc_u32_e32 v0, v4, v6
	v_mul_lo_u32 v6, v3, s11
	s_delay_alu instid0(VALU_DEP_3) | instskip(NEXT) | instid1(VALU_DEP_3)
	v_sub_nc_u32_e32 v3, v3, v8
	v_lshrrev_b32_e32 v0, s27, v0
	s_delay_alu instid0(VALU_DEP_2) | instskip(SKIP_2) | instid1(VALU_DEP_4)
	v_mul_lo_u32 v8, v3, s20
	v_mul_lo_u32 v3, v3, s21
	v_sub_nc_u32_e32 v1, v1, v6
	v_mul_lo_u32 v9, v0, s25
	s_delay_alu instid0(VALU_DEP_2) | instskip(SKIP_1) | instid1(VALU_DEP_3)
	v_mul_lo_u32 v6, v1, s18
	v_mul_lo_u32 v1, v1, s19
	v_sub_nc_u32_e32 v4, v4, v9
	s_delay_alu instid0(VALU_DEP_3) | instskip(NEXT) | instid1(VALU_DEP_2)
	v_add3_u32 v5, v5, v46, v6
	v_mul_lo_u32 v9, v4, s22
	v_mul_lo_u32 v4, v4, s23
	v_add3_u32 v1, v7, v2, v1
	s_delay_alu instid0(VALU_DEP_3) | instskip(NEXT) | instid1(VALU_DEP_2)
	v_add3_u32 v46, v8, v5, v9
	v_add3_u32 v2, v3, v1, v4
	s_cbranch_scc0 .LBB12_864
	s_branch .LBB12_867
.LBB12_865:
	s_mov_b32 s4, -1
                                        ; implicit-def: $vgpr46
                                        ; implicit-def: $vgpr2
	s_branch .LBB12_870
.LBB12_866:
	v_mov_b32_e32 v0, v41
	v_mov_b32_e32 v2, 0
.LBB12_867:
	s_and_b32 s6, s6, 3
	s_delay_alu instid0(SALU_CYCLE_1)
	s_cmp_eq_u32 s6, 0
	s_cbranch_scc1 .LBB12_870
; %bb.868:
	s_lshl_b32 s0, s5, 3
	s_mul_i32 s2, s5, 12
	s_add_u32 s0, s0, s42
	s_addc_u32 s1, s43, 0
	s_add_u32 s0, s0, 0xc4
	s_addc_u32 s1, s1, 0
	;; [unrolled: 2-line block ×3, first 2 shown]
	.p2align	6
.LBB12_869:                             ; =>This Inner Loop Header: Depth=1
	s_clause 0x1
	s_load_b64 s[8:9], s[2:3], 0x4
	s_load_b32 s5, s[2:3], 0xc
	s_load_b64 s[10:11], s[0:1], 0x0
	s_add_u32 s2, s2, 12
	s_addc_u32 s3, s3, 0
	s_add_u32 s0, s0, 8
	s_addc_u32 s1, s1, 0
	s_add_i32 s6, s6, -1
	s_delay_alu instid0(SALU_CYCLE_1) | instskip(SKIP_2) | instid1(VALU_DEP_1)
	s_cmp_lg_u32 s6, 0
	s_waitcnt lgkmcnt(0)
	v_mul_hi_u32 v1, s9, v0
	v_add_nc_u32_e32 v1, v0, v1
	s_delay_alu instid0(VALU_DEP_1) | instskip(NEXT) | instid1(VALU_DEP_1)
	v_lshrrev_b32_e32 v1, s5, v1
	v_mul_lo_u32 v3, v1, s8
	s_delay_alu instid0(VALU_DEP_1) | instskip(NEXT) | instid1(VALU_DEP_1)
	v_sub_nc_u32_e32 v0, v0, v3
	v_mad_u64_u32 v[3:4], null, v0, s10, v[46:47]
	s_delay_alu instid0(VALU_DEP_1) | instskip(SKIP_2) | instid1(VALU_DEP_2)
	v_mov_b32_e32 v46, v3
	v_mad_u64_u32 v[4:5], null, v0, s11, v[2:3]
	v_mov_b32_e32 v0, v1
	v_mov_b32_e32 v2, v4
	s_cbranch_scc1 .LBB12_869
.LBB12_870:
	s_and_not1_b32 vcc_lo, exec_lo, s4
	s_cbranch_vccnz .LBB12_873
; %bb.871:
	s_waitcnt lgkmcnt(0)
	v_mul_hi_u32 v0, s53, v41
	s_and_not1_b32 vcc_lo, exec_lo, s64
	s_delay_alu instid0(VALU_DEP_1) | instskip(NEXT) | instid1(VALU_DEP_1)
	v_add_nc_u32_e32 v0, v41, v0
	v_lshrrev_b32_e32 v0, s54, v0
	s_delay_alu instid0(VALU_DEP_1) | instskip(NEXT) | instid1(VALU_DEP_1)
	v_mul_lo_u32 v1, v0, s52
	v_sub_nc_u32_e32 v1, v41, v1
	s_delay_alu instid0(VALU_DEP_1)
	v_mul_lo_u32 v46, v1, s48
	v_mul_lo_u32 v2, v1, s49
	s_cbranch_vccnz .LBB12_873
; %bb.872:
	v_mul_hi_u32 v1, s56, v0
	s_delay_alu instid0(VALU_DEP_1) | instskip(NEXT) | instid1(VALU_DEP_1)
	v_add_nc_u32_e32 v1, v0, v1
	v_lshrrev_b32_e32 v1, s57, v1
	s_delay_alu instid0(VALU_DEP_1) | instskip(NEXT) | instid1(VALU_DEP_1)
	v_mul_lo_u32 v1, v1, s55
	v_sub_nc_u32_e32 v5, v0, v1
	s_delay_alu instid0(VALU_DEP_1) | instskip(SKIP_1) | instid1(VALU_DEP_2)
	v_mad_u64_u32 v[0:1], null, v5, s50, v[46:47]
	v_mad_u64_u32 v[3:4], null, v5, s51, v[2:3]
	v_mov_b32_e32 v46, v0
	s_delay_alu instid0(VALU_DEP_2)
	v_mov_b32_e32 v2, v3
.LBB12_873:
	s_waitcnt lgkmcnt(0)
	v_dual_mov_b32 v0, s46 :: v_dual_mov_b32 v1, s47
	v_mov_b32_e32 v3, v40
	s_getpc_b64 s[0:1]
	s_add_u32 s0, s0, _ZN2at6native6invokeIZZZNS0_12_GLOBAL__N_121bessel_y1_kernel_cudaERNS_18TensorIteratorBaseEENKUlvE_clEvENKUlvE_clEvEUldE_j15function_traitsIS7_EEENT1_11result_typeERKT_PrKPcPKT0_PKN3c1010ScalarTypeEi@rel32@lo+4
	s_addc_u32 s1, s1, _ZN2at6native6invokeIZZZNS0_12_GLOBAL__N_121bessel_y1_kernel_cudaERNS_18TensorIteratorBaseEENKUlvE_clEvENKUlvE_clEvEUldE_j15function_traitsIS7_EEENT1_11result_typeERKT_PrKPcPKT0_PKN3c1010ScalarTypeEi@rel32@hi+12
	s_delay_alu instid0(SALU_CYCLE_1) | instskip(SKIP_2) | instid1(VALU_DEP_1)
	s_swappc_b64 s[30:31], s[0:1]
	v_and_b32_e32 v6, 0xff, v42
	v_add_co_u32 v4, s0, s44, v46
	v_add_co_ci_u32_e64 v5, null, s45, 0, s0
	s_delay_alu instid0(VALU_DEP_3)
	v_cmp_gt_i16_e32 vcc_lo, 11, v6
	s_mov_b32 s1, 0
	s_mov_b32 s2, -1
	s_mov_b32 s0, s70
	s_cbranch_vccnz .LBB12_880
; %bb.874:
	v_cmp_lt_i16_e32 vcc_lo, 25, v6
	s_cbranch_vccz .LBB12_920
; %bb.875:
	v_cmp_lt_i16_e32 vcc_lo, 28, v6
	s_cbranch_vccz .LBB12_921
	;; [unrolled: 3-line block ×4, first 2 shown]
; %bb.878:
	v_cmp_eq_u16_e32 vcc_lo, 46, v6
	s_mov_b32 s2, 0
	s_mov_b32 s0, -1
	s_cbranch_vccz .LBB12_936
; %bb.879:
	v_cvt_f32_f64_e32 v2, v[0:1]
	s_mov_b32 s1, -1
	s_mov_b32 s0, 0
	s_delay_alu instid0(VALU_DEP_1) | instskip(SKIP_1) | instid1(VALU_DEP_2)
	v_bfe_u32 v3, v2, 16, 1
	v_cmp_o_f32_e32 vcc_lo, v2, v2
	v_add3_u32 v3, v2, v3, 0x7fff
	s_delay_alu instid0(VALU_DEP_1) | instskip(NEXT) | instid1(VALU_DEP_1)
	v_lshrrev_b32_e32 v3, 16, v3
	v_cndmask_b32_e32 v2, 0x7fc0, v3, vcc_lo
	global_store_b32 v[4:5], v2, off
	s_branch .LBB12_936
.LBB12_880:
	s_and_b32 vcc_lo, exec_lo, s2
	s_cbranch_vccz .LBB12_1005
; %bb.881:
	v_cmp_gt_i16_e32 vcc_lo, 5, v6
	s_mov_b32 s1, -1
	s_cbranch_vccnz .LBB12_902
; %bb.882:
	v_cmp_gt_i16_e32 vcc_lo, 8, v6
	s_cbranch_vccnz .LBB12_892
; %bb.883:
	v_cmp_gt_i16_e32 vcc_lo, 9, v6
	s_cbranch_vccnz .LBB12_889
; %bb.884:
	v_cmp_lt_i16_e32 vcc_lo, 9, v6
	s_cbranch_vccz .LBB12_886
; %bb.885:
	v_mov_b32_e32 v2, 0
	s_mov_b32 s1, 0
	s_delay_alu instid0(VALU_DEP_1)
	v_mov_b32_e32 v3, v2
	global_store_b128 v[4:5], v[0:3], off
.LBB12_886:
	s_and_not1_b32 vcc_lo, exec_lo, s1
	s_cbranch_vccnz .LBB12_888
; %bb.887:
	v_cvt_f32_f64_e32 v2, v[0:1]
	v_mov_b32_e32 v3, 0
	global_store_b64 v[4:5], v[2:3], off
.LBB12_888:
	s_mov_b32 s1, 0
.LBB12_889:
	s_delay_alu instid0(SALU_CYCLE_1)
	s_and_not1_b32 vcc_lo, exec_lo, s1
	s_cbranch_vccnz .LBB12_891
; %bb.890:
	v_cvt_f32_f64_e32 v2, v[0:1]
	s_delay_alu instid0(VALU_DEP_1) | instskip(NEXT) | instid1(VALU_DEP_1)
	v_cvt_f16_f32_e32 v2, v2
	v_and_b32_e32 v2, 0xffff, v2
	global_store_b32 v[4:5], v2, off
.LBB12_891:
	s_mov_b32 s1, 0
.LBB12_892:
	s_delay_alu instid0(SALU_CYCLE_1)
	s_and_not1_b32 vcc_lo, exec_lo, s1
	s_cbranch_vccnz .LBB12_901
; %bb.893:
	v_cmp_gt_i16_e32 vcc_lo, 6, v6
	s_mov_b32 s1, -1
	s_cbranch_vccnz .LBB12_899
; %bb.894:
	v_cmp_lt_i16_e32 vcc_lo, 6, v6
	s_cbranch_vccz .LBB12_896
; %bb.895:
	s_mov_b32 s1, 0
	global_store_b64 v[4:5], v[0:1], off
.LBB12_896:
	s_and_not1_b32 vcc_lo, exec_lo, s1
	s_cbranch_vccnz .LBB12_898
; %bb.897:
	v_cvt_f32_f64_e32 v2, v[0:1]
	global_store_b32 v[4:5], v2, off
.LBB12_898:
	s_mov_b32 s1, 0
.LBB12_899:
	s_delay_alu instid0(SALU_CYCLE_1)
	s_and_not1_b32 vcc_lo, exec_lo, s1
	s_cbranch_vccnz .LBB12_901
; %bb.900:
	v_cvt_f32_f64_e32 v2, v[0:1]
	s_delay_alu instid0(VALU_DEP_1)
	v_cvt_f16_f32_e32 v2, v2
	global_store_b16 v[4:5], v2, off
.LBB12_901:
	s_mov_b32 s1, 0
.LBB12_902:
	s_delay_alu instid0(SALU_CYCLE_1)
	s_and_not1_b32 vcc_lo, exec_lo, s1
	s_cbranch_vccnz .LBB12_918
; %bb.903:
	v_cmp_gt_i16_e32 vcc_lo, 2, v6
	s_mov_b32 s1, -1
	s_cbranch_vccnz .LBB12_913
; %bb.904:
	v_cmp_gt_i16_e32 vcc_lo, 3, v6
	s_cbranch_vccnz .LBB12_910
; %bb.905:
	v_cmp_lt_i16_e32 vcc_lo, 3, v6
	s_cbranch_vccz .LBB12_907
; %bb.906:
	v_trunc_f64_e32 v[2:3], v[0:1]
	s_mov_b32 s1, 0
	s_delay_alu instid0(VALU_DEP_1) | instskip(NEXT) | instid1(VALU_DEP_1)
	v_ldexp_f64 v[7:8], v[2:3], 0xffffffe0
	v_floor_f64_e32 v[7:8], v[7:8]
	s_delay_alu instid0(VALU_DEP_1) | instskip(SKIP_1) | instid1(VALU_DEP_2)
	v_fma_f64 v[2:3], 0xc1f00000, v[7:8], v[2:3]
	v_cvt_i32_f64_e32 v8, v[7:8]
	v_cvt_u32_f64_e32 v7, v[2:3]
	global_store_b64 v[4:5], v[7:8], off
.LBB12_907:
	s_and_not1_b32 vcc_lo, exec_lo, s1
	s_cbranch_vccnz .LBB12_909
; %bb.908:
	v_cvt_i32_f64_e32 v2, v[0:1]
	global_store_b32 v[4:5], v2, off
.LBB12_909:
	s_mov_b32 s1, 0
.LBB12_910:
	s_delay_alu instid0(SALU_CYCLE_1)
	s_and_not1_b32 vcc_lo, exec_lo, s1
	s_cbranch_vccnz .LBB12_912
; %bb.911:
	v_cvt_i32_f64_e32 v2, v[0:1]
	global_store_b16 v[4:5], v2, off
.LBB12_912:
	s_mov_b32 s1, 0
.LBB12_913:
	s_delay_alu instid0(SALU_CYCLE_1)
	s_and_not1_b32 vcc_lo, exec_lo, s1
	s_cbranch_vccnz .LBB12_918
; %bb.914:
	v_cmp_lt_i16_e32 vcc_lo, 0, v6
	s_mov_b32 s1, -1
	s_cbranch_vccz .LBB12_916
; %bb.915:
	v_cvt_i32_f64_e32 v2, v[0:1]
	s_mov_b32 s1, 0
	global_store_b8 v[4:5], v2, off
.LBB12_916:
	s_and_not1_b32 vcc_lo, exec_lo, s1
	s_cbranch_vccnz .LBB12_918
; %bb.917:
	v_trunc_f64_e32 v[0:1], v[0:1]
	s_delay_alu instid0(VALU_DEP_1) | instskip(NEXT) | instid1(VALU_DEP_1)
	v_ldexp_f64 v[2:3], v[0:1], 0xffffffe0
	v_floor_f64_e32 v[2:3], v[2:3]
	s_delay_alu instid0(VALU_DEP_1) | instskip(NEXT) | instid1(VALU_DEP_1)
	v_fma_f64 v[0:1], 0xc1f00000, v[2:3], v[0:1]
	v_cvt_u32_f64_e32 v0, v[0:1]
	global_store_b8 v[4:5], v0, off
.LBB12_918:
	s_branch .LBB12_1006
.LBB12_919:
	s_mov_b32 s1, 0
                                        ; implicit-def: $vgpr41
	s_branch .LBB12_1007
.LBB12_920:
	s_mov_b32 s0, s70
	s_branch .LBB12_963
.LBB12_921:
	s_mov_b32 s0, s70
	s_branch .LBB12_946
.LBB12_922:
	s_or_saveexec_b32 s3, s3
                                        ; implicit-def: $sgpr4
	s_delay_alu instid0(SALU_CYCLE_1)
	s_xor_b32 exec_lo, exec_lo, s3
	s_cbranch_execz .LBB12_807
.LBB12_923:
	v_add_f32_e64 v3, 0x46000000, |v2|
	s_and_not1_b32 s2, s2, exec_lo
	s_mov_b32 s4, 0
	s_delay_alu instid0(VALU_DEP_1) | instskip(NEXT) | instid1(VALU_DEP_1)
	v_and_b32_e32 v3, 0xff, v3
	v_cmp_ne_u32_e32 vcc_lo, 0, v3
	s_and_b32 s5, vcc_lo, exec_lo
	s_delay_alu instid0(SALU_CYCLE_1)
	s_or_b32 s2, s2, s5
	s_or_b32 exec_lo, exec_lo, s3
	v_mov_b32_e32 v7, s4
	s_and_saveexec_b32 s3, s2
	s_cbranch_execnz .LBB12_808
	s_branch .LBB12_809
.LBB12_924:
	s_mov_b32 s0, s70
	s_branch .LBB12_942
.LBB12_925:
	s_or_saveexec_b32 s4, s4
                                        ; implicit-def: $sgpr5
	s_delay_alu instid0(SALU_CYCLE_1)
	s_xor_b32 exec_lo, exec_lo, s4
	s_cbranch_execz .LBB12_395
.LBB12_926:
	v_add_f32_e64 v5, 0x42800000, |v4|
	s_and_not1_b32 s3, s3, exec_lo
	s_mov_b32 s5, 0
	s_delay_alu instid0(VALU_DEP_1) | instskip(NEXT) | instid1(VALU_DEP_1)
	v_and_b32_e32 v5, 0xff, v5
	v_cmp_ne_u32_e32 vcc_lo, 0, v5
	s_and_b32 s6, vcc_lo, exec_lo
	s_delay_alu instid0(SALU_CYCLE_1)
	s_or_b32 s3, s3, s6
	s_or_b32 exec_lo, exec_lo, s4
	v_mov_b32_e32 v7, s5
	s_and_saveexec_b32 s4, s3
	s_cbranch_execnz .LBB12_396
	s_branch .LBB12_397
.LBB12_927:
	s_or_saveexec_b32 s5, s5
                                        ; implicit-def: $sgpr6
	s_delay_alu instid0(SALU_CYCLE_1)
	s_xor_b32 exec_lo, exec_lo, s5
	s_cbranch_execz .LBB12_500
.LBB12_928:
	v_add_f32_e64 v5, 0x46000000, |v4|
	s_and_not1_b32 s4, s4, exec_lo
	s_mov_b32 s6, 0
	s_delay_alu instid0(VALU_DEP_1) | instskip(NEXT) | instid1(VALU_DEP_1)
	v_and_b32_e32 v5, 0xff, v5
	v_cmp_ne_u32_e32 vcc_lo, 0, v5
	s_and_b32 s7, vcc_lo, exec_lo
	s_delay_alu instid0(SALU_CYCLE_1)
	s_or_b32 s4, s4, s7
	s_or_b32 exec_lo, exec_lo, s5
	v_mov_b32_e32 v7, s6
	s_and_saveexec_b32 s5, s4
	s_cbranch_execnz .LBB12_501
	s_branch .LBB12_502
.LBB12_929:
	s_trap 2
	s_sendmsg_rtn_b32 s0, sendmsg(MSG_RTN_GET_DOORBELL)
	s_mov_b32 ttmp2, m0
	s_waitcnt lgkmcnt(0)
	s_and_b32 s0, s0, 0x3ff
	s_delay_alu instid0(SALU_CYCLE_1) | instskip(NEXT) | instid1(SALU_CYCLE_1)
	s_bitset1_b32 s0, 10
	s_mov_b32 m0, s0
	s_sendmsg sendmsg(MSG_INTERRUPT)
	s_mov_b32 m0, ttmp2
.LBB12_930:                             ; =>This Inner Loop Header: Depth=1
	s_sethalt 5
	s_branch .LBB12_930
.LBB12_931:
	s_cbranch_execnz .LBB12_1112
; %bb.932:
	s_or_b32 s1, s1, exec_lo
	s_cbranch_execz .LBB12_548
	s_branch .LBB12_549
.LBB12_933:
	s_or_saveexec_b32 s3, s3
                                        ; implicit-def: $sgpr4
	s_delay_alu instid0(SALU_CYCLE_1)
	s_xor_b32 exec_lo, exec_lo, s3
	s_cbranch_execz .LBB12_820
.LBB12_934:
	v_add_f32_e64 v3, 0x42800000, |v2|
	s_and_not1_b32 s2, s2, exec_lo
	s_mov_b32 s4, 0
	s_delay_alu instid0(VALU_DEP_1) | instskip(NEXT) | instid1(VALU_DEP_1)
	v_and_b32_e32 v3, 0xff, v3
	v_cmp_ne_u32_e32 vcc_lo, 0, v3
	s_and_b32 s5, vcc_lo, exec_lo
	s_delay_alu instid0(SALU_CYCLE_1)
	s_or_b32 s2, s2, s5
	s_or_b32 exec_lo, exec_lo, s3
	v_mov_b32_e32 v7, s4
	s_and_saveexec_b32 s3, s2
	s_cbranch_execnz .LBB12_821
	s_branch .LBB12_822
.LBB12_935:
	s_mov_b32 s0, s70
.LBB12_936:
	s_and_b32 vcc_lo, exec_lo, s2
	s_cbranch_vccz .LBB12_941
; %bb.937:
	v_cmp_eq_u16_e32 vcc_lo, 44, v6
	s_mov_b32 s0, -1
	s_cbranch_vccz .LBB12_941
; %bb.938:
	v_cvt_f32_f64_e32 v2, v[0:1]
	v_mov_b32_e32 v3, 0xff
	s_mov_b32 s1, exec_lo
	s_delay_alu instid0(VALU_DEP_2) | instskip(NEXT) | instid1(VALU_DEP_1)
	v_bfe_u32 v7, v2, 23, 8
	v_cmpx_ne_u32_e32 0xff, v7
; %bb.939:
	v_and_b32_e32 v3, 0x400000, v2
	v_and_or_b32 v7, 0x3fffff, v2, v7
	v_lshrrev_b32_e32 v2, 23, v2
	s_delay_alu instid0(VALU_DEP_3) | instskip(NEXT) | instid1(VALU_DEP_3)
	v_cmp_ne_u32_e32 vcc_lo, 0, v3
	v_cmp_ne_u32_e64 s0, 0, v7
	s_delay_alu instid0(VALU_DEP_1) | instskip(NEXT) | instid1(SALU_CYCLE_1)
	s_and_b32 s0, vcc_lo, s0
	v_cndmask_b32_e64 v3, 0, 1, s0
	s_delay_alu instid0(VALU_DEP_1)
	v_add_nc_u32_e32 v3, v2, v3
; %bb.940:
	s_or_b32 exec_lo, exec_lo, s1
	s_mov_b32 s1, -1
	s_mov_b32 s0, 0
	global_store_b8 v[4:5], v3, off
.LBB12_941:
	s_mov_b32 s2, 0
.LBB12_942:
	s_delay_alu instid0(SALU_CYCLE_1)
	s_and_b32 vcc_lo, exec_lo, s2
	s_cbranch_vccz .LBB12_945
; %bb.943:
	v_cmp_eq_u16_e32 vcc_lo, 29, v6
	s_mov_b32 s0, -1
	s_cbranch_vccz .LBB12_945
; %bb.944:
	v_trunc_f64_e32 v[2:3], v[0:1]
	s_mov_b32 s1, -1
	s_mov_b32 s0, 0
	s_mov_b32 s2, 0
	s_delay_alu instid0(VALU_DEP_1) | instskip(NEXT) | instid1(VALU_DEP_1)
	v_ldexp_f64 v[7:8], v[2:3], 0xffffffe0
	v_floor_f64_e32 v[7:8], v[7:8]
	s_delay_alu instid0(VALU_DEP_1) | instskip(SKIP_1) | instid1(VALU_DEP_2)
	v_fma_f64 v[2:3], 0xc1f00000, v[7:8], v[2:3]
	v_cvt_u32_f64_e32 v8, v[7:8]
	v_cvt_u32_f64_e32 v7, v[2:3]
	global_store_b64 v[4:5], v[7:8], off
	s_branch .LBB12_946
.LBB12_945:
	s_mov_b32 s2, 0
.LBB12_946:
	s_delay_alu instid0(SALU_CYCLE_1)
	s_and_b32 vcc_lo, exec_lo, s2
	s_cbranch_vccz .LBB12_962
; %bb.947:
	v_cmp_gt_i16_e32 vcc_lo, 27, v6
	s_mov_b32 s1, -1
	s_cbranch_vccnz .LBB12_953
; %bb.948:
	v_cmp_lt_i16_e32 vcc_lo, 27, v6
	s_cbranch_vccz .LBB12_950
; %bb.949:
	v_cvt_u32_f64_e32 v2, v[0:1]
	s_mov_b32 s1, 0
	global_store_b32 v[4:5], v2, off
.LBB12_950:
	s_and_not1_b32 vcc_lo, exec_lo, s1
	s_cbranch_vccnz .LBB12_952
; %bb.951:
	v_cvt_u32_f64_e32 v2, v[0:1]
	global_store_b16 v[4:5], v2, off
.LBB12_952:
	s_mov_b32 s1, 0
.LBB12_953:
	s_delay_alu instid0(SALU_CYCLE_1)
	s_and_not1_b32 vcc_lo, exec_lo, s1
	s_cbranch_vccnz .LBB12_961
; %bb.954:
	v_cvt_f32_f64_e32 v2, v[0:1]
	v_mov_b32_e32 v7, 0x80
	s_mov_b32 s1, exec_lo
	s_delay_alu instid0(VALU_DEP_2) | instskip(NEXT) | instid1(VALU_DEP_1)
	v_and_b32_e32 v3, 0x7fffffff, v2
	v_cmpx_gt_u32_e32 0x43800000, v3
	s_cbranch_execz .LBB12_960
; %bb.955:
	v_cmp_lt_u32_e32 vcc_lo, 0x3bffffff, v3
	s_mov_b32 s2, 0
                                        ; implicit-def: $vgpr3
	s_and_saveexec_b32 s3, vcc_lo
	s_delay_alu instid0(SALU_CYCLE_1)
	s_xor_b32 s3, exec_lo, s3
	s_cbranch_execz .LBB12_1106
; %bb.956:
	v_bfe_u32 v3, v2, 20, 1
	s_mov_b32 s2, exec_lo
	s_delay_alu instid0(VALU_DEP_1) | instskip(NEXT) | instid1(VALU_DEP_1)
	v_add3_u32 v3, v2, v3, 0x487ffff
	v_lshrrev_b32_e32 v3, 20, v3
	s_or_saveexec_b32 s3, s3
                                        ; implicit-def: $sgpr4
	s_delay_alu instid0(SALU_CYCLE_1)
	s_xor_b32 exec_lo, exec_lo, s3
	s_cbranch_execnz .LBB12_1107
.LBB12_957:
	s_or_b32 exec_lo, exec_lo, s3
	v_mov_b32_e32 v7, s4
	s_and_saveexec_b32 s3, s2
.LBB12_958:
	v_lshrrev_b32_e32 v2, 24, v2
	s_delay_alu instid0(VALU_DEP_1)
	v_and_or_b32 v7, 0x80, v2, v3
.LBB12_959:
	s_or_b32 exec_lo, exec_lo, s3
.LBB12_960:
	s_delay_alu instid0(SALU_CYCLE_1)
	s_or_b32 exec_lo, exec_lo, s1
	global_store_b8 v[4:5], v7, off
.LBB12_961:
	s_mov_b32 s1, -1
.LBB12_962:
	s_mov_b32 s2, 0
.LBB12_963:
	s_delay_alu instid0(SALU_CYCLE_1)
	s_and_b32 vcc_lo, exec_lo, s2
	s_cbranch_vccz .LBB12_1004
; %bb.964:
	v_cmp_lt_i16_e32 vcc_lo, 22, v6
	s_mov_b32 s2, -1
	s_cbranch_vccz .LBB12_996
; %bb.965:
	v_cmp_gt_i16_e32 vcc_lo, 24, v6
	s_mov_b32 s1, -1
	s_cbranch_vccnz .LBB12_985
; %bb.966:
	v_cmp_lt_i16_e32 vcc_lo, 24, v6
	s_cbranch_vccz .LBB12_974
; %bb.967:
	v_cvt_f32_f64_e32 v2, v[0:1]
	v_mov_b32_e32 v7, 0x80
	s_mov_b32 s1, exec_lo
	s_delay_alu instid0(VALU_DEP_2) | instskip(NEXT) | instid1(VALU_DEP_1)
	v_and_b32_e32 v3, 0x7fffffff, v2
	v_cmpx_gt_u32_e32 0x47800000, v3
	s_cbranch_execz .LBB12_973
; %bb.968:
	v_cmp_lt_u32_e32 vcc_lo, 0x37ffffff, v3
	s_mov_b32 s2, 0
                                        ; implicit-def: $vgpr3
	s_and_saveexec_b32 s3, vcc_lo
	s_delay_alu instid0(SALU_CYCLE_1)
	s_xor_b32 s3, exec_lo, s3
	s_cbranch_execz .LBB12_1116
; %bb.969:
	v_bfe_u32 v3, v2, 21, 1
	s_mov_b32 s2, exec_lo
	s_delay_alu instid0(VALU_DEP_1) | instskip(NEXT) | instid1(VALU_DEP_1)
	v_add3_u32 v3, v2, v3, 0x88fffff
	v_lshrrev_b32_e32 v3, 21, v3
	s_or_saveexec_b32 s3, s3
                                        ; implicit-def: $sgpr4
	s_delay_alu instid0(SALU_CYCLE_1)
	s_xor_b32 exec_lo, exec_lo, s3
	s_cbranch_execnz .LBB12_1117
.LBB12_970:
	s_or_b32 exec_lo, exec_lo, s3
	v_mov_b32_e32 v7, s4
	s_and_saveexec_b32 s3, s2
.LBB12_971:
	v_lshrrev_b32_e32 v2, 24, v2
	s_delay_alu instid0(VALU_DEP_1)
	v_and_or_b32 v7, 0x80, v2, v3
.LBB12_972:
	s_or_b32 exec_lo, exec_lo, s3
.LBB12_973:
	s_delay_alu instid0(SALU_CYCLE_1)
	s_or_b32 exec_lo, exec_lo, s1
	s_mov_b32 s1, 0
	global_store_b8 v[4:5], v7, off
.LBB12_974:
	s_and_b32 vcc_lo, exec_lo, s1
	s_cbranch_vccz .LBB12_984
; %bb.975:
	v_cvt_f32_f64_e32 v2, v[0:1]
	s_mov_b32 s1, exec_lo
                                        ; implicit-def: $vgpr3
	s_delay_alu instid0(VALU_DEP_1) | instskip(NEXT) | instid1(VALU_DEP_1)
	v_and_b32_e32 v7, 0x7fffffff, v2
	v_cmpx_gt_u32_e32 0x43f00000, v7
	s_xor_b32 s1, exec_lo, s1
	s_cbranch_execz .LBB12_981
; %bb.976:
	s_mov_b32 s2, exec_lo
                                        ; implicit-def: $vgpr3
	v_cmpx_lt_u32_e32 0x3c7fffff, v7
	s_xor_b32 s2, exec_lo, s2
; %bb.977:
	v_bfe_u32 v3, v2, 20, 1
	s_delay_alu instid0(VALU_DEP_1) | instskip(NEXT) | instid1(VALU_DEP_1)
	v_add3_u32 v3, v2, v3, 0x407ffff
	v_and_b32_e32 v7, 0xff00000, v3
	v_lshrrev_b32_e32 v3, 20, v3
	s_delay_alu instid0(VALU_DEP_2) | instskip(NEXT) | instid1(VALU_DEP_2)
	v_cmp_ne_u32_e32 vcc_lo, 0x7f00000, v7
	v_cndmask_b32_e32 v3, 0x7e, v3, vcc_lo
; %bb.978:
	s_and_not1_saveexec_b32 s2, s2
; %bb.979:
	v_add_f32_e64 v3, 0x46800000, |v2|
; %bb.980:
	s_or_b32 exec_lo, exec_lo, s2
                                        ; implicit-def: $vgpr7
.LBB12_981:
	s_and_not1_saveexec_b32 s1, s1
; %bb.982:
	v_mov_b32_e32 v3, 0x7f
	v_cmp_lt_u32_e32 vcc_lo, 0x7f800000, v7
	s_delay_alu instid0(VALU_DEP_2)
	v_cndmask_b32_e32 v3, 0x7e, v3, vcc_lo
; %bb.983:
	s_or_b32 exec_lo, exec_lo, s1
	v_lshrrev_b32_e32 v2, 24, v2
	s_delay_alu instid0(VALU_DEP_1)
	v_and_or_b32 v2, 0x80, v2, v3
	global_store_b8 v[4:5], v2, off
.LBB12_984:
	s_mov_b32 s1, 0
.LBB12_985:
	s_delay_alu instid0(SALU_CYCLE_1)
	s_and_not1_b32 vcc_lo, exec_lo, s1
	s_cbranch_vccnz .LBB12_995
; %bb.986:
	v_cvt_f32_f64_e32 v2, v[0:1]
	s_mov_b32 s1, exec_lo
                                        ; implicit-def: $vgpr3
	s_delay_alu instid0(VALU_DEP_1) | instskip(NEXT) | instid1(VALU_DEP_1)
	v_and_b32_e32 v7, 0x7fffffff, v2
	v_cmpx_gt_u32_e32 0x47800000, v7
	s_xor_b32 s1, exec_lo, s1
	s_cbranch_execz .LBB12_992
; %bb.987:
	s_mov_b32 s2, exec_lo
                                        ; implicit-def: $vgpr3
	v_cmpx_lt_u32_e32 0x387fffff, v7
	s_xor_b32 s2, exec_lo, s2
; %bb.988:
	v_bfe_u32 v3, v2, 21, 1
	s_delay_alu instid0(VALU_DEP_1) | instskip(NEXT) | instid1(VALU_DEP_1)
	v_add3_u32 v3, v2, v3, 0x80fffff
	v_lshrrev_b32_e32 v3, 21, v3
; %bb.989:
	s_and_not1_saveexec_b32 s2, s2
; %bb.990:
	v_add_f32_e64 v3, 0x43000000, |v2|
; %bb.991:
	s_or_b32 exec_lo, exec_lo, s2
                                        ; implicit-def: $vgpr7
.LBB12_992:
	s_and_not1_saveexec_b32 s1, s1
; %bb.993:
	v_mov_b32_e32 v3, 0x7f
	v_cmp_lt_u32_e32 vcc_lo, 0x7f800000, v7
	s_delay_alu instid0(VALU_DEP_2)
	v_cndmask_b32_e32 v3, 0x7c, v3, vcc_lo
; %bb.994:
	s_or_b32 exec_lo, exec_lo, s1
	v_lshrrev_b32_e32 v2, 24, v2
	s_delay_alu instid0(VALU_DEP_1)
	v_and_or_b32 v2, 0x80, v2, v3
	global_store_b8 v[4:5], v2, off
.LBB12_995:
	s_mov_b32 s2, 0
	s_mov_b32 s1, -1
.LBB12_996:
	s_and_not1_b32 vcc_lo, exec_lo, s2
	s_cbranch_vccnz .LBB12_1004
; %bb.997:
	v_cmp_lt_i16_e32 vcc_lo, 14, v6
	s_mov_b32 s2, -1
	s_cbranch_vccz .LBB12_1001
; %bb.998:
	v_cmp_eq_u16_e32 vcc_lo, 15, v6
	s_mov_b32 s0, -1
	s_cbranch_vccz .LBB12_1000
; %bb.999:
	v_cvt_f32_f64_e32 v2, v[0:1]
	s_mov_b32 s1, -1
	s_mov_b32 s0, 0
	s_delay_alu instid0(VALU_DEP_1) | instskip(SKIP_1) | instid1(VALU_DEP_2)
	v_bfe_u32 v3, v2, 16, 1
	v_cmp_o_f32_e32 vcc_lo, v2, v2
	v_add3_u32 v3, v2, v3, 0x7fff
	s_delay_alu instid0(VALU_DEP_1) | instskip(NEXT) | instid1(VALU_DEP_1)
	v_lshrrev_b32_e32 v3, 16, v3
	v_cndmask_b32_e32 v2, 0x7fc0, v3, vcc_lo
	global_store_b16 v[4:5], v2, off
.LBB12_1000:
	s_mov_b32 s2, 0
.LBB12_1001:
	s_delay_alu instid0(SALU_CYCLE_1)
	s_and_b32 vcc_lo, exec_lo, s2
	s_cbranch_vccz .LBB12_1004
; %bb.1002:
	v_cmp_eq_u16_e32 vcc_lo, 11, v6
	s_mov_b32 s0, -1
	s_cbranch_vccz .LBB12_1004
; %bb.1003:
	v_cmp_neq_f64_e32 vcc_lo, 0, v[0:1]
	s_mov_b32 s1, -1
	s_mov_b32 s0, 0
	v_cndmask_b32_e64 v2, 0, 1, vcc_lo
	global_store_b8 v[4:5], v2, off
.LBB12_1004:
.LBB12_1005:
	s_and_not1_b32 vcc_lo, exec_lo, s1
	s_cbranch_vccnz .LBB12_919
.LBB12_1006:
	v_add_nc_u32_e32 v41, 0x80, v41
	s_mov_b32 s1, -1
.LBB12_1007:
	s_and_not1_b32 s2, s70, exec_lo
	s_and_b32 s0, s0, exec_lo
	s_delay_alu instid0(SALU_CYCLE_1)
	s_or_b32 s73, s2, s0
	s_or_not1_b32 s2, s1, exec_lo
.LBB12_1008:
	s_or_b32 exec_lo, exec_lo, s72
	s_mov_b32 s0, 0
	s_mov_b32 s1, 0
                                        ; implicit-def: $vgpr6
                                        ; implicit-def: $vgpr4_vgpr5
                                        ; implicit-def: $vgpr0_vgpr1
	s_and_saveexec_b32 s72, s2
	s_cbranch_execz .LBB12_1100
; %bb.1009:
	v_cmp_gt_i32_e32 vcc_lo, s65, v41
	s_mov_b32 s2, s73
                                        ; implicit-def: $vgpr6
                                        ; implicit-def: $vgpr4_vgpr5
                                        ; implicit-def: $vgpr0_vgpr1
	s_and_saveexec_b32 s65, vcc_lo
	s_cbranch_execz .LBB12_1099
; %bb.1010:
	s_and_not1_b32 vcc_lo, exec_lo, s62
	s_cbranch_vccnz .LBB12_1015
; %bb.1011:
	v_mov_b32_e32 v46, 0
	v_mov_b32_e32 v2, 0
	s_and_not1_b32 vcc_lo, exec_lo, s67
	s_mov_b32 s4, 0
	s_cbranch_vccnz .LBB12_1020
; %bb.1012:
	v_mov_b32_e32 v46, 0
	s_add_i32 s66, s66, 1
	s_cmp_eq_u32 s60, 2
	s_mov_b32 s2, 0
	s_cbranch_scc1 .LBB12_1016
; %bb.1013:
	v_mov_b32_e32 v2, 0
	v_mov_b32_e32 v46, 0
	;; [unrolled: 1-line block ×3, first 2 shown]
	s_and_b32 s2, s66, 28
	s_mov_b32 s3, 0
	s_mov_b64 s[0:1], s[42:43]
.LBB12_1014:                            ; =>This Inner Loop Header: Depth=1
	s_clause 0x1
	s_load_b256 s[8:15], s[0:1], 0x4
	s_load_b128 s[24:27], s[0:1], 0x24
	s_load_b256 s[16:23], s[58:59], 0x0
	s_add_u32 s0, s0, 48
	s_addc_u32 s1, s1, 0
	s_add_i32 s3, s3, 4
	s_add_u32 s58, s58, 32
	s_addc_u32 s59, s59, 0
	s_cmp_eq_u32 s2, s3
	s_waitcnt lgkmcnt(0)
	v_mul_hi_u32 v1, s9, v0
	s_delay_alu instid0(VALU_DEP_1) | instskip(NEXT) | instid1(VALU_DEP_1)
	v_add_nc_u32_e32 v1, v0, v1
	v_lshrrev_b32_e32 v1, s10, v1
	s_delay_alu instid0(VALU_DEP_1) | instskip(SKIP_1) | instid1(VALU_DEP_2)
	v_mul_hi_u32 v3, s12, v1
	v_mul_lo_u32 v5, v1, s8
	v_add_nc_u32_e32 v3, v1, v3
	s_delay_alu instid0(VALU_DEP_2) | instskip(NEXT) | instid1(VALU_DEP_2)
	v_sub_nc_u32_e32 v0, v0, v5
	v_lshrrev_b32_e32 v3, s13, v3
	s_delay_alu instid0(VALU_DEP_2) | instskip(SKIP_1) | instid1(VALU_DEP_3)
	v_mul_lo_u32 v5, v0, s16
	v_mul_lo_u32 v7, v0, s17
	v_mul_hi_u32 v4, s15, v3
	s_delay_alu instid0(VALU_DEP_1) | instskip(NEXT) | instid1(VALU_DEP_1)
	v_add_nc_u32_e32 v4, v3, v4
	v_lshrrev_b32_e32 v4, s24, v4
	s_delay_alu instid0(VALU_DEP_1) | instskip(SKIP_1) | instid1(VALU_DEP_2)
	v_mul_hi_u32 v6, s26, v4
	v_mul_lo_u32 v8, v4, s14
	v_add_nc_u32_e32 v0, v4, v6
	v_mul_lo_u32 v6, v3, s11
	s_delay_alu instid0(VALU_DEP_3) | instskip(NEXT) | instid1(VALU_DEP_3)
	v_sub_nc_u32_e32 v3, v3, v8
	v_lshrrev_b32_e32 v0, s27, v0
	s_delay_alu instid0(VALU_DEP_2) | instskip(SKIP_2) | instid1(VALU_DEP_4)
	v_mul_lo_u32 v8, v3, s20
	v_mul_lo_u32 v3, v3, s21
	v_sub_nc_u32_e32 v1, v1, v6
	v_mul_lo_u32 v9, v0, s25
	s_delay_alu instid0(VALU_DEP_2) | instskip(SKIP_1) | instid1(VALU_DEP_3)
	v_mul_lo_u32 v6, v1, s18
	v_mul_lo_u32 v1, v1, s19
	v_sub_nc_u32_e32 v4, v4, v9
	s_delay_alu instid0(VALU_DEP_3) | instskip(NEXT) | instid1(VALU_DEP_2)
	v_add3_u32 v5, v5, v46, v6
	v_mul_lo_u32 v9, v4, s22
	v_mul_lo_u32 v4, v4, s23
	v_add3_u32 v1, v7, v2, v1
	s_delay_alu instid0(VALU_DEP_3) | instskip(NEXT) | instid1(VALU_DEP_2)
	v_add3_u32 v46, v8, v5, v9
	v_add3_u32 v2, v3, v1, v4
	s_cbranch_scc0 .LBB12_1014
	s_branch .LBB12_1017
.LBB12_1015:
	s_mov_b32 s4, -1
                                        ; implicit-def: $vgpr46
                                        ; implicit-def: $vgpr2
	s_branch .LBB12_1020
.LBB12_1016:
	v_mov_b32_e32 v0, v41
	v_mov_b32_e32 v2, 0
.LBB12_1017:
	s_and_b32 s5, s66, 3
	s_delay_alu instid0(SALU_CYCLE_1)
	s_cmp_eq_u32 s5, 0
	s_cbranch_scc1 .LBB12_1020
; %bb.1018:
	s_lshl_b32 s0, s2, 3
	s_mul_i32 s2, s2, 12
	s_add_u32 s0, s0, s42
	s_addc_u32 s1, s43, 0
	s_add_u32 s0, s0, 0xc4
	s_addc_u32 s1, s1, 0
	;; [unrolled: 2-line block ×3, first 2 shown]
.LBB12_1019:                            ; =>This Inner Loop Header: Depth=1
	s_clause 0x1
	s_load_b64 s[6:7], s[2:3], 0x4
	s_load_b32 s10, s[2:3], 0xc
	s_load_b64 s[8:9], s[0:1], 0x0
	s_add_u32 s2, s2, 12
	s_addc_u32 s3, s3, 0
	s_add_u32 s0, s0, 8
	s_addc_u32 s1, s1, 0
	s_add_i32 s5, s5, -1
	s_delay_alu instid0(SALU_CYCLE_1) | instskip(SKIP_2) | instid1(VALU_DEP_1)
	s_cmp_lg_u32 s5, 0
	s_waitcnt lgkmcnt(0)
	v_mul_hi_u32 v1, s7, v0
	v_add_nc_u32_e32 v1, v0, v1
	s_delay_alu instid0(VALU_DEP_1) | instskip(NEXT) | instid1(VALU_DEP_1)
	v_lshrrev_b32_e32 v1, s10, v1
	v_mul_lo_u32 v3, v1, s6
	s_delay_alu instid0(VALU_DEP_1) | instskip(NEXT) | instid1(VALU_DEP_1)
	v_sub_nc_u32_e32 v0, v0, v3
	v_mad_u64_u32 v[3:4], null, v0, s8, v[46:47]
	s_delay_alu instid0(VALU_DEP_1) | instskip(SKIP_2) | instid1(VALU_DEP_2)
	v_mov_b32_e32 v46, v3
	v_mad_u64_u32 v[4:5], null, v0, s9, v[2:3]
	v_mov_b32_e32 v0, v1
	v_mov_b32_e32 v2, v4
	s_cbranch_scc1 .LBB12_1019
.LBB12_1020:
	s_and_not1_b32 vcc_lo, exec_lo, s4
	s_cbranch_vccnz .LBB12_1023
; %bb.1021:
	s_waitcnt lgkmcnt(0)
	v_mul_hi_u32 v0, s53, v41
	s_and_not1_b32 vcc_lo, exec_lo, s64
	s_delay_alu instid0(VALU_DEP_1) | instskip(NEXT) | instid1(VALU_DEP_1)
	v_add_nc_u32_e32 v0, v41, v0
	v_lshrrev_b32_e32 v0, s54, v0
	s_delay_alu instid0(VALU_DEP_1) | instskip(NEXT) | instid1(VALU_DEP_1)
	v_mul_lo_u32 v1, v0, s52
	v_sub_nc_u32_e32 v1, v41, v1
	s_delay_alu instid0(VALU_DEP_1)
	v_mul_lo_u32 v46, v1, s48
	v_mul_lo_u32 v2, v1, s49
	s_cbranch_vccnz .LBB12_1023
; %bb.1022:
	v_mul_hi_u32 v1, s56, v0
	s_delay_alu instid0(VALU_DEP_1) | instskip(NEXT) | instid1(VALU_DEP_1)
	v_add_nc_u32_e32 v1, v0, v1
	v_lshrrev_b32_e32 v1, s57, v1
	s_delay_alu instid0(VALU_DEP_1) | instskip(NEXT) | instid1(VALU_DEP_1)
	v_mul_lo_u32 v1, v1, s55
	v_sub_nc_u32_e32 v5, v0, v1
	s_delay_alu instid0(VALU_DEP_1) | instskip(SKIP_1) | instid1(VALU_DEP_2)
	v_mad_u64_u32 v[0:1], null, v5, s50, v[46:47]
	v_mad_u64_u32 v[3:4], null, v5, s51, v[2:3]
	v_mov_b32_e32 v46, v0
	s_delay_alu instid0(VALU_DEP_2)
	v_mov_b32_e32 v2, v3
.LBB12_1023:
	s_waitcnt lgkmcnt(0)
	v_dual_mov_b32 v0, s46 :: v_dual_mov_b32 v1, s47
	v_mov_b32_e32 v3, v40
	s_getpc_b64 s[0:1]
	s_add_u32 s0, s0, _ZN2at6native6invokeIZZZNS0_12_GLOBAL__N_121bessel_y1_kernel_cudaERNS_18TensorIteratorBaseEENKUlvE_clEvENKUlvE_clEvEUldE_j15function_traitsIS7_EEENT1_11result_typeERKT_PrKPcPKT0_PKN3c1010ScalarTypeEi@rel32@lo+4
	s_addc_u32 s1, s1, _ZN2at6native6invokeIZZZNS0_12_GLOBAL__N_121bessel_y1_kernel_cudaERNS_18TensorIteratorBaseEENKUlvE_clEvENKUlvE_clEvEUldE_j15function_traitsIS7_EEENT1_11result_typeERKT_PrKPcPKT0_PKN3c1010ScalarTypeEi@rel32@hi+12
	s_delay_alu instid0(SALU_CYCLE_1) | instskip(SKIP_2) | instid1(VALU_DEP_1)
	s_swappc_b64 s[30:31], s[0:1]
	v_and_b32_e32 v6, 0xff, v42
	v_add_co_u32 v4, s0, s44, v46
	v_add_co_ci_u32_e64 v5, null, s45, 0, s0
	s_delay_alu instid0(VALU_DEP_3)
	v_cmp_gt_i16_e32 vcc_lo, 11, v6
	s_mov_b32 s2, 0
	s_mov_b32 s1, -1
	s_mov_b32 s0, s73
	s_cbranch_vccnz .LBB12_1098
; %bb.1024:
	v_cmp_lt_i16_e32 vcc_lo, 25, v6
	s_mov_b32 s0, s73
	s_cbranch_vccz .LBB12_1057
; %bb.1025:
	v_cmp_lt_i16_e32 vcc_lo, 28, v6
	s_mov_b32 s0, s73
	s_cbranch_vccz .LBB12_1041
	;; [unrolled: 4-line block ×4, first 2 shown]
; %bb.1028:
	v_cmp_eq_u16_e32 vcc_lo, 46, v6
	s_mov_b32 s0, -1
	s_cbranch_vccz .LBB12_1030
; %bb.1029:
	v_cvt_f32_f64_e32 v2, v[0:1]
	s_mov_b32 s0, 0
	s_delay_alu instid0(VALU_DEP_1) | instskip(SKIP_1) | instid1(VALU_DEP_2)
	v_bfe_u32 v3, v2, 16, 1
	v_cmp_o_f32_e32 vcc_lo, v2, v2
	v_add3_u32 v3, v2, v3, 0x7fff
	s_delay_alu instid0(VALU_DEP_1) | instskip(NEXT) | instid1(VALU_DEP_1)
	v_lshrrev_b32_e32 v3, 16, v3
	v_cndmask_b32_e32 v2, 0x7fc0, v3, vcc_lo
	global_store_b32 v[4:5], v2, off
.LBB12_1030:
	s_mov_b32 s1, 0
.LBB12_1031:
	s_delay_alu instid0(SALU_CYCLE_1)
	s_and_b32 vcc_lo, exec_lo, s1
	s_cbranch_vccz .LBB12_1036
; %bb.1032:
	v_cmp_eq_u16_e32 vcc_lo, 44, v6
	s_mov_b32 s0, -1
	s_cbranch_vccz .LBB12_1036
; %bb.1033:
	v_cvt_f32_f64_e32 v2, v[0:1]
	v_mov_b32_e32 v3, 0xff
	s_mov_b32 s1, exec_lo
	s_delay_alu instid0(VALU_DEP_2) | instskip(NEXT) | instid1(VALU_DEP_1)
	v_bfe_u32 v7, v2, 23, 8
	v_cmpx_ne_u32_e32 0xff, v7
; %bb.1034:
	v_and_b32_e32 v3, 0x400000, v2
	v_and_or_b32 v7, 0x3fffff, v2, v7
	v_lshrrev_b32_e32 v2, 23, v2
	s_delay_alu instid0(VALU_DEP_3) | instskip(NEXT) | instid1(VALU_DEP_3)
	v_cmp_ne_u32_e32 vcc_lo, 0, v3
	v_cmp_ne_u32_e64 s0, 0, v7
	s_delay_alu instid0(VALU_DEP_1) | instskip(NEXT) | instid1(SALU_CYCLE_1)
	s_and_b32 s0, vcc_lo, s0
	v_cndmask_b32_e64 v3, 0, 1, s0
	s_delay_alu instid0(VALU_DEP_1)
	v_add_nc_u32_e32 v3, v2, v3
; %bb.1035:
	s_or_b32 exec_lo, exec_lo, s1
	s_mov_b32 s0, 0
	global_store_b8 v[4:5], v3, off
.LBB12_1036:
	s_mov_b32 s1, 0
.LBB12_1037:
	s_delay_alu instid0(SALU_CYCLE_1)
	s_and_b32 vcc_lo, exec_lo, s1
	s_cbranch_vccz .LBB12_1040
; %bb.1038:
	v_cmp_eq_u16_e32 vcc_lo, 29, v6
	s_mov_b32 s0, -1
	s_cbranch_vccz .LBB12_1040
; %bb.1039:
	v_trunc_f64_e32 v[2:3], v[0:1]
	s_mov_b32 s0, 0
	s_delay_alu instid0(VALU_DEP_1) | instskip(NEXT) | instid1(VALU_DEP_1)
	v_ldexp_f64 v[7:8], v[2:3], 0xffffffe0
	v_floor_f64_e32 v[7:8], v[7:8]
	s_delay_alu instid0(VALU_DEP_1) | instskip(SKIP_1) | instid1(VALU_DEP_2)
	v_fma_f64 v[2:3], 0xc1f00000, v[7:8], v[2:3]
	v_cvt_u32_f64_e32 v8, v[7:8]
	v_cvt_u32_f64_e32 v7, v[2:3]
	global_store_b64 v[4:5], v[7:8], off
.LBB12_1040:
	s_mov_b32 s1, 0
.LBB12_1041:
	s_delay_alu instid0(SALU_CYCLE_1)
	s_and_b32 vcc_lo, exec_lo, s1
	s_cbranch_vccz .LBB12_1056
; %bb.1042:
	v_cmp_gt_i16_e32 vcc_lo, 27, v6
	s_mov_b32 s1, -1
	s_cbranch_vccnz .LBB12_1048
; %bb.1043:
	v_cmp_lt_i16_e32 vcc_lo, 27, v6
	s_cbranch_vccz .LBB12_1045
; %bb.1044:
	v_cvt_u32_f64_e32 v2, v[0:1]
	s_mov_b32 s1, 0
	global_store_b32 v[4:5], v2, off
.LBB12_1045:
	s_and_not1_b32 vcc_lo, exec_lo, s1
	s_cbranch_vccnz .LBB12_1047
; %bb.1046:
	v_cvt_u32_f64_e32 v2, v[0:1]
	global_store_b16 v[4:5], v2, off
.LBB12_1047:
	s_mov_b32 s1, 0
.LBB12_1048:
	s_delay_alu instid0(SALU_CYCLE_1)
	s_and_not1_b32 vcc_lo, exec_lo, s1
	s_cbranch_vccnz .LBB12_1056
; %bb.1049:
	v_cvt_f32_f64_e32 v2, v[0:1]
	v_mov_b32_e32 v7, 0x80
	s_mov_b32 s1, exec_lo
	s_delay_alu instid0(VALU_DEP_2) | instskip(NEXT) | instid1(VALU_DEP_1)
	v_and_b32_e32 v3, 0x7fffffff, v2
	v_cmpx_gt_u32_e32 0x43800000, v3
	s_cbranch_execz .LBB12_1055
; %bb.1050:
	v_cmp_lt_u32_e32 vcc_lo, 0x3bffffff, v3
                                        ; implicit-def: $vgpr3
	s_and_saveexec_b32 s3, vcc_lo
	s_delay_alu instid0(SALU_CYCLE_1)
	s_xor_b32 s3, exec_lo, s3
	s_cbranch_execz .LBB12_1118
; %bb.1051:
	v_bfe_u32 v3, v2, 20, 1
	s_mov_b32 s2, exec_lo
	s_delay_alu instid0(VALU_DEP_1) | instskip(NEXT) | instid1(VALU_DEP_1)
	v_add3_u32 v3, v2, v3, 0x487ffff
	v_lshrrev_b32_e32 v3, 20, v3
	s_or_saveexec_b32 s3, s3
                                        ; implicit-def: $sgpr4
	s_delay_alu instid0(SALU_CYCLE_1)
	s_xor_b32 exec_lo, exec_lo, s3
	s_cbranch_execnz .LBB12_1119
.LBB12_1052:
	s_or_b32 exec_lo, exec_lo, s3
	v_mov_b32_e32 v7, s4
	s_and_saveexec_b32 s3, s2
.LBB12_1053:
	v_lshrrev_b32_e32 v2, 24, v2
	s_delay_alu instid0(VALU_DEP_1)
	v_and_or_b32 v7, 0x80, v2, v3
.LBB12_1054:
	s_or_b32 exec_lo, exec_lo, s3
.LBB12_1055:
	s_delay_alu instid0(SALU_CYCLE_1)
	s_or_b32 exec_lo, exec_lo, s1
	global_store_b8 v[4:5], v7, off
.LBB12_1056:
	s_mov_b32 s1, 0
.LBB12_1057:
	s_delay_alu instid0(SALU_CYCLE_1)
	s_and_b32 vcc_lo, exec_lo, s1
	s_mov_b32 s1, 0
	s_cbranch_vccz .LBB12_1097
; %bb.1058:
	v_cmp_lt_i16_e32 vcc_lo, 22, v6
	s_mov_b32 s2, -1
	s_cbranch_vccz .LBB12_1090
; %bb.1059:
	v_cmp_gt_i16_e32 vcc_lo, 24, v6
	s_cbranch_vccnz .LBB12_1079
; %bb.1060:
	v_cmp_lt_i16_e32 vcc_lo, 24, v6
	s_cbranch_vccz .LBB12_1068
; %bb.1061:
	v_cvt_f32_f64_e32 v2, v[0:1]
	v_mov_b32_e32 v7, 0x80
	s_mov_b32 s2, exec_lo
	s_delay_alu instid0(VALU_DEP_2) | instskip(NEXT) | instid1(VALU_DEP_1)
	v_and_b32_e32 v3, 0x7fffffff, v2
	v_cmpx_gt_u32_e32 0x47800000, v3
	s_cbranch_execz .LBB12_1067
; %bb.1062:
	v_cmp_lt_u32_e32 vcc_lo, 0x37ffffff, v3
	s_mov_b32 s3, 0
                                        ; implicit-def: $vgpr3
	s_and_saveexec_b32 s4, vcc_lo
	s_delay_alu instid0(SALU_CYCLE_1)
	s_xor_b32 s4, exec_lo, s4
	s_cbranch_execz .LBB12_1124
; %bb.1063:
	v_bfe_u32 v3, v2, 21, 1
	s_mov_b32 s3, exec_lo
	s_delay_alu instid0(VALU_DEP_1) | instskip(NEXT) | instid1(VALU_DEP_1)
	v_add3_u32 v3, v2, v3, 0x88fffff
	v_lshrrev_b32_e32 v3, 21, v3
	s_or_saveexec_b32 s4, s4
                                        ; implicit-def: $sgpr5
	s_delay_alu instid0(SALU_CYCLE_1)
	s_xor_b32 exec_lo, exec_lo, s4
	s_cbranch_execnz .LBB12_1125
.LBB12_1064:
	s_or_b32 exec_lo, exec_lo, s4
	v_mov_b32_e32 v7, s5
	s_and_saveexec_b32 s4, s3
.LBB12_1065:
	v_lshrrev_b32_e32 v2, 24, v2
	s_delay_alu instid0(VALU_DEP_1)
	v_and_or_b32 v7, 0x80, v2, v3
.LBB12_1066:
	s_or_b32 exec_lo, exec_lo, s4
.LBB12_1067:
	s_delay_alu instid0(SALU_CYCLE_1)
	s_or_b32 exec_lo, exec_lo, s2
	s_mov_b32 s2, 0
	global_store_b8 v[4:5], v7, off
.LBB12_1068:
	s_and_b32 vcc_lo, exec_lo, s2
	s_cbranch_vccz .LBB12_1078
; %bb.1069:
	v_cvt_f32_f64_e32 v2, v[0:1]
	s_mov_b32 s2, exec_lo
                                        ; implicit-def: $vgpr3
	s_delay_alu instid0(VALU_DEP_1) | instskip(NEXT) | instid1(VALU_DEP_1)
	v_and_b32_e32 v7, 0x7fffffff, v2
	v_cmpx_gt_u32_e32 0x43f00000, v7
	s_xor_b32 s2, exec_lo, s2
	s_cbranch_execz .LBB12_1075
; %bb.1070:
	s_mov_b32 s3, exec_lo
                                        ; implicit-def: $vgpr3
	v_cmpx_lt_u32_e32 0x3c7fffff, v7
	s_xor_b32 s3, exec_lo, s3
; %bb.1071:
	v_bfe_u32 v3, v2, 20, 1
	s_delay_alu instid0(VALU_DEP_1) | instskip(NEXT) | instid1(VALU_DEP_1)
	v_add3_u32 v3, v2, v3, 0x407ffff
	v_and_b32_e32 v7, 0xff00000, v3
	v_lshrrev_b32_e32 v3, 20, v3
	s_delay_alu instid0(VALU_DEP_2) | instskip(NEXT) | instid1(VALU_DEP_2)
	v_cmp_ne_u32_e32 vcc_lo, 0x7f00000, v7
	v_cndmask_b32_e32 v3, 0x7e, v3, vcc_lo
; %bb.1072:
	s_and_not1_saveexec_b32 s3, s3
; %bb.1073:
	v_add_f32_e64 v3, 0x46800000, |v2|
; %bb.1074:
	s_or_b32 exec_lo, exec_lo, s3
                                        ; implicit-def: $vgpr7
.LBB12_1075:
	s_and_not1_saveexec_b32 s2, s2
; %bb.1076:
	v_mov_b32_e32 v3, 0x7f
	v_cmp_lt_u32_e32 vcc_lo, 0x7f800000, v7
	s_delay_alu instid0(VALU_DEP_2)
	v_cndmask_b32_e32 v3, 0x7e, v3, vcc_lo
; %bb.1077:
	s_or_b32 exec_lo, exec_lo, s2
	v_lshrrev_b32_e32 v2, 24, v2
	s_delay_alu instid0(VALU_DEP_1)
	v_and_or_b32 v2, 0x80, v2, v3
	global_store_b8 v[4:5], v2, off
.LBB12_1078:
	s_mov_b32 s2, 0
.LBB12_1079:
	s_delay_alu instid0(SALU_CYCLE_1)
	s_and_not1_b32 vcc_lo, exec_lo, s2
	s_cbranch_vccnz .LBB12_1089
; %bb.1080:
	v_cvt_f32_f64_e32 v2, v[0:1]
	s_mov_b32 s2, exec_lo
                                        ; implicit-def: $vgpr3
	s_delay_alu instid0(VALU_DEP_1) | instskip(NEXT) | instid1(VALU_DEP_1)
	v_and_b32_e32 v7, 0x7fffffff, v2
	v_cmpx_gt_u32_e32 0x47800000, v7
	s_xor_b32 s2, exec_lo, s2
	s_cbranch_execz .LBB12_1086
; %bb.1081:
	s_mov_b32 s3, exec_lo
                                        ; implicit-def: $vgpr3
	v_cmpx_lt_u32_e32 0x387fffff, v7
	s_xor_b32 s3, exec_lo, s3
; %bb.1082:
	v_bfe_u32 v3, v2, 21, 1
	s_delay_alu instid0(VALU_DEP_1) | instskip(NEXT) | instid1(VALU_DEP_1)
	v_add3_u32 v3, v2, v3, 0x80fffff
	v_lshrrev_b32_e32 v3, 21, v3
; %bb.1083:
	s_and_not1_saveexec_b32 s3, s3
; %bb.1084:
	v_add_f32_e64 v3, 0x43000000, |v2|
; %bb.1085:
	s_or_b32 exec_lo, exec_lo, s3
                                        ; implicit-def: $vgpr7
.LBB12_1086:
	s_and_not1_saveexec_b32 s2, s2
; %bb.1087:
	v_mov_b32_e32 v3, 0x7f
	v_cmp_lt_u32_e32 vcc_lo, 0x7f800000, v7
	s_delay_alu instid0(VALU_DEP_2)
	v_cndmask_b32_e32 v3, 0x7c, v3, vcc_lo
; %bb.1088:
	s_or_b32 exec_lo, exec_lo, s2
	v_lshrrev_b32_e32 v2, 24, v2
	s_delay_alu instid0(VALU_DEP_1)
	v_and_or_b32 v2, 0x80, v2, v3
	global_store_b8 v[4:5], v2, off
.LBB12_1089:
	s_mov_b32 s2, 0
.LBB12_1090:
	s_delay_alu instid0(SALU_CYCLE_1)
	s_and_not1_b32 vcc_lo, exec_lo, s2
	s_mov_b32 s2, 0
	s_cbranch_vccnz .LBB12_1098
; %bb.1091:
	v_cmp_lt_i16_e32 vcc_lo, 14, v6
	s_mov_b32 s2, -1
	s_cbranch_vccz .LBB12_1095
; %bb.1092:
	v_cmp_eq_u16_e32 vcc_lo, 15, v6
	s_mov_b32 s0, -1
	s_cbranch_vccz .LBB12_1094
; %bb.1093:
	v_cvt_f32_f64_e32 v2, v[0:1]
	s_mov_b32 s0, 0
	s_delay_alu instid0(VALU_DEP_1) | instskip(SKIP_1) | instid1(VALU_DEP_2)
	v_bfe_u32 v3, v2, 16, 1
	v_cmp_o_f32_e32 vcc_lo, v2, v2
	v_add3_u32 v3, v2, v3, 0x7fff
	s_delay_alu instid0(VALU_DEP_1) | instskip(NEXT) | instid1(VALU_DEP_1)
	v_lshrrev_b32_e32 v3, 16, v3
	v_cndmask_b32_e32 v2, 0x7fc0, v3, vcc_lo
	global_store_b16 v[4:5], v2, off
.LBB12_1094:
	s_mov_b32 s2, 0
.LBB12_1095:
	s_delay_alu instid0(SALU_CYCLE_1)
	s_and_b32 vcc_lo, exec_lo, s2
	s_mov_b32 s2, 0
	s_cbranch_vccz .LBB12_1098
; %bb.1096:
	v_cmp_ne_u16_e32 vcc_lo, 11, v6
	s_and_not1_b32 s0, s0, exec_lo
	s_mov_b32 s2, -1
	s_and_b32 s3, vcc_lo, exec_lo
	s_delay_alu instid0(SALU_CYCLE_1)
	s_or_b32 s0, s0, s3
	s_branch .LBB12_1098
.LBB12_1097:
	s_mov_b32 s2, 0
.LBB12_1098:
	s_and_not1_b32 s3, s73, exec_lo
	s_and_b32 s4, s0, exec_lo
	s_and_b32 s1, s1, exec_lo
	;; [unrolled: 1-line block ×3, first 2 shown]
	s_or_b32 s2, s3, s4
.LBB12_1099:
	s_or_b32 exec_lo, exec_lo, s65
	s_delay_alu instid0(SALU_CYCLE_1)
	s_and_not1_b32 s3, s73, exec_lo
	s_and_b32 s2, s2, exec_lo
	s_and_b32 s1, s1, exec_lo
	s_and_b32 s0, s0, exec_lo
	s_or_b32 s73, s3, s2
.LBB12_1100:
	s_or_b32 exec_lo, exec_lo, s72
	s_delay_alu instid0(SALU_CYCLE_1)
	s_and_not1_b32 s2, s70, exec_lo
	s_and_b32 s3, s73, exec_lo
	s_and_b32 s1, s1, exec_lo
	;; [unrolled: 1-line block ×3, first 2 shown]
	s_or_b32 s70, s2, s3
.LBB12_1101:
	s_or_b32 exec_lo, exec_lo, s71
	s_delay_alu instid0(SALU_CYCLE_1)
	s_and_not1_b32 s2, s68, exec_lo
	s_and_b32 s3, s70, exec_lo
	s_and_b32 s1, s1, exec_lo
	;; [unrolled: 1-line block ×3, first 2 shown]
	s_or_b32 s68, s2, s3
	s_or_b32 exec_lo, exec_lo, s69
	s_mov_b32 s0, 0
	s_and_saveexec_b32 s2, s68
	s_cbranch_execz .LBB12_142
.LBB12_1102:
	s_cbranch_execnz .LBB12_1104
; %bb.1103:
	s_mov_b32 s0, exec_lo
	s_and_not1_b32 s70, s70, exec_lo
	s_or_b32 exec_lo, exec_lo, s2
	s_and_saveexec_b32 s2, s70
	s_delay_alu instid0(SALU_CYCLE_1)
	s_xor_b32 s2, exec_lo, s2
	s_cbranch_execnz .LBB12_143
	s_branch .LBB12_144
.LBB12_1104:
	s_trap 2
	s_sendmsg_rtn_b32 s0, sendmsg(MSG_RTN_GET_DOORBELL)
	s_mov_b32 ttmp2, m0
	s_waitcnt lgkmcnt(0)
	s_and_b32 s0, s0, 0x3ff
	s_delay_alu instid0(SALU_CYCLE_1) | instskip(NEXT) | instid1(SALU_CYCLE_1)
	s_bitset1_b32 s0, 10
	s_mov_b32 m0, s0
	s_sendmsg sendmsg(MSG_INTERRUPT)
	s_mov_b32 m0, ttmp2
.LBB12_1105:                            ; =>This Inner Loop Header: Depth=1
	s_sethalt 5
	s_branch .LBB12_1105
.LBB12_1106:
	s_or_saveexec_b32 s3, s3
                                        ; implicit-def: $sgpr4
	s_delay_alu instid0(SALU_CYCLE_1)
	s_xor_b32 exec_lo, exec_lo, s3
	s_cbranch_execz .LBB12_957
.LBB12_1107:
	v_add_f32_e64 v3, 0x46000000, |v2|
	s_and_not1_b32 s2, s2, exec_lo
	s_mov_b32 s4, 0
	s_delay_alu instid0(VALU_DEP_1) | instskip(NEXT) | instid1(VALU_DEP_1)
	v_and_b32_e32 v3, 0xff, v3
	v_cmp_ne_u32_e32 vcc_lo, 0, v3
	s_and_b32 s5, vcc_lo, exec_lo
	s_delay_alu instid0(SALU_CYCLE_1)
	s_or_b32 s2, s2, s5
	s_or_b32 exec_lo, exec_lo, s3
	v_mov_b32_e32 v7, s4
	s_and_saveexec_b32 s3, s2
	s_cbranch_execnz .LBB12_958
	s_branch .LBB12_959
.LBB12_1108:
	s_or_saveexec_b32 s4, s4
                                        ; implicit-def: $sgpr5
	s_delay_alu instid0(SALU_CYCLE_1)
	s_xor_b32 exec_lo, exec_lo, s4
	s_cbranch_execz .LBB12_513
.LBB12_1109:
	v_add_f32_e64 v5, 0x42800000, |v4|
	s_and_not1_b32 s3, s3, exec_lo
	s_mov_b32 s5, 0
	s_delay_alu instid0(VALU_DEP_1) | instskip(NEXT) | instid1(VALU_DEP_1)
	v_and_b32_e32 v5, 0xff, v5
	v_cmp_ne_u32_e32 vcc_lo, 0, v5
	s_and_b32 s6, vcc_lo, exec_lo
	s_delay_alu instid0(SALU_CYCLE_1)
	s_or_b32 s3, s3, s6
	s_or_b32 exec_lo, exec_lo, s4
	v_mov_b32_e32 v7, s5
	s_and_saveexec_b32 s4, s3
	s_cbranch_execnz .LBB12_514
	s_branch .LBB12_515
.LBB12_1110:
	s_or_saveexec_b32 s5, s5
                                        ; implicit-def: $sgpr6
	s_delay_alu instid0(SALU_CYCLE_1)
	s_xor_b32 exec_lo, exec_lo, s5
	s_cbranch_execz .LBB12_619
.LBB12_1111:
	v_add_f32_e64 v3, 0x46000000, |v2|
	s_and_not1_b32 s4, s4, exec_lo
	s_mov_b32 s6, 0
	s_delay_alu instid0(VALU_DEP_1) | instskip(NEXT) | instid1(VALU_DEP_1)
	v_and_b32_e32 v3, 0xff, v3
	v_cmp_ne_u32_e32 vcc_lo, 0, v3
	s_and_b32 s7, vcc_lo, exec_lo
	s_delay_alu instid0(SALU_CYCLE_1)
	s_or_b32 s4, s4, s7
	s_or_b32 exec_lo, exec_lo, s5
	v_mov_b32_e32 v7, s6
	s_and_saveexec_b32 s5, s4
	s_cbranch_execnz .LBB12_620
	s_branch .LBB12_621
.LBB12_1112:
	s_trap 2
	s_sendmsg_rtn_b32 s0, sendmsg(MSG_RTN_GET_DOORBELL)
	s_mov_b32 ttmp2, m0
	s_waitcnt lgkmcnt(0)
	s_and_b32 s0, s0, 0x3ff
	s_delay_alu instid0(SALU_CYCLE_1) | instskip(NEXT) | instid1(SALU_CYCLE_1)
	s_bitset1_b32 s0, 10
	s_mov_b32 m0, s0
	s_sendmsg sendmsg(MSG_INTERRUPT)
	s_mov_b32 m0, ttmp2
.LBB12_1113:                            ; =>This Inner Loop Header: Depth=1
	s_sethalt 5
	s_branch .LBB12_1113
.LBB12_1114:
	s_cbranch_execnz .LBB12_1122
; %bb.1115:
	s_mov_b32 s2, 0
	s_or_b32 s1, s1, exec_lo
	s_branch .LBB12_665
.LBB12_1116:
	s_or_saveexec_b32 s3, s3
                                        ; implicit-def: $sgpr4
	s_delay_alu instid0(SALU_CYCLE_1)
	s_xor_b32 exec_lo, exec_lo, s3
	s_cbranch_execz .LBB12_970
.LBB12_1117:
	v_add_f32_e64 v3, 0x42800000, |v2|
	s_and_not1_b32 s2, s2, exec_lo
	s_mov_b32 s4, 0
	s_delay_alu instid0(VALU_DEP_1) | instskip(NEXT) | instid1(VALU_DEP_1)
	v_and_b32_e32 v3, 0xff, v3
	v_cmp_ne_u32_e32 vcc_lo, 0, v3
	s_and_b32 s5, vcc_lo, exec_lo
	s_delay_alu instid0(SALU_CYCLE_1)
	s_or_b32 s2, s2, s5
	s_or_b32 exec_lo, exec_lo, s3
	v_mov_b32_e32 v7, s4
	s_and_saveexec_b32 s3, s2
	s_cbranch_execnz .LBB12_971
	s_branch .LBB12_972
.LBB12_1118:
	s_or_saveexec_b32 s3, s3
                                        ; implicit-def: $sgpr4
	s_delay_alu instid0(SALU_CYCLE_1)
	s_xor_b32 exec_lo, exec_lo, s3
	s_cbranch_execz .LBB12_1052
.LBB12_1119:
	v_add_f32_e64 v3, 0x46000000, |v2|
	s_and_not1_b32 s2, s2, exec_lo
	s_mov_b32 s4, 0
	s_delay_alu instid0(VALU_DEP_1) | instskip(NEXT) | instid1(VALU_DEP_1)
	v_and_b32_e32 v3, 0xff, v3
	v_cmp_ne_u32_e32 vcc_lo, 0, v3
	s_and_b32 s5, vcc_lo, exec_lo
	s_delay_alu instid0(SALU_CYCLE_1)
	s_or_b32 s2, s2, s5
	s_or_b32 exec_lo, exec_lo, s3
	v_mov_b32_e32 v7, s4
	s_and_saveexec_b32 s3, s2
	s_cbranch_execnz .LBB12_1053
	s_branch .LBB12_1054
.LBB12_1120:
	s_or_saveexec_b32 s4, s4
                                        ; implicit-def: $sgpr5
	s_delay_alu instid0(SALU_CYCLE_1)
	s_xor_b32 exec_lo, exec_lo, s4
	s_cbranch_execz .LBB12_631
.LBB12_1121:
	v_add_f32_e64 v3, 0x42800000, |v2|
	s_and_not1_b32 s3, s3, exec_lo
	s_mov_b32 s5, 0
	s_delay_alu instid0(VALU_DEP_1) | instskip(NEXT) | instid1(VALU_DEP_1)
	v_and_b32_e32 v3, 0xff, v3
	v_cmp_ne_u32_e32 vcc_lo, 0, v3
	s_and_b32 s6, vcc_lo, exec_lo
	s_delay_alu instid0(SALU_CYCLE_1)
	s_or_b32 s3, s3, s6
	s_or_b32 exec_lo, exec_lo, s4
	v_mov_b32_e32 v7, s5
	s_and_saveexec_b32 s4, s3
	s_cbranch_execnz .LBB12_632
	s_branch .LBB12_633
.LBB12_1122:
	s_trap 2
	s_sendmsg_rtn_b32 s0, sendmsg(MSG_RTN_GET_DOORBELL)
	s_mov_b32 ttmp2, m0
	s_waitcnt lgkmcnt(0)
	s_and_b32 s0, s0, 0x3ff
	s_delay_alu instid0(SALU_CYCLE_1) | instskip(NEXT) | instid1(SALU_CYCLE_1)
	s_bitset1_b32 s0, 10
	s_mov_b32 m0, s0
	s_sendmsg sendmsg(MSG_INTERRUPT)
	s_mov_b32 m0, ttmp2
.LBB12_1123:                            ; =>This Inner Loop Header: Depth=1
	s_sethalt 5
	s_branch .LBB12_1123
.LBB12_1124:
	s_or_saveexec_b32 s4, s4
                                        ; implicit-def: $sgpr5
	s_delay_alu instid0(SALU_CYCLE_1)
	s_xor_b32 exec_lo, exec_lo, s4
	s_cbranch_execz .LBB12_1064
.LBB12_1125:
	v_add_f32_e64 v3, 0x42800000, |v2|
	s_and_not1_b32 s3, s3, exec_lo
	s_mov_b32 s5, 0
	s_delay_alu instid0(VALU_DEP_1) | instskip(NEXT) | instid1(VALU_DEP_1)
	v_and_b32_e32 v3, 0xff, v3
	v_cmp_ne_u32_e32 vcc_lo, 0, v3
	s_and_b32 s6, vcc_lo, exec_lo
	s_delay_alu instid0(SALU_CYCLE_1)
	s_or_b32 s3, s3, s6
	s_or_b32 exec_lo, exec_lo, s4
	v_mov_b32_e32 v7, s5
	s_and_saveexec_b32 s4, s3
	s_cbranch_execnz .LBB12_1065
	s_branch .LBB12_1066
	.section	.rodata,"a",@progbits
	.p2align	6, 0x0
	.amdhsa_kernel _ZN2at6native32elementwise_kernel_manual_unrollILi128ELi4EZNS0_15gpu_kernel_implIZZZNS0_12_GLOBAL__N_121bessel_y1_kernel_cudaERNS_18TensorIteratorBaseEENKUlvE_clEvENKUlvE_clEvEUldE_EEvS5_RKT_EUlibE0_EEviT1_
		.amdhsa_group_segment_fixed_size 0
		.amdhsa_private_segment_fixed_size 48
		.amdhsa_kernarg_size 360
		.amdhsa_user_sgpr_count 15
		.amdhsa_user_sgpr_dispatch_ptr 0
		.amdhsa_user_sgpr_queue_ptr 0
		.amdhsa_user_sgpr_kernarg_segment_ptr 1
		.amdhsa_user_sgpr_dispatch_id 0
		.amdhsa_user_sgpr_private_segment_size 0
		.amdhsa_wavefront_size32 1
		.amdhsa_uses_dynamic_stack 1
		.amdhsa_enable_private_segment 1
		.amdhsa_system_sgpr_workgroup_id_x 1
		.amdhsa_system_sgpr_workgroup_id_y 0
		.amdhsa_system_sgpr_workgroup_id_z 0
		.amdhsa_system_sgpr_workgroup_info 0
		.amdhsa_system_vgpr_workitem_id 0
		.amdhsa_next_free_vgpr 104
		.amdhsa_next_free_sgpr 74
		.amdhsa_reserve_vcc 1
		.amdhsa_float_round_mode_32 0
		.amdhsa_float_round_mode_16_64 0
		.amdhsa_float_denorm_mode_32 3
		.amdhsa_float_denorm_mode_16_64 3
		.amdhsa_dx10_clamp 1
		.amdhsa_ieee_mode 1
		.amdhsa_fp16_overflow 0
		.amdhsa_workgroup_processor_mode 1
		.amdhsa_memory_ordered 1
		.amdhsa_forward_progress 0
		.amdhsa_shared_vgpr_count 0
		.amdhsa_exception_fp_ieee_invalid_op 0
		.amdhsa_exception_fp_denorm_src 0
		.amdhsa_exception_fp_ieee_div_zero 0
		.amdhsa_exception_fp_ieee_overflow 0
		.amdhsa_exception_fp_ieee_underflow 0
		.amdhsa_exception_fp_ieee_inexact 0
		.amdhsa_exception_int_div_zero 0
	.end_amdhsa_kernel
	.section	.text._ZN2at6native32elementwise_kernel_manual_unrollILi128ELi4EZNS0_15gpu_kernel_implIZZZNS0_12_GLOBAL__N_121bessel_y1_kernel_cudaERNS_18TensorIteratorBaseEENKUlvE_clEvENKUlvE_clEvEUldE_EEvS5_RKT_EUlibE0_EEviT1_,"axG",@progbits,_ZN2at6native32elementwise_kernel_manual_unrollILi128ELi4EZNS0_15gpu_kernel_implIZZZNS0_12_GLOBAL__N_121bessel_y1_kernel_cudaERNS_18TensorIteratorBaseEENKUlvE_clEvENKUlvE_clEvEUldE_EEvS5_RKT_EUlibE0_EEviT1_,comdat
.Lfunc_end12:
	.size	_ZN2at6native32elementwise_kernel_manual_unrollILi128ELi4EZNS0_15gpu_kernel_implIZZZNS0_12_GLOBAL__N_121bessel_y1_kernel_cudaERNS_18TensorIteratorBaseEENKUlvE_clEvENKUlvE_clEvEUldE_EEvS5_RKT_EUlibE0_EEviT1_, .Lfunc_end12-_ZN2at6native32elementwise_kernel_manual_unrollILi128ELi4EZNS0_15gpu_kernel_implIZZZNS0_12_GLOBAL__N_121bessel_y1_kernel_cudaERNS_18TensorIteratorBaseEENKUlvE_clEvENKUlvE_clEvEUldE_EEvS5_RKT_EUlibE0_EEviT1_
                                        ; -- End function
	.section	.AMDGPU.csdata,"",@progbits
; Kernel info:
; codeLenInByte = 24500
; NumSgprs: 76
; NumVgprs: 104
; ScratchSize: 48
; MemoryBound: 0
; FloatMode: 240
; IeeeMode: 1
; LDSByteSize: 0 bytes/workgroup (compile time only)
; SGPRBlocks: 9
; VGPRBlocks: 12
; NumSGPRsForWavesPerEU: 76
; NumVGPRsForWavesPerEU: 104
; Occupancy: 12
; WaveLimiterHint : 1
; COMPUTE_PGM_RSRC2:SCRATCH_EN: 1
; COMPUTE_PGM_RSRC2:USER_SGPR: 15
; COMPUTE_PGM_RSRC2:TRAP_HANDLER: 0
; COMPUTE_PGM_RSRC2:TGID_X_EN: 1
; COMPUTE_PGM_RSRC2:TGID_Y_EN: 0
; COMPUTE_PGM_RSRC2:TGID_Z_EN: 0
; COMPUTE_PGM_RSRC2:TIDIG_COMP_CNT: 0
	.text
	.p2align	2                               ; -- Begin function _Z17bessel_j1_forwardIfET_S0_
	.type	_Z17bessel_j1_forwardIfET_S0_,@function
_Z17bessel_j1_forwardIfET_S0_:          ; @_Z17bessel_j1_forwardIfET_S0_
; %bb.0:
	s_waitcnt vmcnt(0) expcnt(0) lgkmcnt(0)
	s_mov_b32 s0, s33
	s_mov_b32 s33, s32
	s_or_saveexec_b32 s1, -1
	scratch_store_b32 off, v40, s33         ; 4-byte Folded Spill
	s_mov_b32 exec_lo, s1
	v_writelane_b32 v40, s0, 3
	s_add_i32 s32, s32, 16
	v_writelane_b32 v40, s34, 0
	v_writelane_b32 v40, s30, 1
	;; [unrolled: 1-line block ×3, first 2 shown]
                                        ; implicit-def: $vgpr1
	s_mov_b32 s0, exec_lo
	v_cmpx_ngt_f32_e32 0, v0
	s_xor_b32 s3, exec_lo, s0
	s_cbranch_execz .LBB13_14
; %bb.1:
	s_mov_b32 s0, exec_lo
                                        ; implicit-def: $vgpr1
	v_cmpx_ge_f32_e32 0x40a00000, v0
	s_xor_b32 s0, exec_lo, s0
	s_cbranch_execz .LBB13_3
; %bb.2:
	v_mul_f32_e32 v1, v0, v0
	s_delay_alu instid0(VALU_DEP_1) | instskip(SKIP_1) | instid1(VALU_DEP_2)
	v_fmaak_f32 v2, 0, v1, 0x441b3589
	v_fmaak_f32 v3, 0, v1, 0xce5691e2
	;; [unrolled: 1-line block ×3, first 2 shown]
	s_delay_alu instid0(VALU_DEP_2) | instskip(NEXT) | instid1(VALU_DEP_2)
	v_fmaak_f32 v3, v1, v3, 0x52d295d0
	v_fmaak_f32 v2, v1, v2, 0x4c9f4aa7
	s_delay_alu instid0(VALU_DEP_2) | instskip(NEXT) | instid1(VALU_DEP_2)
	v_fmaak_f32 v3, v1, v3, 0xd6845497
	v_fmaak_f32 v2, v1, v2, 0x50a509fc
	;; [unrolled: 3-line block ×3, first 2 shown]
	s_delay_alu instid0(VALU_DEP_1) | instskip(NEXT) | instid1(VALU_DEP_1)
	v_fmaak_f32 v2, v1, v2, 0x58325852
	v_fmaak_f32 v2, v1, v2, 0x5b9f0600
	s_delay_alu instid0(VALU_DEP_1) | instskip(NEXT) | instid1(VALU_DEP_1)
	v_fmaak_f32 v1, v1, v2, 0x5e93bcac
	v_div_scale_f32 v2, null, v1, v1, v3
	v_div_scale_f32 v6, vcc_lo, v3, v1, v3
	s_delay_alu instid0(VALU_DEP_2) | instskip(SKIP_2) | instid1(VALU_DEP_1)
	v_rcp_f32_e32 v4, v2
	s_waitcnt_depctr 0xfff
	v_fma_f32 v5, -v2, v4, 1.0
	v_fmac_f32_e32 v4, v5, v4
	s_delay_alu instid0(VALU_DEP_1) | instskip(NEXT) | instid1(VALU_DEP_1)
	v_mul_f32_e32 v5, v6, v4
	v_fma_f32 v7, -v2, v5, v6
	s_delay_alu instid0(VALU_DEP_1) | instskip(NEXT) | instid1(VALU_DEP_1)
	v_fmac_f32_e32 v5, v7, v4
	v_fma_f32 v2, -v2, v5, v6
	s_delay_alu instid0(VALU_DEP_1) | instskip(NEXT) | instid1(VALU_DEP_1)
	v_div_fmas_f32 v2, v2, v4, v5
	v_div_fixup_f32 v1, v2, v1, v3
	v_fmaak_f32 v2, v0, v0, 0xc16ae95a
	s_delay_alu instid0(VALU_DEP_2) | instskip(NEXT) | instid1(VALU_DEP_1)
	v_mul_f32_e32 v1, v1, v0
	v_dual_fmaak_f32 v0, v0, v0, 0xc244dfb3 :: v_dual_mul_f32 v1, v2, v1
	s_delay_alu instid0(VALU_DEP_1)
	v_mul_f32_e32 v1, v0, v1
                                        ; implicit-def: $vgpr0
.LBB13_3:
	s_and_not1_saveexec_b32 s4, s0
	s_cbranch_execz .LBB13_13
; %bb.4:
	v_add_f32_e32 v1, 0xc016cbe4, v0
                                        ; implicit-def: $vgpr4
                                        ; implicit-def: $vgpr3
	s_delay_alu instid0(VALU_DEP_1) | instskip(SKIP_1) | instid1(VALU_DEP_2)
	v_and_b32_e32 v2, 0x7fffffff, v1
	v_cmp_ngt_f32_e64 s5, 0x48000000, |v1|
	v_lshrrev_b32_e32 v6, 23, v2
	s_delay_alu instid0(VALU_DEP_2) | instskip(NEXT) | instid1(SALU_CYCLE_1)
	s_and_saveexec_b32 s0, s5
	s_xor_b32 s6, exec_lo, s0
	s_cbranch_execz .LBB13_6
; %bb.5:
	s_mov_b32 s0, 0x7fffff
	v_mov_b32_e32 v5, 0
	v_and_or_b32 v14, v2, s0, 0x800000
	v_add_nc_u32_e32 v12, 0xffffff88, v6
	s_delay_alu instid0(VALU_DEP_2) | instskip(NEXT) | instid1(VALU_DEP_2)
	v_mad_u64_u32 v[3:4], null, 0xfe5163ab, v14, 0
	v_cmp_lt_u32_e32 vcc_lo, 63, v12
	v_cndmask_b32_e64 v13, 0, 0xffffffc0, vcc_lo
	s_delay_alu instid0(VALU_DEP_3) | instskip(NEXT) | instid1(VALU_DEP_1)
	v_mad_u64_u32 v[7:8], null, 0x3c439041, v14, v[4:5]
	v_dual_mov_b32 v4, v8 :: v_dual_add_nc_u32 v13, v13, v12
	s_delay_alu instid0(VALU_DEP_1) | instskip(NEXT) | instid1(VALU_DEP_2)
	v_cmp_lt_u32_e64 s0, 31, v13
	v_mad_u64_u32 v[8:9], null, 0xdb629599, v14, v[4:5]
	s_delay_alu instid0(VALU_DEP_2) | instskip(NEXT) | instid1(VALU_DEP_1)
	v_cndmask_b32_e64 v15, 0, 0xffffffe0, s0
	v_dual_mov_b32 v4, v9 :: v_dual_add_nc_u32 v15, v15, v13
	s_delay_alu instid0(VALU_DEP_3) | instskip(NEXT) | instid1(VALU_DEP_2)
	v_cndmask_b32_e32 v3, v8, v3, vcc_lo
	v_cmp_lt_u32_e64 s1, 31, v15
	s_delay_alu instid0(VALU_DEP_3) | instskip(NEXT) | instid1(VALU_DEP_1)
	v_mad_u64_u32 v[9:10], null, 0xf534ddc0, v14, v[4:5]
	v_dual_mov_b32 v4, v10 :: v_dual_cndmask_b32 v7, v9, v7
	s_delay_alu instid0(VALU_DEP_1) | instskip(NEXT) | instid1(VALU_DEP_2)
	v_mad_u64_u32 v[10:11], null, 0xfc2757d1, v14, v[4:5]
	v_cndmask_b32_e64 v3, v7, v3, s0
	s_delay_alu instid0(VALU_DEP_2) | instskip(NEXT) | instid1(VALU_DEP_1)
	v_mov_b32_e32 v4, v11
	v_mad_u64_u32 v[11:12], null, 0x4e441529, v14, v[4:5]
	s_delay_alu instid0(VALU_DEP_1) | instskip(NEXT) | instid1(VALU_DEP_1)
	v_mov_b32_e32 v4, v12
	v_mad_u64_u32 v[12:13], null, 0xa2f9836e, v14, v[4:5]
	v_cndmask_b32_e64 v4, 0, 0xffffffe0, s1
	s_delay_alu instid0(VALU_DEP_1) | instskip(NEXT) | instid1(VALU_DEP_3)
	v_dual_cndmask_b32 v5, v11, v9 :: v_dual_add_nc_u32 v4, v4, v15
	v_dual_cndmask_b32 v12, v12, v10 :: v_dual_cndmask_b32 v11, v13, v11
	v_cndmask_b32_e32 v10, v10, v8, vcc_lo
	s_delay_alu instid0(VALU_DEP_3) | instskip(NEXT) | instid1(VALU_DEP_3)
	v_cmp_eq_u32_e64 s2, 0, v4
	v_cndmask_b32_e64 v9, v12, v5, s0
	s_delay_alu instid0(VALU_DEP_4) | instskip(NEXT) | instid1(VALU_DEP_4)
	v_cndmask_b32_e64 v11, v11, v12, s0
	v_cndmask_b32_e64 v5, v5, v10, s0
	v_sub_nc_u32_e32 v12, 32, v4
	v_cndmask_b32_e64 v10, v10, v7, s0
	s_delay_alu instid0(VALU_DEP_4) | instskip(NEXT) | instid1(VALU_DEP_4)
	v_cndmask_b32_e64 v11, v11, v9, s1
	v_cndmask_b32_e64 v9, v9, v5, s1
	s_delay_alu instid0(VALU_DEP_3) | instskip(SKIP_1) | instid1(VALU_DEP_3)
	v_cndmask_b32_e64 v5, v5, v10, s1
	v_cndmask_b32_e64 v3, v10, v3, s1
	v_alignbit_b32 v13, v11, v9, v12
	s_delay_alu instid0(VALU_DEP_3) | instskip(NEXT) | instid1(VALU_DEP_3)
	v_alignbit_b32 v14, v9, v5, v12
	v_alignbit_b32 v12, v5, v3, v12
	s_delay_alu instid0(VALU_DEP_3) | instskip(NEXT) | instid1(VALU_DEP_3)
	v_cndmask_b32_e64 v4, v13, v11, s2
	v_cndmask_b32_e64 v8, v14, v9, s2
	s_delay_alu instid0(VALU_DEP_3) | instskip(NEXT) | instid1(VALU_DEP_3)
	v_cndmask_b32_e64 v5, v12, v5, s2
	v_bfe_u32 v9, v4, 29, 1
	s_delay_alu instid0(VALU_DEP_3) | instskip(NEXT) | instid1(VALU_DEP_3)
	v_alignbit_b32 v7, v4, v8, 30
	v_alignbit_b32 v8, v8, v5, 30
	v_alignbit_b32 v3, v5, v3, 30
	s_delay_alu instid0(VALU_DEP_4) | instskip(NEXT) | instid1(VALU_DEP_1)
	v_sub_nc_u32_e32 v11, 0, v9
	v_xor_b32_e32 v10, v7, v11
	v_cmp_ne_u32_e32 vcc_lo, v7, v11
	v_xor_b32_e32 v5, v8, v11
	v_xor_b32_e32 v3, v3, v11
	s_delay_alu instid0(VALU_DEP_4) | instskip(NEXT) | instid1(VALU_DEP_1)
	v_clz_i32_u32_e32 v13, v10
	v_add_nc_u32_e32 v12, 1, v13
	s_delay_alu instid0(VALU_DEP_1) | instskip(NEXT) | instid1(VALU_DEP_1)
	v_cndmask_b32_e32 v7, 33, v12, vcc_lo
	v_sub_nc_u32_e32 v8, 32, v7
	s_delay_alu instid0(VALU_DEP_1) | instskip(SKIP_3) | instid1(VALU_DEP_3)
	v_alignbit_b32 v10, v10, v5, v8
	v_alignbit_b32 v3, v5, v3, v8
	v_lshrrev_b32_e32 v5, 29, v4
	v_lshrrev_b32_e32 v4, 30, v4
	v_alignbit_b32 v8, v10, v3, 9
	s_delay_alu instid0(VALU_DEP_3) | instskip(SKIP_1) | instid1(VALU_DEP_4)
	v_lshlrev_b32_e32 v5, 31, v5
	v_alignbit_b32 v10, v7, v10, 9
	v_add_nc_u32_e32 v4, v9, v4
	s_delay_alu instid0(VALU_DEP_4) | instskip(NEXT) | instid1(VALU_DEP_3)
	v_clz_i32_u32_e32 v11, v8
	v_or_b32_e32 v10, v10, v5
	v_or_b32_e32 v5, 0x33800000, v5
	s_delay_alu instid0(VALU_DEP_3) | instskip(NEXT) | instid1(VALU_DEP_3)
	v_min_u32_e32 v11, 32, v11
	v_xor_b32_e32 v10, 1.0, v10
	s_delay_alu instid0(VALU_DEP_2) | instskip(SKIP_1) | instid1(VALU_DEP_3)
	v_sub_nc_u32_e32 v12, 31, v11
	v_add_lshl_u32 v7, v11, v7, 23
	v_mul_f32_e32 v11, 0x3fc90fda, v10
	s_delay_alu instid0(VALU_DEP_3) | instskip(NEXT) | instid1(VALU_DEP_3)
	v_alignbit_b32 v3, v8, v3, v12
	v_sub_nc_u32_e32 v5, v5, v7
	s_delay_alu instid0(VALU_DEP_3) | instskip(NEXT) | instid1(VALU_DEP_3)
	v_fma_f32 v7, 0x3fc90fda, v10, -v11
	v_lshrrev_b32_e32 v3, 9, v3
	s_delay_alu instid0(VALU_DEP_2) | instskip(NEXT) | instid1(VALU_DEP_2)
	v_fmamk_f32 v7, v10, 0x33a22168, v7
	v_or_b32_e32 v3, v5, v3
	s_delay_alu instid0(VALU_DEP_1) | instskip(NEXT) | instid1(VALU_DEP_1)
	v_fmac_f32_e32 v7, 0x3fc90fda, v3
	v_add_f32_e32 v3, v11, v7
	s_or_saveexec_b32 s0, s6
	v_mul_f32_e64 v8, 0x3f22f983, |v1|
	s_xor_b32 exec_lo, exec_lo, s0
	s_branch .LBB13_7
.LBB13_6:
	s_or_saveexec_b32 s0, s6
	v_mul_f32_e64 v8, 0x3f22f983, |v1|
	s_xor_b32 exec_lo, exec_lo, s0
.LBB13_7:
	s_delay_alu instid0(VALU_DEP_1) | instskip(NEXT) | instid1(VALU_DEP_1)
	v_rndne_f32_e32 v4, v8
	v_fma_f32 v3, 0xbfc90fda, v4, |v1|
	s_delay_alu instid0(VALU_DEP_1) | instskip(NEXT) | instid1(VALU_DEP_1)
	v_fmamk_f32 v3, v4, 0xb3a22168, v3
	v_fmamk_f32 v3, v4, 0xa7c234c4, v3
	v_cvt_i32_f32_e32 v4, v4
; %bb.8:
	s_or_b32 exec_lo, exec_lo, s0
                                        ; implicit-def: $vgpr7
                                        ; implicit-def: $vgpr5
	s_and_saveexec_b32 s0, s5
	s_delay_alu instid0(SALU_CYCLE_1)
	s_xor_b32 s5, exec_lo, s0
	s_cbranch_execz .LBB13_10
; %bb.9:
	s_mov_b32 s0, 0x7fffff
	v_mov_b32_e32 v9, 0
	v_and_or_b32 v16, v2, s0, 0x800000
	s_delay_alu instid0(VALU_DEP_1) | instskip(NEXT) | instid1(VALU_DEP_1)
	v_mad_u64_u32 v[7:8], null, 0xfe5163ab, v16, 0
	v_mad_u64_u32 v[10:11], null, 0x3c439041, v16, v[8:9]
	s_delay_alu instid0(VALU_DEP_1) | instskip(NEXT) | instid1(VALU_DEP_1)
	v_mov_b32_e32 v8, v11
	v_mad_u64_u32 v[11:12], null, 0xdb629599, v16, v[8:9]
	s_delay_alu instid0(VALU_DEP_1) | instskip(NEXT) | instid1(VALU_DEP_1)
	v_mov_b32_e32 v8, v12
	v_mad_u64_u32 v[12:13], null, 0xf534ddc0, v16, v[8:9]
	s_delay_alu instid0(VALU_DEP_1) | instskip(NEXT) | instid1(VALU_DEP_1)
	v_dual_mov_b32 v8, v13 :: v_dual_add_nc_u32 v13, 0xffffff88, v6
	v_mad_u64_u32 v[5:6], null, 0xfc2757d1, v16, v[8:9]
	s_delay_alu instid0(VALU_DEP_2) | instskip(SKIP_1) | instid1(VALU_DEP_3)
	v_cmp_lt_u32_e32 vcc_lo, 63, v13
	v_cndmask_b32_e64 v14, 0, 0xffffffc0, vcc_lo
	v_dual_mov_b32 v8, v6 :: v_dual_cndmask_b32 v7, v11, v7
	s_delay_alu instid0(VALU_DEP_2) | instskip(NEXT) | instid1(VALU_DEP_2)
	v_add_nc_u32_e32 v6, v14, v13
	v_mad_u64_u32 v[13:14], null, 0x4e441529, v16, v[8:9]
	s_delay_alu instid0(VALU_DEP_2) | instskip(NEXT) | instid1(VALU_DEP_2)
	v_cmp_lt_u32_e64 s0, 31, v6
	v_mov_b32_e32 v8, v14
	s_delay_alu instid0(VALU_DEP_2) | instskip(NEXT) | instid1(VALU_DEP_1)
	v_cndmask_b32_e64 v15, 0, 0xffffffe0, s0
	v_add_nc_u32_e32 v6, v15, v6
	s_delay_alu instid0(VALU_DEP_3) | instskip(SKIP_1) | instid1(VALU_DEP_3)
	v_mad_u64_u32 v[14:15], null, 0xa2f9836e, v16, v[8:9]
	v_cndmask_b32_e32 v9, v13, v12, vcc_lo
	v_cmp_lt_u32_e64 s1, 31, v6
	s_delay_alu instid0(VALU_DEP_3) | instskip(NEXT) | instid1(VALU_DEP_2)
	v_cndmask_b32_e32 v14, v14, v5, vcc_lo
	v_cndmask_b32_e64 v8, 0, 0xffffffe0, s1
	v_cndmask_b32_e32 v13, v15, v13, vcc_lo
	s_delay_alu instid0(VALU_DEP_2) | instskip(SKIP_2) | instid1(VALU_DEP_4)
	v_dual_cndmask_b32 v5, v5, v11 :: v_dual_add_nc_u32 v6, v8, v6
	v_cndmask_b32_e32 v8, v12, v10, vcc_lo
	v_cndmask_b32_e64 v10, v14, v9, s0
	v_cndmask_b32_e64 v12, v13, v14, s0
	s_delay_alu instid0(VALU_DEP_4)
	v_cndmask_b32_e64 v9, v9, v5, s0
	v_sub_nc_u32_e32 v13, 32, v6
	v_cndmask_b32_e64 v5, v5, v8, s0
	v_cmp_eq_u32_e64 s2, 0, v6
	v_cndmask_b32_e64 v12, v12, v10, s1
	v_cndmask_b32_e64 v10, v10, v9, s1
	;; [unrolled: 1-line block ×4, first 2 shown]
	s_delay_alu instid0(VALU_DEP_3) | instskip(NEXT) | instid1(VALU_DEP_3)
	v_alignbit_b32 v14, v12, v10, v13
	v_cndmask_b32_e64 v5, v5, v7, s1
	s_delay_alu instid0(VALU_DEP_3) | instskip(NEXT) | instid1(VALU_DEP_3)
	v_alignbit_b32 v15, v10, v9, v13
	v_cndmask_b32_e64 v6, v14, v12, s2
	;; [unrolled: 3-line block ×3, first 2 shown]
	s_delay_alu instid0(VALU_DEP_3) | instskip(NEXT) | instid1(VALU_DEP_3)
	v_bfe_u32 v11, v6, 29, 1
	v_cndmask_b32_e64 v9, v13, v9, s2
	s_delay_alu instid0(VALU_DEP_3) | instskip(NEXT) | instid1(VALU_DEP_3)
	v_alignbit_b32 v8, v6, v10, 30
	v_sub_nc_u32_e32 v12, 0, v11
	s_delay_alu instid0(VALU_DEP_3) | instskip(SKIP_1) | instid1(VALU_DEP_3)
	v_alignbit_b32 v10, v10, v9, 30
	v_alignbit_b32 v5, v9, v5, 30
	v_xor_b32_e32 v7, v8, v12
	v_cmp_ne_u32_e32 vcc_lo, v8, v12
	s_delay_alu instid0(VALU_DEP_4) | instskip(NEXT) | instid1(VALU_DEP_4)
	v_xor_b32_e32 v9, v10, v12
	v_xor_b32_e32 v5, v5, v12
	s_delay_alu instid0(VALU_DEP_4) | instskip(NEXT) | instid1(VALU_DEP_1)
	v_clz_i32_u32_e32 v14, v7
	v_add_nc_u32_e32 v13, 1, v14
	s_delay_alu instid0(VALU_DEP_1) | instskip(NEXT) | instid1(VALU_DEP_1)
	v_cndmask_b32_e32 v8, 33, v13, vcc_lo
	v_sub_nc_u32_e32 v10, 32, v8
	s_delay_alu instid0(VALU_DEP_1) | instskip(SKIP_3) | instid1(VALU_DEP_3)
	v_alignbit_b32 v7, v7, v9, v10
	v_alignbit_b32 v5, v9, v5, v10
	v_lshrrev_b32_e32 v9, 29, v6
	v_lshrrev_b32_e32 v6, 30, v6
	v_alignbit_b32 v10, v7, v5, 9
	s_delay_alu instid0(VALU_DEP_3) | instskip(SKIP_1) | instid1(VALU_DEP_3)
	v_lshlrev_b32_e32 v9, 31, v9
	v_alignbit_b32 v7, v8, v7, 9
	v_clz_i32_u32_e32 v12, v10
	s_delay_alu instid0(VALU_DEP_2) | instskip(SKIP_1) | instid1(VALU_DEP_3)
	v_or_b32_e32 v7, v7, v9
	v_or_b32_e32 v9, 0x33800000, v9
	v_min_u32_e32 v12, 32, v12
	s_delay_alu instid0(VALU_DEP_3) | instskip(NEXT) | instid1(VALU_DEP_2)
	v_xor_b32_e32 v7, 1.0, v7
	v_sub_nc_u32_e32 v13, 31, v12
	v_add_lshl_u32 v8, v12, v8, 23
	s_delay_alu instid0(VALU_DEP_3) | instskip(NEXT) | instid1(VALU_DEP_3)
	v_mul_f32_e32 v12, 0x3fc90fda, v7
	v_alignbit_b32 v5, v10, v5, v13
	s_delay_alu instid0(VALU_DEP_3) | instskip(NEXT) | instid1(VALU_DEP_3)
	v_sub_nc_u32_e32 v8, v9, v8
	v_fma_f32 v9, 0x3fc90fda, v7, -v12
	s_delay_alu instid0(VALU_DEP_3) | instskip(NEXT) | instid1(VALU_DEP_2)
	v_lshrrev_b32_e32 v5, 9, v5
	v_fmamk_f32 v7, v7, 0x33a22168, v9
	s_delay_alu instid0(VALU_DEP_2) | instskip(NEXT) | instid1(VALU_DEP_1)
	v_or_b32_e32 v5, v8, v5
                                        ; implicit-def: $vgpr8
	v_fmac_f32_e32 v7, 0x3fc90fda, v5
	s_delay_alu instid0(VALU_DEP_1)
	v_add_f32_e32 v5, v12, v7
	v_add_nc_u32_e32 v7, v11, v6
	s_and_not1_saveexec_b32 s0, s5
	s_cbranch_execnz .LBB13_11
	s_branch .LBB13_12
.LBB13_10:
	s_and_not1_saveexec_b32 s0, s5
.LBB13_11:
	v_rndne_f32_e32 v6, v8
	s_delay_alu instid0(VALU_DEP_1) | instskip(SKIP_1) | instid1(VALU_DEP_2)
	v_fma_f32 v5, 0xbfc90fda, v6, |v1|
	v_cvt_i32_f32_e32 v7, v6
	v_fmamk_f32 v5, v6, 0xb3a22168, v5
	s_delay_alu instid0(VALU_DEP_1)
	v_fmamk_f32 v5, v6, 0xa7c234c4, v5
.LBB13_12:
	s_or_b32 exec_lo, exec_lo, s0
	v_div_scale_f32 v6, null, v0, v0, 0x40a00000
	v_div_scale_f32 v10, vcc_lo, 0x40a00000, v0, 0x40a00000
	v_and_b32_e32 v12, 1, v7
	s_delay_alu instid0(VALU_DEP_3)
	v_rcp_f32_e32 v8, v6
	s_mov_b32 s0, 0xb94c1982
	v_mul_f32_e32 v17, 0x4f800000, v0
	s_mov_b32 s1, 0x37d75334
	v_xor_b32_e32 v2, v2, v1
	v_lshlrev_b32_e32 v7, 30, v7
	s_waitcnt_depctr 0xfff
	v_fma_f32 v9, -v6, v8, 1.0
	s_delay_alu instid0(VALU_DEP_1) | instskip(NEXT) | instid1(VALU_DEP_1)
	v_fmac_f32_e32 v8, v9, v8
	v_mul_f32_e32 v9, v10, v8
	s_delay_alu instid0(VALU_DEP_1) | instskip(NEXT) | instid1(VALU_DEP_1)
	v_fma_f32 v11, -v6, v9, v10
	v_fmac_f32_e32 v9, v11, v8
	v_mul_f32_e32 v11, v5, v5
	s_delay_alu instid0(VALU_DEP_2) | instskip(NEXT) | instid1(VALU_DEP_2)
	v_fma_f32 v6, -v6, v9, v10
	v_fmaak_f32 v20, s0, v11, 0x3c0881c4
	v_fmaak_f32 v21, s1, v11, 0xbab64f3b
	s_delay_alu instid0(VALU_DEP_3) | instskip(SKIP_1) | instid1(VALU_DEP_4)
	v_div_fmas_f32 v6, v6, v8, v9
	v_mul_f32_e32 v8, v3, v3
	v_fmaak_f32 v20, v11, v20, 0xbe2aaa9d
	s_delay_alu instid0(VALU_DEP_4) | instskip(NEXT) | instid1(VALU_DEP_4)
	v_fmaak_f32 v21, v11, v21, 0x3d2aabf7
	v_div_fixup_f32 v6, v6, v0, 0x40a00000
	s_delay_alu instid0(VALU_DEP_4) | instskip(SKIP_2) | instid1(VALU_DEP_4)
	v_fmaak_f32 v18, s0, v8, 0x3c0881c4
	v_cmp_gt_f32_e64 s0, 0xf800000, v0
	v_mul_f32_e32 v20, v11, v20
	v_dual_fmaak_f32 v21, v11, v21, 0xbf000004 :: v_dual_mul_f32 v10, v6, v6
	v_and_b32_e32 v9, 1, v4
	v_lshlrev_b32_e32 v4, 30, v4
	v_cndmask_b32_e64 v0, v0, v17, s0
	v_fmaak_f32 v18, v8, v18, 0xbe2aaa9d
	v_fmaak_f32 v13, 0, v10, 0x3d513fd3
	;; [unrolled: 1-line block ×5, first 2 shown]
	v_sqrt_f32_e32 v24, v0
	v_dual_fmaak_f32 v13, v10, v13, 0x409f6dae :: v_dual_mul_f32 v18, v8, v18
	v_dual_fmaak_f32 v14, v10, v14, 0x3d8cfeeb :: v_dual_fmac_f32 v5, v5, v20
	v_fmaak_f32 v15, v10, v15, 0x3d95ca45
	s_delay_alu instid0(VALU_DEP_3) | instskip(NEXT) | instid1(VALU_DEP_4)
	v_dual_fmaak_f32 v16, v10, v16, 0x44840e5d :: v_dual_fmac_f32 v3, v3, v18
	v_fmaak_f32 v13, v10, v13, 0x4297a5cd
	s_delay_alu instid0(VALU_DEP_4) | instskip(NEXT) | instid1(VALU_DEP_4)
	v_fmaak_f32 v14, v10, v14, 0x3f8d754e
	v_fmaak_f32 v15, v10, v15, 0x3f9047f6
	s_delay_alu instid0(VALU_DEP_4)
	v_fmaak_f32 v16, v10, v16, 0x459bd349
	v_fma_f32 v11, v11, v21, 1.0
	v_cmp_eq_u32_e64 s2, 0, v9
	v_and_b32_e32 v4, 0x80000000, v4
	v_and_b32_e32 v7, 0x80000000, v7
	v_dual_fmaak_f32 v15, v10, v15, 0x40a39628 :: v_dual_add_nc_u32 v20, -1, v24
	v_fmaak_f32 v13, v10, v13, 0x43b763ca
	v_fmaak_f32 v14, v10, v14, 0x40a25d18
	;; [unrolled: 1-line block ×3, first 2 shown]
	s_delay_alu instid0(VALU_DEP_4) | instskip(NEXT) | instid1(VALU_DEP_4)
	v_fmaak_f32 v15, v10, v15, 0x4106c8e4
	v_fmaak_f32 v13, v10, v13, 0x4431b6ce
	s_delay_alu instid0(VALU_DEP_4) | instskip(NEXT) | instid1(VALU_DEP_4)
	v_fmaak_f32 v14, v10, v14, 0x410665cf
	v_fmaak_f32 v16, v10, v16, 0x45f9e855
	;; [unrolled: 3-line block ×4, first 2 shown]
	s_delay_alu instid0(VALU_DEP_4) | instskip(NEXT) | instid1(VALU_DEP_4)
	v_fma_f32 v15, v10, v15, 1.0
	v_fmaak_f32 v13, v10, v13, 0x4353b052
	s_delay_alu instid0(VALU_DEP_4) | instskip(NEXT) | instid1(VALU_DEP_4)
	v_fma_f32 v14, v10, v14, 1.0
	v_fmaak_f32 v16, v10, v16, 0x43a80bfb
	s_delay_alu instid0(VALU_DEP_3) | instskip(NEXT) | instid1(VALU_DEP_3)
	v_fmaak_f32 v10, v10, v13, 0x41c9a7fa
	v_div_scale_f32 v13, null, v14, v14, v15
	v_div_scale_f32 v27, vcc_lo, v15, v14, v15
	s_delay_alu instid0(VALU_DEP_3) | instskip(NEXT) | instid1(VALU_DEP_3)
	v_div_scale_f32 v22, null, v16, v16, v10
	v_rcp_f32_e32 v17, v13
	s_delay_alu instid0(VALU_DEP_1) | instskip(SKIP_3) | instid1(VALU_DEP_2)
	v_rcp_f32_e32 v23, v22
	s_waitcnt_depctr 0xfff
	v_fma_f32 v25, -v13, v17, 1.0
	v_fma_f32 v26, -v22, v23, 1.0
	v_fmac_f32_e32 v17, v25, v17
	s_delay_alu instid0(VALU_DEP_2) | instskip(NEXT) | instid1(VALU_DEP_2)
	v_dual_fmac_f32 v23, v26, v23 :: v_dual_add_nc_u32 v26, 1, v24
	v_mul_f32_e32 v18, v27, v17
	s_delay_alu instid0(VALU_DEP_2) | instskip(NEXT) | instid1(VALU_DEP_2)
	v_fma_f32 v9, -v26, v24, v0
	v_fma_f32 v21, -v13, v18, v27
	v_fmaak_f32 v19, s1, v8, 0xbab64f3b
	v_div_scale_f32 v25, s1, v10, v16, v10
	s_delay_alu instid0(VALU_DEP_2) | instskip(NEXT) | instid1(VALU_DEP_1)
	v_dual_fmac_f32 v18, v21, v17 :: v_dual_fmaak_f32 v19, v8, v19, 0x3d2aabf7
	v_fmaak_f32 v19, v8, v19, 0xbf000004
	s_delay_alu instid0(VALU_DEP_1) | instskip(NEXT) | instid1(VALU_DEP_4)
	v_fma_f32 v8, v8, v19, 1.0
	v_mul_f32_e32 v19, v25, v23
	s_delay_alu instid0(VALU_DEP_2) | instskip(NEXT) | instid1(VALU_DEP_2)
	v_cndmask_b32_e64 v3, -v3, v8, s2
	v_fma_f32 v28, -v22, v19, v25
	v_cmp_eq_u32_e64 s2, 0, v12
	v_fma_f32 v8, -v20, v24, v0
	s_delay_alu instid0(VALU_DEP_4) | instskip(NEXT) | instid1(VALU_DEP_4)
	v_xor_b32_e32 v3, v4, v3
	v_fmac_f32_e32 v19, v28, v23
	s_delay_alu instid0(VALU_DEP_4) | instskip(SKIP_1) | instid1(VALU_DEP_3)
	v_cndmask_b32_e64 v5, v11, v5, s2
	v_fma_f32 v11, -v13, v18, v27
	v_fma_f32 v4, -v22, v19, v25
	s_delay_alu instid0(VALU_DEP_3) | instskip(NEXT) | instid1(VALU_DEP_3)
	v_xor3_b32 v2, v2, v7, v5
	v_div_fmas_f32 v11, v11, v17, v18
	s_mov_b32 vcc_lo, s1
	v_cmp_lt_f32_e64 s1, 0, v9
	v_div_fmas_f32 v4, v4, v23, v19
	v_cmp_ge_f32_e32 vcc_lo, 0, v8
	v_cndmask_b32_e32 v5, v24, v20, vcc_lo
	v_cmp_class_f32_e64 vcc_lo, v1, 0x1f8
	s_delay_alu instid0(VALU_DEP_4) | instskip(NEXT) | instid1(VALU_DEP_3)
	v_div_fixup_f32 v1, v4, v16, v10
	v_cndmask_b32_e64 v4, v5, v26, s1
	s_delay_alu instid0(VALU_DEP_2) | instskip(SKIP_2) | instid1(VALU_DEP_4)
	v_dual_cndmask_b32 v2, 0x7fc00000, v2 :: v_dual_mul_f32 v1, v6, v1
	v_cndmask_b32_e32 v3, 0x7fc00000, v3, vcc_lo
	v_div_fixup_f32 v6, v11, v14, v15
	v_mul_f32_e32 v5, 0x37800000, v4
	v_cmp_class_f32_e64 vcc_lo, v0, 0x260
	v_mul_f32_e32 v1, v1, v2
	s_delay_alu instid0(VALU_DEP_3) | instskip(NEXT) | instid1(VALU_DEP_2)
	v_cndmask_b32_e64 v2, v4, v5, s0
	v_fma_f32 v1, v6, v3, -v1
	s_delay_alu instid0(VALU_DEP_1) | instskip(NEXT) | instid1(VALU_DEP_1)
	v_dual_cndmask_b32 v0, v2, v0 :: v_dual_mul_f32 v1, 0x3f4c422a, v1
	v_div_scale_f32 v2, null, v0, v0, v1
	s_delay_alu instid0(VALU_DEP_1) | instskip(SKIP_2) | instid1(VALU_DEP_1)
	v_rcp_f32_e32 v3, v2
	s_waitcnt_depctr 0xfff
	v_fma_f32 v4, -v2, v3, 1.0
	v_fmac_f32_e32 v3, v4, v3
	v_div_scale_f32 v4, vcc_lo, v1, v0, v1
	s_delay_alu instid0(VALU_DEP_1) | instskip(NEXT) | instid1(VALU_DEP_1)
	v_mul_f32_e32 v5, v4, v3
	v_fma_f32 v6, -v2, v5, v4
	s_delay_alu instid0(VALU_DEP_1) | instskip(NEXT) | instid1(VALU_DEP_1)
	v_fmac_f32_e32 v5, v6, v3
	v_fma_f32 v2, -v2, v5, v4
	s_delay_alu instid0(VALU_DEP_1) | instskip(NEXT) | instid1(VALU_DEP_1)
	v_div_fmas_f32 v2, v2, v3, v5
	v_div_fixup_f32 v1, v2, v0, v1
.LBB13_13:
	s_or_b32 exec_lo, exec_lo, s4
                                        ; implicit-def: $vgpr0
.LBB13_14:
	s_and_not1_saveexec_b32 s34, s3
	s_cbranch_execz .LBB13_16
; %bb.15:
	v_xor_b32_e32 v0, 0x80000000, v0
	s_getpc_b64 s[0:1]
	s_add_u32 s0, s0, _Z17bessel_j1_forwardIfET_S0_@rel32@lo+4
	s_addc_u32 s1, s1, _Z17bessel_j1_forwardIfET_S0_@rel32@hi+12
	s_delay_alu instid0(SALU_CYCLE_1)
	s_swappc_b64 s[30:31], s[0:1]
	v_xor_b32_e32 v1, 0x80000000, v0
.LBB13_16:
	s_or_b32 exec_lo, exec_lo, s34
	v_readlane_b32 s30, v40, 1
	s_delay_alu instid0(VALU_DEP_2)
	v_mov_b32_e32 v0, v1
	v_readlane_b32 s31, v40, 2
	v_readlane_b32 s34, v40, 0
	;; [unrolled: 1-line block ×3, first 2 shown]
	s_or_saveexec_b32 s1, -1
	scratch_load_b32 v40, off, s33          ; 4-byte Folded Reload
	s_mov_b32 exec_lo, s1
	s_add_i32 s32, s32, -16
	s_mov_b32 s33, s0
	s_waitcnt vmcnt(0)
	s_setpc_b64 s[30:31]
.Lfunc_end13:
	.size	_Z17bessel_j1_forwardIfET_S0_, .Lfunc_end13-_Z17bessel_j1_forwardIfET_S0_
                                        ; -- End function
	.section	.AMDGPU.csdata,"",@progbits
; Function info:
; codeLenInByte = 3172
; NumSgprs: 37
; NumVgprs: 41
; ScratchSize: 16
; MemoryBound: 0
	.text
	.p2align	2                               ; -- Begin function _ZN2at6native25elementwise_kernel_helperILb0EZZZNS0_12_GLOBAL__N_121bessel_y1_kernel_cudaERNS_18TensorIteratorBaseEENKUlvE_clEvENKUlvE0_clEvEUlfE_NS0_6memory8policies11unroll_baseILi256ESt5arrayIPcLm2EE23TrivialOffsetCalculatorILi1EjESF_NS8_15LoadWithoutCastENS8_16StoreWithoutCastELi4ELi1EEEEEvT0_T1_
	.type	_ZN2at6native25elementwise_kernel_helperILb0EZZZNS0_12_GLOBAL__N_121bessel_y1_kernel_cudaERNS_18TensorIteratorBaseEENKUlvE_clEvENKUlvE0_clEvEUlfE_NS0_6memory8policies11unroll_baseILi256ESt5arrayIPcLm2EE23TrivialOffsetCalculatorILi1EjESF_NS8_15LoadWithoutCastENS8_16StoreWithoutCastELi4ELi1EEEEEvT0_T1_,@function
_ZN2at6native25elementwise_kernel_helperILb0EZZZNS0_12_GLOBAL__N_121bessel_y1_kernel_cudaERNS_18TensorIteratorBaseEENKUlvE_clEvENKUlvE0_clEvEUlfE_NS0_6memory8policies11unroll_baseILi256ESt5arrayIPcLm2EE23TrivialOffsetCalculatorILi1EjESF_NS8_15LoadWithoutCastENS8_16StoreWithoutCastELi4ELi1EEEEEvT0_T1_: ; @_ZN2at6native25elementwise_kernel_helperILb0EZZZNS0_12_GLOBAL__N_121bessel_y1_kernel_cudaERNS_18TensorIteratorBaseEENKUlvE_clEvENKUlvE0_clEvEUlfE_NS0_6memory8policies11unroll_baseILi256ESt5arrayIPcLm2EE23TrivialOffsetCalculatorILi1EjESF_NS8_15LoadWithoutCastENS8_16StoreWithoutCastELi4ELi1EEEEEvT0_T1_
; %bb.0:
	s_waitcnt vmcnt(0) expcnt(0) lgkmcnt(0)
	s_mov_b32 s0, s33
	s_mov_b32 s33, s32
	s_or_saveexec_b32 s1, -1
	scratch_store_b32 off, v62, s33 offset:56 ; 4-byte Folded Spill
	s_mov_b32 exec_lo, s1
	v_writelane_b32 v62, s0, 9
	s_add_i32 s32, s32, 64
	s_clause 0xd
	scratch_store_b32 off, v40, s33 offset:52
	; meta instruction
	scratch_store_b32 off, v41, s33 offset:48
	; meta instruction
	;; [unrolled: 2-line block ×13, first 2 shown]
	scratch_store_b32 off, v61, s33
	v_writelane_b32 v62, s34, 0
	v_writelane_b32 v62, s35, 1
	;; [unrolled: 1-line block ×9, first 2 shown]
	v_dual_mov_b32 v44, 0 :: v_dual_and_b32 v47, 0x3ff, v31
	s_lshl_b32 s36, s12, 10
	s_delay_alu instid0(VALU_DEP_1) | instskip(SKIP_3) | instid1(VALU_DEP_3)
	v_dual_mov_b32 v43, 0 :: v_dual_add_nc_u32 v60, 0x100, v47
	v_cmp_lt_i32_e64 s35, v47, v4
	v_or_b32_e32 v45, s36, v47
	v_mov_b32_e32 v5, v47
	s_and_saveexec_b32 s0, s35
	s_cbranch_execz .LBB14_2
; %bb.1:
	v_mov_b32_e32 v46, 0
	s_delay_alu instid0(VALU_DEP_1) | instskip(NEXT) | instid1(VALU_DEP_1)
	v_lshlrev_b64 v[5:6], 2, v[45:46]
	v_add_co_u32 v5, vcc_lo, v2, v5
	s_delay_alu instid0(VALU_DEP_2)
	v_add_co_ci_u32_e32 v6, vcc_lo, v3, v6, vcc_lo
	flat_load_b32 v44, v[5:6]
	v_add_nc_u32_e32 v5, 0x100, v47
.LBB14_2:
	s_or_b32 exec_lo, exec_lo, s0
	s_delay_alu instid0(SALU_CYCLE_1) | instskip(NEXT) | instid1(VALU_DEP_1)
	s_mov_b32 s0, exec_lo
	v_cmpx_lt_i32_e64 v5, v4
	s_cbranch_execz .LBB14_4
; %bb.3:
	v_dual_mov_b32 v7, 0 :: v_dual_add_nc_u32 v6, s36, v5
	v_add_nc_u32_e32 v5, 0x100, v5
	s_delay_alu instid0(VALU_DEP_2) | instskip(NEXT) | instid1(VALU_DEP_1)
	v_lshlrev_b64 v[6:7], 2, v[6:7]
	v_add_co_u32 v6, vcc_lo, v2, v6
	s_delay_alu instid0(VALU_DEP_2)
	v_add_co_ci_u32_e32 v7, vcc_lo, v3, v7, vcc_lo
	flat_load_b32 v43, v[6:7]
.LBB14_4:
	s_or_b32 exec_lo, exec_lo, s0
	v_dual_mov_b32 v41, 0 :: v_dual_mov_b32 v42, 0
	s_mov_b32 s0, exec_lo
	v_cmpx_lt_i32_e64 v5, v4
	s_cbranch_execz .LBB14_16
; %bb.5:
	v_dual_mov_b32 v7, 0 :: v_dual_add_nc_u32 v6, s36, v5
	v_add_nc_u32_e32 v5, 0x100, v5
	s_delay_alu instid0(VALU_DEP_2) | instskip(NEXT) | instid1(VALU_DEP_1)
	v_lshlrev_b64 v[6:7], 2, v[6:7]
	v_add_co_u32 v6, vcc_lo, v2, v6
	s_delay_alu instid0(VALU_DEP_2) | instskip(SKIP_2) | instid1(SALU_CYCLE_1)
	v_add_co_ci_u32_e32 v7, vcc_lo, v3, v7, vcc_lo
	flat_load_b32 v42, v[6:7]
	s_or_b32 exec_lo, exec_lo, s0
	s_mov_b32 s0, exec_lo
	v_cmpx_lt_i32_e64 v5, v4
	s_cbranch_execnz .LBB14_17
.LBB14_6:
	s_or_b32 exec_lo, exec_lo, s0
                                        ; implicit-def: $vgpr56_vgpr57_vgpr58_vgpr59
	s_and_saveexec_b32 s37, s35
	s_cbranch_execz .LBB14_18
.LBB14_7:
                                        ; implicit-def: $vgpr56
	s_mov_b32 s0, exec_lo
	s_waitcnt vmcnt(0) lgkmcnt(0)
	v_cmpx_ge_f32_e32 0x40a00000, v44
	s_xor_b32 s38, exec_lo, s0
	s_cbranch_execz .LBB14_13
; %bb.8:
	v_mov_b32_e32 v56, 0xff800000
	s_mov_b32 s39, exec_lo
	v_cmpx_neq_f32_e32 0, v44
	s_cbranch_execz .LBB14_12
; %bb.9:
	v_mov_b32_e32 v56, 0x7fc00000
	s_mov_b32 s40, exec_lo
	v_cmpx_nge_f32_e32 0, v44
	s_cbranch_execz .LBB14_11
; %bb.10:
	v_mul_f32_e32 v2, v44, v44
	s_getpc_b64 s[0:1]
	s_add_u32 s0, s0, _Z17bessel_j1_forwardIfET_S0_@rel32@lo+4
	s_addc_u32 s1, s1, _Z17bessel_j1_forwardIfET_S0_@rel32@hi+12
	v_mov_b32_e32 v57, v4
	v_mov_b32_e32 v46, v0
	v_dual_mov_b32 v0, v44 :: v_dual_fmaak_f32 v3, 0, v2, 0x4414934d
	v_dual_fmaak_f32 v5, 0, v2, 0x4e9695f3 :: v_dual_mov_b32 v56, v1
	s_delay_alu instid0(VALU_DEP_2) | instskip(NEXT) | instid1(VALU_DEP_2)
	v_fmaak_f32 v3, v2, v3, 0x48660b06
	v_fmaak_f32 v5, v2, v5, 0xd316b96b
	s_delay_alu instid0(VALU_DEP_2) | instskip(NEXT) | instid1(VALU_DEP_2)
	v_fmaak_f32 v3, v2, v3, 0x4c8c277d
	v_fmaak_f32 v5, v2, v5, 0x56d04aa6
	;; [unrolled: 3-line block ×5, first 2 shown]
	s_delay_alu instid0(VALU_DEP_2) | instskip(NEXT) | instid1(VALU_DEP_1)
	v_fmaak_f32 v3, v2, v3, 0x5b741f1e
	v_fmaak_f32 v2, v2, v3, 0x5e5c878d
	s_delay_alu instid0(VALU_DEP_1) | instskip(SKIP_1) | instid1(VALU_DEP_2)
	v_div_scale_f32 v3, null, v2, v2, v5
	v_div_scale_f32 v8, vcc_lo, v5, v2, v5
	v_rcp_f32_e32 v6, v3
	s_waitcnt_depctr 0xfff
	v_fma_f32 v7, -v3, v6, 1.0
	s_delay_alu instid0(VALU_DEP_1) | instskip(NEXT) | instid1(VALU_DEP_1)
	v_fmac_f32_e32 v6, v7, v6
	v_mul_f32_e32 v7, v8, v6
	s_delay_alu instid0(VALU_DEP_1) | instskip(NEXT) | instid1(VALU_DEP_1)
	v_fma_f32 v9, -v3, v7, v8
	v_fmac_f32_e32 v7, v9, v6
	s_delay_alu instid0(VALU_DEP_1) | instskip(NEXT) | instid1(VALU_DEP_1)
	v_fma_f32 v3, -v3, v7, v8
	v_div_fmas_f32 v3, v3, v6, v7
	s_delay_alu instid0(VALU_DEP_1) | instskip(SKIP_4) | instid1(VALU_DEP_3)
	v_div_fixup_f32 v58, v3, v2, v5
	s_swappc_b64 s[30:31], s[0:1]
	v_div_scale_f32 v3, null, v44, v44, -1.0
	v_cmp_gt_f32_e32 vcc_lo, 0x800000, v44
	v_div_scale_f32 v8, s0, -1.0, v44, -1.0
	v_rcp_f32_e32 v6, v3
	v_dual_mov_b32 v4, v57 :: v_dual_mov_b32 v1, v56
	v_cndmask_b32_e64 v5, 1.0, 0x4f800000, vcc_lo
	s_waitcnt_depctr 0xfff
	v_fma_f32 v7, -v3, v6, 1.0
	s_delay_alu instid0(VALU_DEP_1) | instskip(NEXT) | instid1(VALU_DEP_1)
	v_dual_mul_f32 v5, v44, v5 :: v_dual_fmac_f32 v6, v7, v6
	v_log_f32_e32 v5, v5
	v_mov_b32_e32 v2, v0
	s_delay_alu instid0(VALU_DEP_2) | instskip(NEXT) | instid1(VALU_DEP_1)
	v_dual_mov_b32 v0, v46 :: v_dual_mul_f32 v9, v8, v6
	v_fma_f32 v11, -v3, v9, v8
	s_waitcnt_depctr 0xfff
	v_mul_f32_e32 v7, 0x3f317217, v5
	v_cmp_gt_f32_e64 s1, 0x7f800000, |v5|
	v_fmac_f32_e32 v9, v11, v6
	s_delay_alu instid0(VALU_DEP_3) | instskip(NEXT) | instid1(VALU_DEP_2)
	v_fma_f32 v10, 0x3f317217, v5, -v7
	v_fma_f32 v3, -v3, v9, v8
	s_delay_alu instid0(VALU_DEP_2) | instskip(NEXT) | instid1(VALU_DEP_1)
	v_fmamk_f32 v10, v5, 0x3377d1cf, v10
	v_add_f32_e32 v7, v7, v10
	s_delay_alu instid0(VALU_DEP_1) | instskip(SKIP_3) | instid1(VALU_DEP_2)
	v_cndmask_b32_e64 v5, v5, v7, s1
	v_cndmask_b32_e64 v7, 0, 0x41b17218, vcc_lo
	s_mov_b32 vcc_lo, s0
	v_div_fmas_f32 v3, v3, v6, v9
	v_sub_f32_e32 v5, v5, v7
	s_delay_alu instid0(VALU_DEP_2) | instskip(NEXT) | instid1(VALU_DEP_1)
	v_div_fixup_f32 v3, v3, v44, -1.0
	v_fmac_f32_e32 v3, v5, v2
	s_delay_alu instid0(VALU_DEP_1) | instskip(NEXT) | instid1(VALU_DEP_1)
	v_mul_f32_e32 v56, 0x3f22f983, v3
	v_fmac_f32_e32 v56, v44, v58
.LBB14_11:
	s_or_b32 exec_lo, exec_lo, s40
.LBB14_12:
	s_delay_alu instid0(SALU_CYCLE_1)
	s_or_b32 exec_lo, exec_lo, s39
                                        ; implicit-def: $vgpr44
.LBB14_13:
	s_and_not1_saveexec_b32 s3, s38
	s_cbranch_execz .LBB14_26
; %bb.14:
	v_add_f32_e32 v2, 0xc016cbe4, v44
                                        ; implicit-def: $vgpr6
                                        ; implicit-def: $vgpr5
	s_delay_alu instid0(VALU_DEP_1) | instskip(SKIP_1) | instid1(VALU_DEP_2)
	v_and_b32_e32 v3, 0x7fffffff, v2
	v_cmp_ngt_f32_e64 s4, 0x48000000, |v2|
	v_lshrrev_b32_e32 v8, 23, v3
	s_delay_alu instid0(VALU_DEP_2) | instskip(NEXT) | instid1(SALU_CYCLE_1)
	s_and_saveexec_b32 s0, s4
	s_xor_b32 s5, exec_lo, s0
	s_cbranch_execz .LBB14_19
; %bb.15:
	s_mov_b32 s0, 0x7fffff
	v_mov_b32_e32 v7, 0
	v_and_or_b32 v16, v3, s0, 0x800000
	v_add_nc_u32_e32 v14, 0xffffff88, v8
	s_delay_alu instid0(VALU_DEP_2) | instskip(NEXT) | instid1(VALU_DEP_2)
	v_mad_u64_u32 v[5:6], null, 0xfe5163ab, v16, 0
	v_cmp_lt_u32_e32 vcc_lo, 63, v14
	v_cndmask_b32_e64 v15, 0, 0xffffffc0, vcc_lo
	s_delay_alu instid0(VALU_DEP_3) | instskip(NEXT) | instid1(VALU_DEP_1)
	v_mad_u64_u32 v[9:10], null, 0x3c439041, v16, v[6:7]
	v_dual_mov_b32 v6, v10 :: v_dual_add_nc_u32 v15, v15, v14
	s_delay_alu instid0(VALU_DEP_1) | instskip(NEXT) | instid1(VALU_DEP_2)
	v_cmp_lt_u32_e64 s0, 31, v15
	v_mad_u64_u32 v[10:11], null, 0xdb629599, v16, v[6:7]
	s_delay_alu instid0(VALU_DEP_2) | instskip(NEXT) | instid1(VALU_DEP_1)
	v_cndmask_b32_e64 v17, 0, 0xffffffe0, s0
	v_dual_mov_b32 v6, v11 :: v_dual_add_nc_u32 v17, v17, v15
	s_delay_alu instid0(VALU_DEP_3) | instskip(NEXT) | instid1(VALU_DEP_2)
	v_cndmask_b32_e32 v5, v10, v5, vcc_lo
	v_cmp_lt_u32_e64 s1, 31, v17
	s_delay_alu instid0(VALU_DEP_3) | instskip(NEXT) | instid1(VALU_DEP_1)
	v_mad_u64_u32 v[11:12], null, 0xf534ddc0, v16, v[6:7]
	v_dual_mov_b32 v6, v12 :: v_dual_cndmask_b32 v9, v11, v9
	s_delay_alu instid0(VALU_DEP_1) | instskip(NEXT) | instid1(VALU_DEP_2)
	v_mad_u64_u32 v[12:13], null, 0xfc2757d1, v16, v[6:7]
	v_cndmask_b32_e64 v5, v9, v5, s0
	s_delay_alu instid0(VALU_DEP_2) | instskip(NEXT) | instid1(VALU_DEP_1)
	v_mov_b32_e32 v6, v13
	v_mad_u64_u32 v[13:14], null, 0x4e441529, v16, v[6:7]
	s_delay_alu instid0(VALU_DEP_1) | instskip(NEXT) | instid1(VALU_DEP_1)
	v_mov_b32_e32 v6, v14
	v_mad_u64_u32 v[14:15], null, 0xa2f9836e, v16, v[6:7]
	v_cndmask_b32_e64 v6, 0, 0xffffffe0, s1
	s_delay_alu instid0(VALU_DEP_1) | instskip(NEXT) | instid1(VALU_DEP_3)
	v_dual_cndmask_b32 v7, v13, v11 :: v_dual_add_nc_u32 v6, v6, v17
	v_dual_cndmask_b32 v14, v14, v12 :: v_dual_cndmask_b32 v13, v15, v13
	v_cndmask_b32_e32 v12, v12, v10, vcc_lo
	s_delay_alu instid0(VALU_DEP_3) | instskip(NEXT) | instid1(VALU_DEP_3)
	v_cmp_eq_u32_e64 s2, 0, v6
	v_cndmask_b32_e64 v11, v14, v7, s0
	s_delay_alu instid0(VALU_DEP_4) | instskip(NEXT) | instid1(VALU_DEP_4)
	v_cndmask_b32_e64 v13, v13, v14, s0
	v_cndmask_b32_e64 v7, v7, v12, s0
	v_sub_nc_u32_e32 v14, 32, v6
	v_cndmask_b32_e64 v12, v12, v9, s0
	s_delay_alu instid0(VALU_DEP_4) | instskip(NEXT) | instid1(VALU_DEP_4)
	v_cndmask_b32_e64 v13, v13, v11, s1
	v_cndmask_b32_e64 v11, v11, v7, s1
	s_delay_alu instid0(VALU_DEP_3) | instskip(SKIP_1) | instid1(VALU_DEP_3)
	v_cndmask_b32_e64 v7, v7, v12, s1
	v_cndmask_b32_e64 v5, v12, v5, s1
	v_alignbit_b32 v15, v13, v11, v14
	s_delay_alu instid0(VALU_DEP_3) | instskip(NEXT) | instid1(VALU_DEP_3)
	v_alignbit_b32 v16, v11, v7, v14
	v_alignbit_b32 v14, v7, v5, v14
	s_delay_alu instid0(VALU_DEP_3) | instskip(NEXT) | instid1(VALU_DEP_3)
	v_cndmask_b32_e64 v6, v15, v13, s2
	v_cndmask_b32_e64 v10, v16, v11, s2
	s_delay_alu instid0(VALU_DEP_3) | instskip(NEXT) | instid1(VALU_DEP_3)
	v_cndmask_b32_e64 v7, v14, v7, s2
	v_bfe_u32 v11, v6, 29, 1
	s_delay_alu instid0(VALU_DEP_3) | instskip(NEXT) | instid1(VALU_DEP_3)
	v_alignbit_b32 v9, v6, v10, 30
	v_alignbit_b32 v10, v10, v7, 30
	;; [unrolled: 1-line block ×3, first 2 shown]
	s_delay_alu instid0(VALU_DEP_4) | instskip(NEXT) | instid1(VALU_DEP_1)
	v_sub_nc_u32_e32 v13, 0, v11
	v_xor_b32_e32 v12, v9, v13
	v_cmp_ne_u32_e32 vcc_lo, v9, v13
	v_xor_b32_e32 v7, v10, v13
	v_xor_b32_e32 v5, v5, v13
	s_delay_alu instid0(VALU_DEP_4) | instskip(NEXT) | instid1(VALU_DEP_1)
	v_clz_i32_u32_e32 v15, v12
	v_add_nc_u32_e32 v14, 1, v15
	s_delay_alu instid0(VALU_DEP_1) | instskip(NEXT) | instid1(VALU_DEP_1)
	v_cndmask_b32_e32 v9, 33, v14, vcc_lo
	v_sub_nc_u32_e32 v10, 32, v9
	s_delay_alu instid0(VALU_DEP_1) | instskip(SKIP_3) | instid1(VALU_DEP_3)
	v_alignbit_b32 v12, v12, v7, v10
	v_alignbit_b32 v5, v7, v5, v10
	v_lshrrev_b32_e32 v7, 29, v6
	v_lshrrev_b32_e32 v6, 30, v6
	v_alignbit_b32 v10, v12, v5, 9
	s_delay_alu instid0(VALU_DEP_3) | instskip(SKIP_1) | instid1(VALU_DEP_4)
	v_lshlrev_b32_e32 v7, 31, v7
	v_alignbit_b32 v12, v9, v12, 9
	v_add_nc_u32_e32 v6, v11, v6
	s_delay_alu instid0(VALU_DEP_4) | instskip(NEXT) | instid1(VALU_DEP_3)
	v_clz_i32_u32_e32 v13, v10
	v_or_b32_e32 v12, v12, v7
	v_or_b32_e32 v7, 0x33800000, v7
	s_delay_alu instid0(VALU_DEP_3) | instskip(NEXT) | instid1(VALU_DEP_3)
	v_min_u32_e32 v13, 32, v13
	v_xor_b32_e32 v12, 1.0, v12
	s_delay_alu instid0(VALU_DEP_2) | instskip(SKIP_1) | instid1(VALU_DEP_3)
	v_sub_nc_u32_e32 v14, 31, v13
	v_add_lshl_u32 v9, v13, v9, 23
	v_mul_f32_e32 v13, 0x3fc90fda, v12
	s_delay_alu instid0(VALU_DEP_3) | instskip(NEXT) | instid1(VALU_DEP_3)
	v_alignbit_b32 v5, v10, v5, v14
	v_sub_nc_u32_e32 v7, v7, v9
	s_delay_alu instid0(VALU_DEP_3) | instskip(NEXT) | instid1(VALU_DEP_3)
	v_fma_f32 v9, 0x3fc90fda, v12, -v13
	v_lshrrev_b32_e32 v5, 9, v5
	s_delay_alu instid0(VALU_DEP_2) | instskip(NEXT) | instid1(VALU_DEP_2)
	v_fmamk_f32 v9, v12, 0x33a22168, v9
	v_or_b32_e32 v5, v7, v5
	s_delay_alu instid0(VALU_DEP_1) | instskip(NEXT) | instid1(VALU_DEP_1)
	v_fmac_f32_e32 v9, 0x3fc90fda, v5
	v_add_f32_e32 v5, v13, v9
	s_or_saveexec_b32 s0, s5
	v_mul_f32_e64 v10, 0x3f22f983, |v2|
	s_xor_b32 exec_lo, exec_lo, s0
	s_branch .LBB14_20
.LBB14_16:
	s_or_b32 exec_lo, exec_lo, s0
	s_delay_alu instid0(SALU_CYCLE_1)
	s_mov_b32 s0, exec_lo
	v_cmpx_lt_i32_e64 v5, v4
	s_cbranch_execz .LBB14_6
.LBB14_17:
	v_dual_mov_b32 v6, 0 :: v_dual_add_nc_u32 v5, s36, v5
	s_delay_alu instid0(VALU_DEP_1) | instskip(NEXT) | instid1(VALU_DEP_1)
	v_lshlrev_b64 v[5:6], 2, v[5:6]
	v_add_co_u32 v2, vcc_lo, v2, v5
	s_delay_alu instid0(VALU_DEP_2)
	v_add_co_ci_u32_e32 v3, vcc_lo, v3, v6, vcc_lo
	flat_load_b32 v41, v[2:3]
	s_or_b32 exec_lo, exec_lo, s0
                                        ; implicit-def: $vgpr56_vgpr57_vgpr58_vgpr59
	s_and_saveexec_b32 s37, s35
	s_cbranch_execnz .LBB14_7
.LBB14_18:
	s_or_b32 exec_lo, exec_lo, s37
	s_delay_alu instid0(SALU_CYCLE_1)
	s_mov_b32 s37, exec_lo
	v_cmpx_lt_i32_e64 v60, v4
	s_cbranch_execnz .LBB14_27
	s_branch .LBB14_44
.LBB14_19:
	s_or_saveexec_b32 s0, s5
	v_mul_f32_e64 v10, 0x3f22f983, |v2|
	s_xor_b32 exec_lo, exec_lo, s0
.LBB14_20:
	s_delay_alu instid0(VALU_DEP_1) | instskip(NEXT) | instid1(VALU_DEP_1)
	v_rndne_f32_e32 v6, v10
	v_fma_f32 v5, 0xbfc90fda, v6, |v2|
	s_delay_alu instid0(VALU_DEP_1) | instskip(NEXT) | instid1(VALU_DEP_1)
	v_fmamk_f32 v5, v6, 0xb3a22168, v5
	v_fmamk_f32 v5, v6, 0xa7c234c4, v5
	v_cvt_i32_f32_e32 v6, v6
; %bb.21:
	s_or_b32 exec_lo, exec_lo, s0
                                        ; implicit-def: $vgpr9
                                        ; implicit-def: $vgpr7
	s_and_saveexec_b32 s0, s4
	s_delay_alu instid0(SALU_CYCLE_1)
	s_xor_b32 s4, exec_lo, s0
	s_cbranch_execz .LBB14_23
; %bb.22:
	s_mov_b32 s0, 0x7fffff
	v_mov_b32_e32 v11, 0
	v_and_or_b32 v18, v3, s0, 0x800000
	s_delay_alu instid0(VALU_DEP_1) | instskip(NEXT) | instid1(VALU_DEP_1)
	v_mad_u64_u32 v[9:10], null, 0xfe5163ab, v18, 0
	v_mad_u64_u32 v[12:13], null, 0x3c439041, v18, v[10:11]
	s_delay_alu instid0(VALU_DEP_1) | instskip(NEXT) | instid1(VALU_DEP_1)
	v_mov_b32_e32 v10, v13
	v_mad_u64_u32 v[13:14], null, 0xdb629599, v18, v[10:11]
	s_delay_alu instid0(VALU_DEP_1) | instskip(NEXT) | instid1(VALU_DEP_1)
	v_mov_b32_e32 v10, v14
	v_mad_u64_u32 v[14:15], null, 0xf534ddc0, v18, v[10:11]
	s_delay_alu instid0(VALU_DEP_1) | instskip(NEXT) | instid1(VALU_DEP_1)
	v_dual_mov_b32 v10, v15 :: v_dual_add_nc_u32 v15, 0xffffff88, v8
	v_mad_u64_u32 v[7:8], null, 0xfc2757d1, v18, v[10:11]
	s_delay_alu instid0(VALU_DEP_2) | instskip(SKIP_1) | instid1(VALU_DEP_3)
	v_cmp_lt_u32_e32 vcc_lo, 63, v15
	v_cndmask_b32_e64 v16, 0, 0xffffffc0, vcc_lo
	v_dual_mov_b32 v10, v8 :: v_dual_cndmask_b32 v9, v13, v9
	s_delay_alu instid0(VALU_DEP_2) | instskip(NEXT) | instid1(VALU_DEP_2)
	v_add_nc_u32_e32 v8, v16, v15
	v_mad_u64_u32 v[15:16], null, 0x4e441529, v18, v[10:11]
	s_delay_alu instid0(VALU_DEP_2) | instskip(NEXT) | instid1(VALU_DEP_2)
	v_cmp_lt_u32_e64 s0, 31, v8
	v_mov_b32_e32 v10, v16
	s_delay_alu instid0(VALU_DEP_2) | instskip(NEXT) | instid1(VALU_DEP_1)
	v_cndmask_b32_e64 v17, 0, 0xffffffe0, s0
	v_add_nc_u32_e32 v8, v17, v8
	s_delay_alu instid0(VALU_DEP_3) | instskip(SKIP_1) | instid1(VALU_DEP_3)
	v_mad_u64_u32 v[16:17], null, 0xa2f9836e, v18, v[10:11]
	v_cndmask_b32_e32 v11, v15, v14, vcc_lo
	v_cmp_lt_u32_e64 s1, 31, v8
	s_delay_alu instid0(VALU_DEP_3) | instskip(NEXT) | instid1(VALU_DEP_2)
	v_cndmask_b32_e32 v16, v16, v7, vcc_lo
	v_cndmask_b32_e64 v10, 0, 0xffffffe0, s1
	v_cndmask_b32_e32 v15, v17, v15, vcc_lo
	s_delay_alu instid0(VALU_DEP_2) | instskip(SKIP_2) | instid1(VALU_DEP_4)
	v_dual_cndmask_b32 v7, v7, v13 :: v_dual_add_nc_u32 v8, v10, v8
	v_cndmask_b32_e32 v10, v14, v12, vcc_lo
	v_cndmask_b32_e64 v12, v16, v11, s0
	v_cndmask_b32_e64 v14, v15, v16, s0
	s_delay_alu instid0(VALU_DEP_4)
	v_cndmask_b32_e64 v11, v11, v7, s0
	v_sub_nc_u32_e32 v15, 32, v8
	v_cndmask_b32_e64 v7, v7, v10, s0
	v_cmp_eq_u32_e64 s2, 0, v8
	v_cndmask_b32_e64 v14, v14, v12, s1
	v_cndmask_b32_e64 v12, v12, v11, s1
	;; [unrolled: 1-line block ×4, first 2 shown]
	s_delay_alu instid0(VALU_DEP_3) | instskip(NEXT) | instid1(VALU_DEP_3)
	v_alignbit_b32 v16, v14, v12, v15
	v_cndmask_b32_e64 v7, v7, v9, s1
	s_delay_alu instid0(VALU_DEP_3) | instskip(NEXT) | instid1(VALU_DEP_3)
	v_alignbit_b32 v17, v12, v11, v15
	v_cndmask_b32_e64 v8, v16, v14, s2
	;; [unrolled: 3-line block ×3, first 2 shown]
	s_delay_alu instid0(VALU_DEP_3) | instskip(NEXT) | instid1(VALU_DEP_3)
	v_bfe_u32 v13, v8, 29, 1
	v_cndmask_b32_e64 v11, v15, v11, s2
	s_delay_alu instid0(VALU_DEP_3) | instskip(NEXT) | instid1(VALU_DEP_3)
	v_alignbit_b32 v10, v8, v12, 30
	v_sub_nc_u32_e32 v14, 0, v13
	s_delay_alu instid0(VALU_DEP_3) | instskip(SKIP_1) | instid1(VALU_DEP_3)
	v_alignbit_b32 v12, v12, v11, 30
	v_alignbit_b32 v7, v11, v7, 30
	v_xor_b32_e32 v9, v10, v14
	v_cmp_ne_u32_e32 vcc_lo, v10, v14
	s_delay_alu instid0(VALU_DEP_4) | instskip(NEXT) | instid1(VALU_DEP_4)
	v_xor_b32_e32 v11, v12, v14
	v_xor_b32_e32 v7, v7, v14
	s_delay_alu instid0(VALU_DEP_4) | instskip(NEXT) | instid1(VALU_DEP_1)
	v_clz_i32_u32_e32 v16, v9
	v_add_nc_u32_e32 v15, 1, v16
	s_delay_alu instid0(VALU_DEP_1) | instskip(NEXT) | instid1(VALU_DEP_1)
	v_cndmask_b32_e32 v10, 33, v15, vcc_lo
	v_sub_nc_u32_e32 v12, 32, v10
	s_delay_alu instid0(VALU_DEP_1) | instskip(SKIP_3) | instid1(VALU_DEP_3)
	v_alignbit_b32 v9, v9, v11, v12
	v_alignbit_b32 v7, v11, v7, v12
	v_lshrrev_b32_e32 v11, 29, v8
	v_lshrrev_b32_e32 v8, 30, v8
	v_alignbit_b32 v12, v9, v7, 9
	s_delay_alu instid0(VALU_DEP_3) | instskip(SKIP_1) | instid1(VALU_DEP_3)
	v_lshlrev_b32_e32 v11, 31, v11
	v_alignbit_b32 v9, v10, v9, 9
	v_clz_i32_u32_e32 v14, v12
	s_delay_alu instid0(VALU_DEP_2) | instskip(SKIP_1) | instid1(VALU_DEP_3)
	v_or_b32_e32 v9, v9, v11
	v_or_b32_e32 v11, 0x33800000, v11
	v_min_u32_e32 v14, 32, v14
	s_delay_alu instid0(VALU_DEP_3) | instskip(NEXT) | instid1(VALU_DEP_2)
	v_xor_b32_e32 v9, 1.0, v9
	v_sub_nc_u32_e32 v15, 31, v14
	v_add_lshl_u32 v10, v14, v10, 23
	s_delay_alu instid0(VALU_DEP_3) | instskip(NEXT) | instid1(VALU_DEP_3)
	v_mul_f32_e32 v14, 0x3fc90fda, v9
	v_alignbit_b32 v7, v12, v7, v15
	s_delay_alu instid0(VALU_DEP_3) | instskip(NEXT) | instid1(VALU_DEP_3)
	v_sub_nc_u32_e32 v10, v11, v10
	v_fma_f32 v11, 0x3fc90fda, v9, -v14
	s_delay_alu instid0(VALU_DEP_3) | instskip(NEXT) | instid1(VALU_DEP_2)
	v_lshrrev_b32_e32 v7, 9, v7
	v_fmamk_f32 v9, v9, 0x33a22168, v11
	s_delay_alu instid0(VALU_DEP_2) | instskip(NEXT) | instid1(VALU_DEP_1)
	v_or_b32_e32 v7, v10, v7
                                        ; implicit-def: $vgpr10
	v_fmac_f32_e32 v9, 0x3fc90fda, v7
	s_delay_alu instid0(VALU_DEP_1)
	v_add_f32_e32 v7, v14, v9
	v_add_nc_u32_e32 v9, v13, v8
	s_and_not1_saveexec_b32 s0, s4
	s_cbranch_execnz .LBB14_24
	s_branch .LBB14_25
.LBB14_23:
	s_and_not1_saveexec_b32 s0, s4
.LBB14_24:
	v_rndne_f32_e32 v8, v10
	s_delay_alu instid0(VALU_DEP_1) | instskip(SKIP_1) | instid1(VALU_DEP_2)
	v_fma_f32 v7, 0xbfc90fda, v8, |v2|
	v_cvt_i32_f32_e32 v9, v8
	v_fmamk_f32 v7, v8, 0xb3a22168, v7
	s_delay_alu instid0(VALU_DEP_1)
	v_fmamk_f32 v7, v8, 0xa7c234c4, v7
.LBB14_25:
	s_or_b32 exec_lo, exec_lo, s0
	v_div_scale_f32 v8, null, v44, v44, 0x40a00000
	v_div_scale_f32 v12, vcc_lo, 0x40a00000, v44, 0x40a00000
	s_mov_b32 s0, 0xb94c1982
	s_delay_alu instid0(VALU_DEP_2) | instskip(SKIP_4) | instid1(VALU_DEP_1)
	v_rcp_f32_e32 v10, v8
	s_mov_b32 s1, 0x37d75334
	v_xor_b32_e32 v3, v3, v2
	s_waitcnt_depctr 0xfff
	v_fma_f32 v11, -v8, v10, 1.0
	v_fmac_f32_e32 v10, v11, v10
	s_delay_alu instid0(VALU_DEP_1) | instskip(NEXT) | instid1(VALU_DEP_1)
	v_mul_f32_e32 v11, v12, v10
	v_fma_f32 v13, -v8, v11, v12
	s_delay_alu instid0(VALU_DEP_1) | instskip(SKIP_1) | instid1(VALU_DEP_2)
	v_fmac_f32_e32 v11, v13, v10
	v_mul_f32_e32 v13, v7, v7
	v_fma_f32 v8, -v8, v11, v12
	s_delay_alu instid0(VALU_DEP_2) | instskip(NEXT) | instid1(VALU_DEP_2)
	v_fmaak_f32 v22, s0, v13, 0x3c0881c4
	v_div_fmas_f32 v8, v8, v10, v11
	v_mul_f32_e32 v10, v5, v5
	s_delay_alu instid0(VALU_DEP_3) | instskip(SKIP_1) | instid1(VALU_DEP_4)
	v_fmaak_f32 v22, v13, v22, 0xbe2aaa9d
	v_mul_f32_e32 v19, 0x4f800000, v44
	v_div_fixup_f32 v8, v8, v44, 0x40a00000
	s_delay_alu instid0(VALU_DEP_4) | instskip(SKIP_2) | instid1(VALU_DEP_4)
	v_fmaak_f32 v20, s0, v10, 0x3c0881c4
	v_cmp_gt_f32_e64 s0, 0xf800000, v44
	v_fmaak_f32 v21, s1, v10, 0xbab64f3b
	v_dual_fmaak_f32 v23, s1, v13, 0xbab64f3b :: v_dual_mul_f32 v12, v8, v8
	v_and_b32_e32 v11, 1, v6
	v_lshlrev_b32_e32 v6, 30, v6
	v_and_b32_e32 v14, 1, v9
	s_delay_alu instid0(VALU_DEP_4)
	v_dual_fmaak_f32 v18, 0, v12, 0x42947983 :: v_dual_lshlrev_b32 v9, 30, v9
	v_fmaak_f32 v16, 0, v12, 0x3a15c4d9
	v_fmaak_f32 v17, 0, v12, 0x3a47c962
	;; [unrolled: 1-line block ×7, first 2 shown]
	s_delay_alu instid0(VALU_DEP_4) | instskip(SKIP_3) | instid1(VALU_DEP_4)
	v_dual_fmaak_f32 v15, v12, v15, 0x409f6dae :: v_dual_mul_f32 v20, v10, v20
	v_mul_f32_e32 v22, v13, v22
	v_cndmask_b32_e64 v19, v44, v19, s0
	v_fmaak_f32 v16, v12, v16, 0x3d8cfeeb
	v_dual_fmaak_f32 v18, v12, v18, 0x44840e5d :: v_dual_fmac_f32 v5, v5, v20
	s_delay_alu instid0(VALU_DEP_4) | instskip(NEXT) | instid1(VALU_DEP_4)
	v_fmac_f32_e32 v7, v7, v22
	v_sqrt_f32_e32 v27, v19
	s_delay_alu instid0(VALU_DEP_3)
	v_fmaak_f32 v16, v12, v16, 0x3f8d754e
	v_fmaak_f32 v17, v12, v17, 0x3f9047f6
	;; [unrolled: 1-line block ×6, first 2 shown]
	v_cmp_eq_u32_e64 s2, 0, v11
	v_fmaak_f32 v18, v12, v18, 0x46156947
	v_fma_f32 v10, v10, v21, 1.0
	v_dual_fmaak_f32 v17, v12, v17, 0x40a39628 :: v_dual_add_nc_u32 v22, -1, v27
	v_fmaak_f32 v16, v12, v16, 0x410665cf
	s_delay_alu instid0(VALU_DEP_4)
	v_fmaak_f32 v18, v12, v18, 0x45f9e855
	v_fma_f32 v13, v13, v23, 1.0
	v_cndmask_b32_e64 v5, v10, v5, s2
	v_fmaak_f32 v17, v12, v17, 0x4106c8e4
	v_fmaak_f32 v16, v12, v16, 0x40a6b6ea
	;; [unrolled: 1-line block ×3, first 2 shown]
	v_cmp_eq_u32_e64 s2, 0, v14
	v_and_b32_e32 v6, 0x80000000, v6
	v_fmaak_f32 v17, v12, v17, 0x40a6dd51
	v_fma_f32 v16, v12, v16, 1.0
	v_fmaak_f32 v18, v12, v18, 0x43a80bfb
	v_cndmask_b32_e64 v7, -v7, v13, s2
	v_fma_f32 v10, -v22, v27, v19
	v_fma_f32 v17, v12, v17, 1.0
	v_xor3_b32 v3, v3, v6, v5
	v_and_b32_e32 v9, 0x80000000, v9
	s_delay_alu instid0(VALU_DEP_3) | instskip(SKIP_1) | instid1(VALU_DEP_3)
	v_div_scale_f32 v30, vcc_lo, v17, v16, v17
	v_fmaak_f32 v15, v12, v15, 0x4297a5cd
	v_xor_b32_e32 v7, v9, v7
	s_delay_alu instid0(VALU_DEP_2) | instskip(NEXT) | instid1(VALU_DEP_1)
	v_fmaak_f32 v15, v12, v15, 0x43b763ca
	v_fmaak_f32 v15, v12, v15, 0x4431b6ce
	s_delay_alu instid0(VALU_DEP_1) | instskip(NEXT) | instid1(VALU_DEP_1)
	v_fmaak_f32 v15, v12, v15, 0x44155f56
	v_fmaak_f32 v15, v12, v15, 0x4353b052
	s_delay_alu instid0(VALU_DEP_1) | instskip(SKIP_1) | instid1(VALU_DEP_2)
	v_fmaak_f32 v12, v12, v15, 0x41c9a7fa
	v_div_scale_f32 v15, null, v16, v16, v17
	v_div_scale_f32 v24, null, v18, v18, v12
	s_delay_alu instid0(VALU_DEP_2) | instskip(NEXT) | instid1(VALU_DEP_1)
	v_rcp_f32_e32 v25, v15
	v_rcp_f32_e32 v26, v24
	s_waitcnt_depctr 0xfff
	v_fma_f32 v28, -v15, v25, 1.0
	v_fma_f32 v29, -v24, v26, 1.0
	s_delay_alu instid0(VALU_DEP_2) | instskip(SKIP_1) | instid1(VALU_DEP_3)
	v_fmac_f32_e32 v25, v28, v25
	v_div_scale_f32 v28, s1, v12, v18, v12
	v_dual_fmac_f32 v26, v29, v26 :: v_dual_add_nc_u32 v29, 1, v27
	s_delay_alu instid0(VALU_DEP_1) | instskip(NEXT) | instid1(VALU_DEP_2)
	v_dual_mul_f32 v20, v30, v25 :: v_dual_mul_f32 v21, v28, v26
	v_fma_f32 v11, -v29, v27, v19
	s_delay_alu instid0(VALU_DEP_2) | instskip(NEXT) | instid1(VALU_DEP_3)
	v_fma_f32 v23, -v15, v20, v30
	v_fma_f32 v31, -v24, v21, v28
	s_delay_alu instid0(VALU_DEP_2) | instskip(NEXT) | instid1(VALU_DEP_2)
	v_fmac_f32_e32 v20, v23, v25
	v_fmac_f32_e32 v21, v31, v26
	s_delay_alu instid0(VALU_DEP_2) | instskip(NEXT) | instid1(VALU_DEP_2)
	v_fma_f32 v13, -v15, v20, v30
	v_fma_f32 v5, -v24, v21, v28
	s_delay_alu instid0(VALU_DEP_2) | instskip(SKIP_2) | instid1(VALU_DEP_3)
	v_div_fmas_f32 v6, v13, v25, v20
	s_mov_b32 vcc_lo, s1
	v_cmp_lt_f32_e64 s1, 0, v11
	v_div_fmas_f32 v5, v5, v26, v21
	v_cmp_ge_f32_e32 vcc_lo, 0, v10
	v_div_fixup_f32 v6, v6, v16, v17
	v_cndmask_b32_e32 v9, v27, v22, vcc_lo
	v_cmp_class_f32_e64 vcc_lo, v2, 0x1f8
	v_div_fixup_f32 v2, v5, v18, v12
	s_delay_alu instid0(VALU_DEP_3) | instskip(NEXT) | instid1(VALU_DEP_2)
	v_cndmask_b32_e64 v5, v9, v29, s1
	v_dual_cndmask_b32 v7, 0x7fc00000, v7 :: v_dual_mul_f32 v2, v8, v2
	v_cndmask_b32_e32 v3, 0x7fc00000, v3, vcc_lo
	v_cmp_class_f32_e64 vcc_lo, v19, 0x260
	s_delay_alu instid0(VALU_DEP_4) | instskip(NEXT) | instid1(VALU_DEP_4)
	v_mul_f32_e32 v8, 0x37800000, v5
	v_mul_f32_e32 v2, v2, v7
	s_delay_alu instid0(VALU_DEP_2) | instskip(NEXT) | instid1(VALU_DEP_2)
	v_cndmask_b32_e64 v5, v5, v8, s0
	v_fmac_f32_e32 v2, v6, v3
	s_delay_alu instid0(VALU_DEP_1) | instskip(NEXT) | instid1(VALU_DEP_1)
	v_dual_cndmask_b32 v3, v5, v19 :: v_dual_mul_f32 v2, 0x3f4c422a, v2
	v_div_scale_f32 v5, null, v3, v3, v2
	s_delay_alu instid0(VALU_DEP_1) | instskip(SKIP_2) | instid1(VALU_DEP_1)
	v_rcp_f32_e32 v6, v5
	s_waitcnt_depctr 0xfff
	v_fma_f32 v7, -v5, v6, 1.0
	v_fmac_f32_e32 v6, v7, v6
	v_div_scale_f32 v7, vcc_lo, v2, v3, v2
	s_delay_alu instid0(VALU_DEP_1) | instskip(NEXT) | instid1(VALU_DEP_1)
	v_mul_f32_e32 v8, v7, v6
	v_fma_f32 v9, -v5, v8, v7
	s_delay_alu instid0(VALU_DEP_1) | instskip(NEXT) | instid1(VALU_DEP_1)
	v_fmac_f32_e32 v8, v9, v6
	v_fma_f32 v5, -v5, v8, v7
	s_delay_alu instid0(VALU_DEP_1) | instskip(NEXT) | instid1(VALU_DEP_1)
	v_div_fmas_f32 v5, v5, v6, v8
	v_div_fixup_f32 v56, v5, v3, v2
.LBB14_26:
	s_or_b32 exec_lo, exec_lo, s3
	s_delay_alu instid0(SALU_CYCLE_1) | instskip(NEXT) | instid1(SALU_CYCLE_1)
	s_or_b32 exec_lo, exec_lo, s37
	s_mov_b32 s37, exec_lo
	v_cmpx_lt_i32_e64 v60, v4
	s_cbranch_execz .LBB14_44
.LBB14_27:
	s_mov_b32 s0, exec_lo
	s_waitcnt vmcnt(0) lgkmcnt(0)
	v_cmpx_ge_f32_e32 0x40a00000, v43
	s_xor_b32 s38, exec_lo, s0
	s_cbranch_execz .LBB14_33
; %bb.28:
	v_mov_b32_e32 v57, 0xff800000
	s_mov_b32 s39, exec_lo
	v_cmpx_neq_f32_e32 0, v43
	s_cbranch_execz .LBB14_32
; %bb.29:
	v_mov_b32_e32 v57, 0x7fc00000
	s_mov_b32 s40, exec_lo
	v_cmpx_nge_f32_e32 0, v43
	s_cbranch_execz .LBB14_31
; %bb.30:
	v_mul_f32_e32 v2, v43, v43
	s_getpc_b64 s[0:1]
	s_add_u32 s0, s0, _Z17bessel_j1_forwardIfET_S0_@rel32@lo+4
	s_addc_u32 s1, s1, _Z17bessel_j1_forwardIfET_S0_@rel32@hi+12
	v_mov_b32_e32 v57, v4
	v_mov_b32_e32 v44, v0
	v_dual_mov_b32 v0, v43 :: v_dual_fmaak_f32 v3, 0, v2, 0x4414934d
	v_dual_fmaak_f32 v5, 0, v2, 0x4e9695f3 :: v_dual_mov_b32 v46, v1
	s_delay_alu instid0(VALU_DEP_2) | instskip(NEXT) | instid1(VALU_DEP_2)
	v_fmaak_f32 v3, v2, v3, 0x48660b06
	v_fmaak_f32 v5, v2, v5, 0xd316b96b
	s_delay_alu instid0(VALU_DEP_2) | instskip(NEXT) | instid1(VALU_DEP_2)
	v_fmaak_f32 v3, v2, v3, 0x4c8c277d
	v_fmaak_f32 v5, v2, v5, 0x56d04aa6
	;; [unrolled: 3-line block ×5, first 2 shown]
	s_delay_alu instid0(VALU_DEP_2) | instskip(NEXT) | instid1(VALU_DEP_1)
	v_fmaak_f32 v3, v2, v3, 0x5b741f1e
	v_fmaak_f32 v2, v2, v3, 0x5e5c878d
	s_delay_alu instid0(VALU_DEP_1) | instskip(SKIP_1) | instid1(VALU_DEP_2)
	v_div_scale_f32 v3, null, v2, v2, v5
	v_div_scale_f32 v8, vcc_lo, v5, v2, v5
	v_rcp_f32_e32 v6, v3
	s_waitcnt_depctr 0xfff
	v_fma_f32 v7, -v3, v6, 1.0
	s_delay_alu instid0(VALU_DEP_1) | instskip(NEXT) | instid1(VALU_DEP_1)
	v_fmac_f32_e32 v6, v7, v6
	v_mul_f32_e32 v7, v8, v6
	s_delay_alu instid0(VALU_DEP_1) | instskip(NEXT) | instid1(VALU_DEP_1)
	v_fma_f32 v9, -v3, v7, v8
	v_fmac_f32_e32 v7, v9, v6
	s_delay_alu instid0(VALU_DEP_1) | instskip(NEXT) | instid1(VALU_DEP_1)
	v_fma_f32 v3, -v3, v7, v8
	v_div_fmas_f32 v3, v3, v6, v7
	s_delay_alu instid0(VALU_DEP_1)
	v_div_fixup_f32 v61, v3, v2, v5
	s_swappc_b64 s[30:31], s[0:1]
	v_cmp_gt_f32_e32 vcc_lo, 0x800000, v43
	v_div_scale_f32 v3, null, v43, v43, -1.0
	v_div_scale_f32 v8, s0, -1.0, v43, -1.0
	v_cndmask_b32_e64 v5, 1.0, 0x4f800000, vcc_lo
	v_mov_b32_e32 v2, v0
	s_delay_alu instid0(VALU_DEP_4) | instskip(SKIP_1) | instid1(VALU_DEP_3)
	v_rcp_f32_e32 v6, v3
	v_dual_mov_b32 v4, v57 :: v_dual_mov_b32 v1, v46
	v_mul_f32_e32 v5, v43, v5
	s_delay_alu instid0(VALU_DEP_1) | instskip(SKIP_3) | instid1(VALU_DEP_1)
	v_log_f32_e32 v5, v5
	v_mov_b32_e32 v0, v44
	s_waitcnt_depctr 0xfff
	v_fma_f32 v7, -v3, v6, 1.0
	v_dual_fmac_f32 v6, v7, v6 :: v_dual_mul_f32 v7, 0x3f317217, v5
	v_cmp_gt_f32_e64 s1, 0x7f800000, |v5|
	s_delay_alu instid0(VALU_DEP_2) | instskip(NEXT) | instid1(VALU_DEP_1)
	v_fma_f32 v10, 0x3f317217, v5, -v7
	v_fmamk_f32 v10, v5, 0x3377d1cf, v10
	s_delay_alu instid0(VALU_DEP_1) | instskip(NEXT) | instid1(VALU_DEP_1)
	v_add_f32_e32 v7, v7, v10
	v_cndmask_b32_e64 v5, v5, v7, s1
	v_cndmask_b32_e64 v7, 0, 0x41b17218, vcc_lo
	s_mov_b32 vcc_lo, s0
	s_delay_alu instid0(VALU_DEP_1) | instskip(SKIP_1) | instid1(VALU_DEP_1)
	v_sub_f32_e32 v5, v5, v7
	v_mul_f32_e32 v9, v8, v6
	v_fma_f32 v11, -v3, v9, v8
	s_delay_alu instid0(VALU_DEP_1) | instskip(NEXT) | instid1(VALU_DEP_1)
	v_fmac_f32_e32 v9, v11, v6
	v_fma_f32 v3, -v3, v9, v8
	s_delay_alu instid0(VALU_DEP_1) | instskip(NEXT) | instid1(VALU_DEP_1)
	v_div_fmas_f32 v3, v3, v6, v9
	v_div_fixup_f32 v3, v3, v43, -1.0
	s_delay_alu instid0(VALU_DEP_1) | instskip(NEXT) | instid1(VALU_DEP_1)
	v_fmac_f32_e32 v3, v5, v2
	v_mul_f32_e32 v57, 0x3f22f983, v3
	s_delay_alu instid0(VALU_DEP_1)
	v_fmac_f32_e32 v57, v43, v61
.LBB14_31:
	s_or_b32 exec_lo, exec_lo, s40
.LBB14_32:
	s_delay_alu instid0(SALU_CYCLE_1)
	s_or_b32 exec_lo, exec_lo, s39
                                        ; implicit-def: $vgpr43
.LBB14_33:
	s_and_not1_saveexec_b32 s3, s38
	s_cbranch_execz .LBB14_43
; %bb.34:
	v_add_f32_e32 v2, 0xc016cbe4, v43
                                        ; implicit-def: $vgpr6
                                        ; implicit-def: $vgpr5
	s_delay_alu instid0(VALU_DEP_1) | instskip(SKIP_1) | instid1(VALU_DEP_2)
	v_and_b32_e32 v3, 0x7fffffff, v2
	v_cmp_ngt_f32_e64 s4, 0x48000000, |v2|
	v_lshrrev_b32_e32 v8, 23, v3
	s_delay_alu instid0(VALU_DEP_2) | instskip(NEXT) | instid1(SALU_CYCLE_1)
	s_and_saveexec_b32 s0, s4
	s_xor_b32 s5, exec_lo, s0
	s_cbranch_execz .LBB14_36
; %bb.35:
	s_mov_b32 s0, 0x7fffff
	v_mov_b32_e32 v7, 0
	v_and_or_b32 v16, v3, s0, 0x800000
	v_add_nc_u32_e32 v14, 0xffffff88, v8
	s_delay_alu instid0(VALU_DEP_2) | instskip(NEXT) | instid1(VALU_DEP_2)
	v_mad_u64_u32 v[5:6], null, 0xfe5163ab, v16, 0
	v_cmp_lt_u32_e32 vcc_lo, 63, v14
	v_cndmask_b32_e64 v15, 0, 0xffffffc0, vcc_lo
	s_delay_alu instid0(VALU_DEP_3) | instskip(NEXT) | instid1(VALU_DEP_1)
	v_mad_u64_u32 v[9:10], null, 0x3c439041, v16, v[6:7]
	v_dual_mov_b32 v6, v10 :: v_dual_add_nc_u32 v15, v15, v14
	s_delay_alu instid0(VALU_DEP_1) | instskip(NEXT) | instid1(VALU_DEP_2)
	v_cmp_lt_u32_e64 s0, 31, v15
	v_mad_u64_u32 v[10:11], null, 0xdb629599, v16, v[6:7]
	s_delay_alu instid0(VALU_DEP_2) | instskip(NEXT) | instid1(VALU_DEP_1)
	v_cndmask_b32_e64 v17, 0, 0xffffffe0, s0
	v_dual_mov_b32 v6, v11 :: v_dual_add_nc_u32 v17, v17, v15
	s_delay_alu instid0(VALU_DEP_3) | instskip(NEXT) | instid1(VALU_DEP_2)
	v_cndmask_b32_e32 v5, v10, v5, vcc_lo
	v_cmp_lt_u32_e64 s1, 31, v17
	s_delay_alu instid0(VALU_DEP_3) | instskip(NEXT) | instid1(VALU_DEP_1)
	v_mad_u64_u32 v[11:12], null, 0xf534ddc0, v16, v[6:7]
	v_dual_mov_b32 v6, v12 :: v_dual_cndmask_b32 v9, v11, v9
	s_delay_alu instid0(VALU_DEP_1) | instskip(NEXT) | instid1(VALU_DEP_2)
	v_mad_u64_u32 v[12:13], null, 0xfc2757d1, v16, v[6:7]
	v_cndmask_b32_e64 v5, v9, v5, s0
	s_delay_alu instid0(VALU_DEP_2) | instskip(NEXT) | instid1(VALU_DEP_1)
	v_mov_b32_e32 v6, v13
	v_mad_u64_u32 v[13:14], null, 0x4e441529, v16, v[6:7]
	s_delay_alu instid0(VALU_DEP_1) | instskip(NEXT) | instid1(VALU_DEP_1)
	v_mov_b32_e32 v6, v14
	v_mad_u64_u32 v[14:15], null, 0xa2f9836e, v16, v[6:7]
	v_cndmask_b32_e64 v6, 0, 0xffffffe0, s1
	s_delay_alu instid0(VALU_DEP_1) | instskip(NEXT) | instid1(VALU_DEP_3)
	v_dual_cndmask_b32 v7, v13, v11 :: v_dual_add_nc_u32 v6, v6, v17
	v_dual_cndmask_b32 v14, v14, v12 :: v_dual_cndmask_b32 v13, v15, v13
	v_cndmask_b32_e32 v12, v12, v10, vcc_lo
	s_delay_alu instid0(VALU_DEP_3) | instskip(NEXT) | instid1(VALU_DEP_3)
	v_cmp_eq_u32_e64 s2, 0, v6
	v_cndmask_b32_e64 v11, v14, v7, s0
	s_delay_alu instid0(VALU_DEP_4) | instskip(NEXT) | instid1(VALU_DEP_4)
	v_cndmask_b32_e64 v13, v13, v14, s0
	v_cndmask_b32_e64 v7, v7, v12, s0
	v_sub_nc_u32_e32 v14, 32, v6
	v_cndmask_b32_e64 v12, v12, v9, s0
	s_delay_alu instid0(VALU_DEP_4) | instskip(NEXT) | instid1(VALU_DEP_4)
	v_cndmask_b32_e64 v13, v13, v11, s1
	v_cndmask_b32_e64 v11, v11, v7, s1
	s_delay_alu instid0(VALU_DEP_3) | instskip(SKIP_1) | instid1(VALU_DEP_3)
	v_cndmask_b32_e64 v7, v7, v12, s1
	v_cndmask_b32_e64 v5, v12, v5, s1
	v_alignbit_b32 v15, v13, v11, v14
	s_delay_alu instid0(VALU_DEP_3) | instskip(NEXT) | instid1(VALU_DEP_3)
	v_alignbit_b32 v16, v11, v7, v14
	v_alignbit_b32 v14, v7, v5, v14
	s_delay_alu instid0(VALU_DEP_3) | instskip(NEXT) | instid1(VALU_DEP_3)
	v_cndmask_b32_e64 v6, v15, v13, s2
	v_cndmask_b32_e64 v10, v16, v11, s2
	s_delay_alu instid0(VALU_DEP_3) | instskip(NEXT) | instid1(VALU_DEP_3)
	v_cndmask_b32_e64 v7, v14, v7, s2
	v_bfe_u32 v11, v6, 29, 1
	s_delay_alu instid0(VALU_DEP_3) | instskip(NEXT) | instid1(VALU_DEP_3)
	v_alignbit_b32 v9, v6, v10, 30
	v_alignbit_b32 v10, v10, v7, 30
	v_alignbit_b32 v5, v7, v5, 30
	s_delay_alu instid0(VALU_DEP_4) | instskip(NEXT) | instid1(VALU_DEP_1)
	v_sub_nc_u32_e32 v13, 0, v11
	v_xor_b32_e32 v12, v9, v13
	v_cmp_ne_u32_e32 vcc_lo, v9, v13
	v_xor_b32_e32 v7, v10, v13
	v_xor_b32_e32 v5, v5, v13
	s_delay_alu instid0(VALU_DEP_4) | instskip(NEXT) | instid1(VALU_DEP_1)
	v_clz_i32_u32_e32 v15, v12
	v_add_nc_u32_e32 v14, 1, v15
	s_delay_alu instid0(VALU_DEP_1) | instskip(NEXT) | instid1(VALU_DEP_1)
	v_cndmask_b32_e32 v9, 33, v14, vcc_lo
	v_sub_nc_u32_e32 v10, 32, v9
	s_delay_alu instid0(VALU_DEP_1) | instskip(SKIP_3) | instid1(VALU_DEP_3)
	v_alignbit_b32 v12, v12, v7, v10
	v_alignbit_b32 v5, v7, v5, v10
	v_lshrrev_b32_e32 v7, 29, v6
	v_lshrrev_b32_e32 v6, 30, v6
	v_alignbit_b32 v10, v12, v5, 9
	s_delay_alu instid0(VALU_DEP_3) | instskip(SKIP_1) | instid1(VALU_DEP_4)
	v_lshlrev_b32_e32 v7, 31, v7
	v_alignbit_b32 v12, v9, v12, 9
	v_add_nc_u32_e32 v6, v11, v6
	s_delay_alu instid0(VALU_DEP_4) | instskip(NEXT) | instid1(VALU_DEP_3)
	v_clz_i32_u32_e32 v13, v10
	v_or_b32_e32 v12, v12, v7
	v_or_b32_e32 v7, 0x33800000, v7
	s_delay_alu instid0(VALU_DEP_3) | instskip(NEXT) | instid1(VALU_DEP_3)
	v_min_u32_e32 v13, 32, v13
	v_xor_b32_e32 v12, 1.0, v12
	s_delay_alu instid0(VALU_DEP_2) | instskip(SKIP_1) | instid1(VALU_DEP_3)
	v_sub_nc_u32_e32 v14, 31, v13
	v_add_lshl_u32 v9, v13, v9, 23
	v_mul_f32_e32 v13, 0x3fc90fda, v12
	s_delay_alu instid0(VALU_DEP_3) | instskip(NEXT) | instid1(VALU_DEP_3)
	v_alignbit_b32 v5, v10, v5, v14
	v_sub_nc_u32_e32 v7, v7, v9
	s_delay_alu instid0(VALU_DEP_3) | instskip(NEXT) | instid1(VALU_DEP_3)
	v_fma_f32 v9, 0x3fc90fda, v12, -v13
	v_lshrrev_b32_e32 v5, 9, v5
	s_delay_alu instid0(VALU_DEP_2) | instskip(NEXT) | instid1(VALU_DEP_2)
	v_fmamk_f32 v9, v12, 0x33a22168, v9
	v_or_b32_e32 v5, v7, v5
	s_delay_alu instid0(VALU_DEP_1) | instskip(NEXT) | instid1(VALU_DEP_1)
	v_fmac_f32_e32 v9, 0x3fc90fda, v5
	v_add_f32_e32 v5, v13, v9
	s_or_saveexec_b32 s0, s5
	v_mul_f32_e64 v10, 0x3f22f983, |v2|
	s_xor_b32 exec_lo, exec_lo, s0
	s_branch .LBB14_37
.LBB14_36:
	s_or_saveexec_b32 s0, s5
	v_mul_f32_e64 v10, 0x3f22f983, |v2|
	s_xor_b32 exec_lo, exec_lo, s0
.LBB14_37:
	s_delay_alu instid0(VALU_DEP_1) | instskip(NEXT) | instid1(VALU_DEP_1)
	v_rndne_f32_e32 v6, v10
	v_fma_f32 v5, 0xbfc90fda, v6, |v2|
	s_delay_alu instid0(VALU_DEP_1) | instskip(NEXT) | instid1(VALU_DEP_1)
	v_fmamk_f32 v5, v6, 0xb3a22168, v5
	v_fmamk_f32 v5, v6, 0xa7c234c4, v5
	v_cvt_i32_f32_e32 v6, v6
; %bb.38:
	s_or_b32 exec_lo, exec_lo, s0
                                        ; implicit-def: $vgpr9
                                        ; implicit-def: $vgpr7
	s_and_saveexec_b32 s0, s4
	s_delay_alu instid0(SALU_CYCLE_1)
	s_xor_b32 s4, exec_lo, s0
	s_cbranch_execz .LBB14_40
; %bb.39:
	s_mov_b32 s0, 0x7fffff
	v_mov_b32_e32 v11, 0
	v_and_or_b32 v18, v3, s0, 0x800000
	s_delay_alu instid0(VALU_DEP_1) | instskip(NEXT) | instid1(VALU_DEP_1)
	v_mad_u64_u32 v[9:10], null, 0xfe5163ab, v18, 0
	v_mad_u64_u32 v[12:13], null, 0x3c439041, v18, v[10:11]
	s_delay_alu instid0(VALU_DEP_1) | instskip(NEXT) | instid1(VALU_DEP_1)
	v_mov_b32_e32 v10, v13
	v_mad_u64_u32 v[13:14], null, 0xdb629599, v18, v[10:11]
	s_delay_alu instid0(VALU_DEP_1) | instskip(NEXT) | instid1(VALU_DEP_1)
	v_mov_b32_e32 v10, v14
	v_mad_u64_u32 v[14:15], null, 0xf534ddc0, v18, v[10:11]
	s_delay_alu instid0(VALU_DEP_1) | instskip(NEXT) | instid1(VALU_DEP_1)
	v_dual_mov_b32 v10, v15 :: v_dual_add_nc_u32 v15, 0xffffff88, v8
	v_mad_u64_u32 v[7:8], null, 0xfc2757d1, v18, v[10:11]
	s_delay_alu instid0(VALU_DEP_2) | instskip(SKIP_1) | instid1(VALU_DEP_3)
	v_cmp_lt_u32_e32 vcc_lo, 63, v15
	v_cndmask_b32_e64 v16, 0, 0xffffffc0, vcc_lo
	v_dual_mov_b32 v10, v8 :: v_dual_cndmask_b32 v9, v13, v9
	s_delay_alu instid0(VALU_DEP_2) | instskip(NEXT) | instid1(VALU_DEP_2)
	v_add_nc_u32_e32 v8, v16, v15
	v_mad_u64_u32 v[15:16], null, 0x4e441529, v18, v[10:11]
	s_delay_alu instid0(VALU_DEP_2) | instskip(NEXT) | instid1(VALU_DEP_2)
	v_cmp_lt_u32_e64 s0, 31, v8
	v_mov_b32_e32 v10, v16
	s_delay_alu instid0(VALU_DEP_2) | instskip(NEXT) | instid1(VALU_DEP_1)
	v_cndmask_b32_e64 v17, 0, 0xffffffe0, s0
	v_add_nc_u32_e32 v8, v17, v8
	s_delay_alu instid0(VALU_DEP_3) | instskip(SKIP_1) | instid1(VALU_DEP_3)
	v_mad_u64_u32 v[16:17], null, 0xa2f9836e, v18, v[10:11]
	v_cndmask_b32_e32 v11, v15, v14, vcc_lo
	v_cmp_lt_u32_e64 s1, 31, v8
	s_delay_alu instid0(VALU_DEP_3) | instskip(NEXT) | instid1(VALU_DEP_2)
	v_cndmask_b32_e32 v16, v16, v7, vcc_lo
	v_cndmask_b32_e64 v10, 0, 0xffffffe0, s1
	v_cndmask_b32_e32 v15, v17, v15, vcc_lo
	s_delay_alu instid0(VALU_DEP_2) | instskip(SKIP_2) | instid1(VALU_DEP_4)
	v_dual_cndmask_b32 v7, v7, v13 :: v_dual_add_nc_u32 v8, v10, v8
	v_cndmask_b32_e32 v10, v14, v12, vcc_lo
	v_cndmask_b32_e64 v12, v16, v11, s0
	v_cndmask_b32_e64 v14, v15, v16, s0
	s_delay_alu instid0(VALU_DEP_4)
	v_cndmask_b32_e64 v11, v11, v7, s0
	v_sub_nc_u32_e32 v15, 32, v8
	v_cndmask_b32_e64 v7, v7, v10, s0
	v_cmp_eq_u32_e64 s2, 0, v8
	v_cndmask_b32_e64 v14, v14, v12, s1
	v_cndmask_b32_e64 v12, v12, v11, s1
	;; [unrolled: 1-line block ×4, first 2 shown]
	s_delay_alu instid0(VALU_DEP_3) | instskip(NEXT) | instid1(VALU_DEP_3)
	v_alignbit_b32 v16, v14, v12, v15
	v_cndmask_b32_e64 v7, v7, v9, s1
	s_delay_alu instid0(VALU_DEP_3) | instskip(NEXT) | instid1(VALU_DEP_3)
	v_alignbit_b32 v17, v12, v11, v15
	v_cndmask_b32_e64 v8, v16, v14, s2
	;; [unrolled: 3-line block ×3, first 2 shown]
	s_delay_alu instid0(VALU_DEP_3) | instskip(NEXT) | instid1(VALU_DEP_3)
	v_bfe_u32 v13, v8, 29, 1
	v_cndmask_b32_e64 v11, v15, v11, s2
	s_delay_alu instid0(VALU_DEP_3) | instskip(NEXT) | instid1(VALU_DEP_3)
	v_alignbit_b32 v10, v8, v12, 30
	v_sub_nc_u32_e32 v14, 0, v13
	s_delay_alu instid0(VALU_DEP_3) | instskip(SKIP_1) | instid1(VALU_DEP_3)
	v_alignbit_b32 v12, v12, v11, 30
	v_alignbit_b32 v7, v11, v7, 30
	v_xor_b32_e32 v9, v10, v14
	v_cmp_ne_u32_e32 vcc_lo, v10, v14
	s_delay_alu instid0(VALU_DEP_4) | instskip(NEXT) | instid1(VALU_DEP_4)
	v_xor_b32_e32 v11, v12, v14
	v_xor_b32_e32 v7, v7, v14
	s_delay_alu instid0(VALU_DEP_4) | instskip(NEXT) | instid1(VALU_DEP_1)
	v_clz_i32_u32_e32 v16, v9
	v_add_nc_u32_e32 v15, 1, v16
	s_delay_alu instid0(VALU_DEP_1) | instskip(NEXT) | instid1(VALU_DEP_1)
	v_cndmask_b32_e32 v10, 33, v15, vcc_lo
	v_sub_nc_u32_e32 v12, 32, v10
	s_delay_alu instid0(VALU_DEP_1) | instskip(SKIP_3) | instid1(VALU_DEP_3)
	v_alignbit_b32 v9, v9, v11, v12
	v_alignbit_b32 v7, v11, v7, v12
	v_lshrrev_b32_e32 v11, 29, v8
	v_lshrrev_b32_e32 v8, 30, v8
	v_alignbit_b32 v12, v9, v7, 9
	s_delay_alu instid0(VALU_DEP_3) | instskip(SKIP_1) | instid1(VALU_DEP_3)
	v_lshlrev_b32_e32 v11, 31, v11
	v_alignbit_b32 v9, v10, v9, 9
	v_clz_i32_u32_e32 v14, v12
	s_delay_alu instid0(VALU_DEP_2) | instskip(SKIP_1) | instid1(VALU_DEP_3)
	v_or_b32_e32 v9, v9, v11
	v_or_b32_e32 v11, 0x33800000, v11
	v_min_u32_e32 v14, 32, v14
	s_delay_alu instid0(VALU_DEP_3) | instskip(NEXT) | instid1(VALU_DEP_2)
	v_xor_b32_e32 v9, 1.0, v9
	v_sub_nc_u32_e32 v15, 31, v14
	v_add_lshl_u32 v10, v14, v10, 23
	s_delay_alu instid0(VALU_DEP_3) | instskip(NEXT) | instid1(VALU_DEP_3)
	v_mul_f32_e32 v14, 0x3fc90fda, v9
	v_alignbit_b32 v7, v12, v7, v15
	s_delay_alu instid0(VALU_DEP_3) | instskip(NEXT) | instid1(VALU_DEP_3)
	v_sub_nc_u32_e32 v10, v11, v10
	v_fma_f32 v11, 0x3fc90fda, v9, -v14
	s_delay_alu instid0(VALU_DEP_3) | instskip(NEXT) | instid1(VALU_DEP_2)
	v_lshrrev_b32_e32 v7, 9, v7
	v_fmamk_f32 v9, v9, 0x33a22168, v11
	s_delay_alu instid0(VALU_DEP_2) | instskip(NEXT) | instid1(VALU_DEP_1)
	v_or_b32_e32 v7, v10, v7
                                        ; implicit-def: $vgpr10
	v_fmac_f32_e32 v9, 0x3fc90fda, v7
	s_delay_alu instid0(VALU_DEP_1)
	v_add_f32_e32 v7, v14, v9
	v_add_nc_u32_e32 v9, v13, v8
	s_and_not1_saveexec_b32 s0, s4
	s_cbranch_execnz .LBB14_41
	s_branch .LBB14_42
.LBB14_40:
	s_and_not1_saveexec_b32 s0, s4
.LBB14_41:
	v_rndne_f32_e32 v8, v10
	s_delay_alu instid0(VALU_DEP_1) | instskip(SKIP_1) | instid1(VALU_DEP_2)
	v_fma_f32 v7, 0xbfc90fda, v8, |v2|
	v_cvt_i32_f32_e32 v9, v8
	v_fmamk_f32 v7, v8, 0xb3a22168, v7
	s_delay_alu instid0(VALU_DEP_1)
	v_fmamk_f32 v7, v8, 0xa7c234c4, v7
.LBB14_42:
	s_or_b32 exec_lo, exec_lo, s0
	v_div_scale_f32 v8, null, v43, v43, 0x40a00000
	v_div_scale_f32 v12, vcc_lo, 0x40a00000, v43, 0x40a00000
	s_mov_b32 s0, 0xb94c1982
	s_delay_alu instid0(VALU_DEP_2) | instskip(SKIP_4) | instid1(VALU_DEP_1)
	v_rcp_f32_e32 v10, v8
	s_mov_b32 s1, 0x37d75334
	v_xor_b32_e32 v3, v3, v2
	s_waitcnt_depctr 0xfff
	v_fma_f32 v11, -v8, v10, 1.0
	v_fmac_f32_e32 v10, v11, v10
	s_delay_alu instid0(VALU_DEP_1) | instskip(NEXT) | instid1(VALU_DEP_1)
	v_mul_f32_e32 v11, v12, v10
	v_fma_f32 v13, -v8, v11, v12
	s_delay_alu instid0(VALU_DEP_1) | instskip(SKIP_1) | instid1(VALU_DEP_2)
	v_fmac_f32_e32 v11, v13, v10
	v_mul_f32_e32 v13, v7, v7
	v_fma_f32 v8, -v8, v11, v12
	s_delay_alu instid0(VALU_DEP_2) | instskip(NEXT) | instid1(VALU_DEP_2)
	v_fmaak_f32 v22, s0, v13, 0x3c0881c4
	v_div_fmas_f32 v8, v8, v10, v11
	v_mul_f32_e32 v10, v5, v5
	s_delay_alu instid0(VALU_DEP_3) | instskip(SKIP_1) | instid1(VALU_DEP_4)
	v_fmaak_f32 v22, v13, v22, 0xbe2aaa9d
	v_mul_f32_e32 v19, 0x4f800000, v43
	v_div_fixup_f32 v8, v8, v43, 0x40a00000
	s_delay_alu instid0(VALU_DEP_4) | instskip(SKIP_2) | instid1(VALU_DEP_4)
	v_fmaak_f32 v20, s0, v10, 0x3c0881c4
	v_cmp_gt_f32_e64 s0, 0xf800000, v43
	v_fmaak_f32 v21, s1, v10, 0xbab64f3b
	v_dual_fmaak_f32 v23, s1, v13, 0xbab64f3b :: v_dual_mul_f32 v12, v8, v8
	v_and_b32_e32 v11, 1, v6
	v_lshlrev_b32_e32 v6, 30, v6
	v_and_b32_e32 v14, 1, v9
	s_delay_alu instid0(VALU_DEP_4)
	v_dual_fmaak_f32 v18, 0, v12, 0x42947983 :: v_dual_lshlrev_b32 v9, 30, v9
	v_fmaak_f32 v16, 0, v12, 0x3a15c4d9
	v_fmaak_f32 v17, 0, v12, 0x3a47c962
	;; [unrolled: 1-line block ×7, first 2 shown]
	s_delay_alu instid0(VALU_DEP_4) | instskip(SKIP_3) | instid1(VALU_DEP_4)
	v_dual_fmaak_f32 v15, v12, v15, 0x409f6dae :: v_dual_mul_f32 v20, v10, v20
	v_mul_f32_e32 v22, v13, v22
	v_cndmask_b32_e64 v19, v43, v19, s0
	v_fmaak_f32 v16, v12, v16, 0x3d8cfeeb
	v_dual_fmaak_f32 v18, v12, v18, 0x44840e5d :: v_dual_fmac_f32 v5, v5, v20
	s_delay_alu instid0(VALU_DEP_4) | instskip(NEXT) | instid1(VALU_DEP_4)
	v_fmac_f32_e32 v7, v7, v22
	v_sqrt_f32_e32 v27, v19
	s_delay_alu instid0(VALU_DEP_3)
	v_fmaak_f32 v16, v12, v16, 0x3f8d754e
	v_fmaak_f32 v17, v12, v17, 0x3f9047f6
	;; [unrolled: 1-line block ×6, first 2 shown]
	v_cmp_eq_u32_e64 s2, 0, v11
	v_fmaak_f32 v18, v12, v18, 0x46156947
	v_fma_f32 v10, v10, v21, 1.0
	v_dual_fmaak_f32 v17, v12, v17, 0x40a39628 :: v_dual_add_nc_u32 v22, -1, v27
	v_fmaak_f32 v16, v12, v16, 0x410665cf
	s_delay_alu instid0(VALU_DEP_4)
	v_fmaak_f32 v18, v12, v18, 0x45f9e855
	v_fma_f32 v13, v13, v23, 1.0
	v_cndmask_b32_e64 v5, v10, v5, s2
	v_fmaak_f32 v17, v12, v17, 0x4106c8e4
	v_fmaak_f32 v16, v12, v16, 0x40a6b6ea
	;; [unrolled: 1-line block ×3, first 2 shown]
	v_cmp_eq_u32_e64 s2, 0, v14
	v_and_b32_e32 v6, 0x80000000, v6
	v_fmaak_f32 v17, v12, v17, 0x40a6dd51
	v_fma_f32 v16, v12, v16, 1.0
	v_fmaak_f32 v18, v12, v18, 0x43a80bfb
	v_cndmask_b32_e64 v7, -v7, v13, s2
	v_fma_f32 v10, -v22, v27, v19
	v_fma_f32 v17, v12, v17, 1.0
	v_xor3_b32 v3, v3, v6, v5
	v_and_b32_e32 v9, 0x80000000, v9
	s_delay_alu instid0(VALU_DEP_3) | instskip(SKIP_1) | instid1(VALU_DEP_3)
	v_div_scale_f32 v30, vcc_lo, v17, v16, v17
	v_fmaak_f32 v15, v12, v15, 0x4297a5cd
	v_xor_b32_e32 v7, v9, v7
	s_delay_alu instid0(VALU_DEP_2) | instskip(NEXT) | instid1(VALU_DEP_1)
	v_fmaak_f32 v15, v12, v15, 0x43b763ca
	v_fmaak_f32 v15, v12, v15, 0x4431b6ce
	s_delay_alu instid0(VALU_DEP_1) | instskip(NEXT) | instid1(VALU_DEP_1)
	v_fmaak_f32 v15, v12, v15, 0x44155f56
	v_fmaak_f32 v15, v12, v15, 0x4353b052
	s_delay_alu instid0(VALU_DEP_1) | instskip(SKIP_1) | instid1(VALU_DEP_2)
	v_fmaak_f32 v12, v12, v15, 0x41c9a7fa
	v_div_scale_f32 v15, null, v16, v16, v17
	v_div_scale_f32 v24, null, v18, v18, v12
	s_delay_alu instid0(VALU_DEP_2) | instskip(NEXT) | instid1(VALU_DEP_1)
	v_rcp_f32_e32 v25, v15
	v_rcp_f32_e32 v26, v24
	s_waitcnt_depctr 0xfff
	v_fma_f32 v28, -v15, v25, 1.0
	v_fma_f32 v29, -v24, v26, 1.0
	s_delay_alu instid0(VALU_DEP_2) | instskip(SKIP_1) | instid1(VALU_DEP_3)
	v_fmac_f32_e32 v25, v28, v25
	v_div_scale_f32 v28, s1, v12, v18, v12
	v_dual_fmac_f32 v26, v29, v26 :: v_dual_add_nc_u32 v29, 1, v27
	s_delay_alu instid0(VALU_DEP_1) | instskip(NEXT) | instid1(VALU_DEP_2)
	v_dual_mul_f32 v20, v30, v25 :: v_dual_mul_f32 v21, v28, v26
	v_fma_f32 v11, -v29, v27, v19
	s_delay_alu instid0(VALU_DEP_2) | instskip(NEXT) | instid1(VALU_DEP_3)
	v_fma_f32 v23, -v15, v20, v30
	v_fma_f32 v31, -v24, v21, v28
	s_delay_alu instid0(VALU_DEP_2) | instskip(NEXT) | instid1(VALU_DEP_2)
	v_fmac_f32_e32 v20, v23, v25
	v_fmac_f32_e32 v21, v31, v26
	s_delay_alu instid0(VALU_DEP_2) | instskip(NEXT) | instid1(VALU_DEP_2)
	v_fma_f32 v13, -v15, v20, v30
	v_fma_f32 v5, -v24, v21, v28
	s_delay_alu instid0(VALU_DEP_2) | instskip(SKIP_2) | instid1(VALU_DEP_3)
	v_div_fmas_f32 v6, v13, v25, v20
	s_mov_b32 vcc_lo, s1
	v_cmp_lt_f32_e64 s1, 0, v11
	v_div_fmas_f32 v5, v5, v26, v21
	v_cmp_ge_f32_e32 vcc_lo, 0, v10
	v_div_fixup_f32 v6, v6, v16, v17
	v_cndmask_b32_e32 v9, v27, v22, vcc_lo
	v_cmp_class_f32_e64 vcc_lo, v2, 0x1f8
	v_div_fixup_f32 v2, v5, v18, v12
	s_delay_alu instid0(VALU_DEP_3) | instskip(NEXT) | instid1(VALU_DEP_2)
	v_cndmask_b32_e64 v5, v9, v29, s1
	v_dual_cndmask_b32 v7, 0x7fc00000, v7 :: v_dual_mul_f32 v2, v8, v2
	v_cndmask_b32_e32 v3, 0x7fc00000, v3, vcc_lo
	v_cmp_class_f32_e64 vcc_lo, v19, 0x260
	s_delay_alu instid0(VALU_DEP_4) | instskip(NEXT) | instid1(VALU_DEP_4)
	v_mul_f32_e32 v8, 0x37800000, v5
	v_mul_f32_e32 v2, v2, v7
	s_delay_alu instid0(VALU_DEP_2) | instskip(NEXT) | instid1(VALU_DEP_2)
	v_cndmask_b32_e64 v5, v5, v8, s0
	v_fmac_f32_e32 v2, v6, v3
	s_delay_alu instid0(VALU_DEP_1) | instskip(NEXT) | instid1(VALU_DEP_1)
	v_dual_cndmask_b32 v3, v5, v19 :: v_dual_mul_f32 v2, 0x3f4c422a, v2
	v_div_scale_f32 v5, null, v3, v3, v2
	s_delay_alu instid0(VALU_DEP_1) | instskip(SKIP_2) | instid1(VALU_DEP_1)
	v_rcp_f32_e32 v6, v5
	s_waitcnt_depctr 0xfff
	v_fma_f32 v7, -v5, v6, 1.0
	v_fmac_f32_e32 v6, v7, v6
	v_div_scale_f32 v7, vcc_lo, v2, v3, v2
	s_delay_alu instid0(VALU_DEP_1) | instskip(NEXT) | instid1(VALU_DEP_1)
	v_mul_f32_e32 v8, v7, v6
	v_fma_f32 v9, -v5, v8, v7
	s_delay_alu instid0(VALU_DEP_1) | instskip(NEXT) | instid1(VALU_DEP_1)
	v_fmac_f32_e32 v8, v9, v6
	v_fma_f32 v5, -v5, v8, v7
	s_delay_alu instid0(VALU_DEP_1) | instskip(NEXT) | instid1(VALU_DEP_1)
	v_div_fmas_f32 v5, v5, v6, v8
	v_div_fixup_f32 v57, v5, v3, v2
.LBB14_43:
	s_or_b32 exec_lo, exec_lo, s3
.LBB14_44:
	s_delay_alu instid0(SALU_CYCLE_1) | instskip(SKIP_2) | instid1(VALU_DEP_1)
	s_or_b32 exec_lo, exec_lo, s37
	v_add_nc_u32_e32 v2, 0x200, v47
	s_mov_b32 s37, exec_lo
	v_cmpx_lt_i32_e64 v2, v4
	s_cbranch_execz .LBB14_62
; %bb.45:
	s_mov_b32 s0, exec_lo
	s_waitcnt vmcnt(0) lgkmcnt(0)
	v_cmpx_ge_f32_e32 0x40a00000, v42
	s_xor_b32 s38, exec_lo, s0
	s_cbranch_execz .LBB14_51
; %bb.46:
	v_mov_b32_e32 v58, 0xff800000
	s_mov_b32 s39, exec_lo
	v_cmpx_neq_f32_e32 0, v42
	s_cbranch_execz .LBB14_50
; %bb.47:
	v_mov_b32_e32 v58, 0x7fc00000
	s_mov_b32 s40, exec_lo
	v_cmpx_nge_f32_e32 0, v42
	s_cbranch_execz .LBB14_49
; %bb.48:
	v_dual_mul_f32 v2, v42, v42 :: v_dual_mov_b32 v43, v0
	s_getpc_b64 s[0:1]
	s_add_u32 s0, s0, _Z17bessel_j1_forwardIfET_S0_@rel32@lo+4
	s_addc_u32 s1, s1, _Z17bessel_j1_forwardIfET_S0_@rel32@hi+12
	v_mov_b32_e32 v0, v42
	v_dual_mov_b32 v44, v1 :: v_dual_fmaak_f32 v3, 0, v2, 0x4414934d
	v_dual_fmaak_f32 v5, 0, v2, 0x4e9695f3 :: v_dual_mov_b32 v46, v4
	s_delay_alu instid0(VALU_DEP_2) | instskip(NEXT) | instid1(VALU_DEP_2)
	v_fmaak_f32 v3, v2, v3, 0x48660b06
	v_fmaak_f32 v5, v2, v5, 0xd316b96b
	s_delay_alu instid0(VALU_DEP_2) | instskip(NEXT) | instid1(VALU_DEP_2)
	v_fmaak_f32 v3, v2, v3, 0x4c8c277d
	v_fmaak_f32 v5, v2, v5, 0x56d04aa6
	;; [unrolled: 3-line block ×5, first 2 shown]
	s_delay_alu instid0(VALU_DEP_2) | instskip(NEXT) | instid1(VALU_DEP_1)
	v_fmaak_f32 v3, v2, v3, 0x5b741f1e
	v_fmaak_f32 v2, v2, v3, 0x5e5c878d
	s_delay_alu instid0(VALU_DEP_1) | instskip(SKIP_1) | instid1(VALU_DEP_2)
	v_div_scale_f32 v3, null, v2, v2, v5
	v_div_scale_f32 v8, vcc_lo, v5, v2, v5
	v_rcp_f32_e32 v6, v3
	s_waitcnt_depctr 0xfff
	v_fma_f32 v7, -v3, v6, 1.0
	s_delay_alu instid0(VALU_DEP_1) | instskip(NEXT) | instid1(VALU_DEP_1)
	v_fmac_f32_e32 v6, v7, v6
	v_mul_f32_e32 v7, v8, v6
	s_delay_alu instid0(VALU_DEP_1) | instskip(NEXT) | instid1(VALU_DEP_1)
	v_fma_f32 v9, -v3, v7, v8
	v_fmac_f32_e32 v7, v9, v6
	s_delay_alu instid0(VALU_DEP_1) | instskip(NEXT) | instid1(VALU_DEP_1)
	v_fma_f32 v3, -v3, v7, v8
	v_div_fmas_f32 v3, v3, v6, v7
	s_delay_alu instid0(VALU_DEP_1)
	v_div_fixup_f32 v61, v3, v2, v5
	s_swappc_b64 s[30:31], s[0:1]
	v_cmp_gt_f32_e32 vcc_lo, 0x800000, v42
	v_div_scale_f32 v3, null, v42, v42, -1.0
	v_div_scale_f32 v8, s0, -1.0, v42, -1.0
	v_cndmask_b32_e64 v5, 1.0, 0x4f800000, vcc_lo
	v_mov_b32_e32 v2, v0
	s_delay_alu instid0(VALU_DEP_4) | instskip(SKIP_1) | instid1(VALU_DEP_3)
	v_rcp_f32_e32 v6, v3
	v_dual_mov_b32 v4, v46 :: v_dual_mov_b32 v1, v44
	v_mul_f32_e32 v5, v42, v5
	s_delay_alu instid0(VALU_DEP_1) | instskip(SKIP_3) | instid1(VALU_DEP_1)
	v_log_f32_e32 v5, v5
	v_mov_b32_e32 v0, v43
	s_waitcnt_depctr 0xfff
	v_fma_f32 v7, -v3, v6, 1.0
	v_dual_fmac_f32 v6, v7, v6 :: v_dual_mul_f32 v7, 0x3f317217, v5
	v_cmp_gt_f32_e64 s1, 0x7f800000, |v5|
	s_delay_alu instid0(VALU_DEP_2) | instskip(NEXT) | instid1(VALU_DEP_1)
	v_fma_f32 v10, 0x3f317217, v5, -v7
	v_fmamk_f32 v10, v5, 0x3377d1cf, v10
	s_delay_alu instid0(VALU_DEP_1) | instskip(NEXT) | instid1(VALU_DEP_1)
	v_add_f32_e32 v7, v7, v10
	v_cndmask_b32_e64 v5, v5, v7, s1
	v_cndmask_b32_e64 v7, 0, 0x41b17218, vcc_lo
	s_mov_b32 vcc_lo, s0
	s_delay_alu instid0(VALU_DEP_1) | instskip(SKIP_1) | instid1(VALU_DEP_1)
	v_sub_f32_e32 v5, v5, v7
	v_mul_f32_e32 v9, v8, v6
	v_fma_f32 v11, -v3, v9, v8
	s_delay_alu instid0(VALU_DEP_1) | instskip(NEXT) | instid1(VALU_DEP_1)
	v_fmac_f32_e32 v9, v11, v6
	v_fma_f32 v3, -v3, v9, v8
	s_delay_alu instid0(VALU_DEP_1) | instskip(NEXT) | instid1(VALU_DEP_1)
	v_div_fmas_f32 v3, v3, v6, v9
	v_div_fixup_f32 v3, v3, v42, -1.0
	s_delay_alu instid0(VALU_DEP_1) | instskip(NEXT) | instid1(VALU_DEP_1)
	v_fmac_f32_e32 v3, v5, v2
	v_mul_f32_e32 v58, 0x3f22f983, v3
	s_delay_alu instid0(VALU_DEP_1)
	v_fmac_f32_e32 v58, v42, v61
.LBB14_49:
	s_or_b32 exec_lo, exec_lo, s40
.LBB14_50:
	s_delay_alu instid0(SALU_CYCLE_1)
	s_or_b32 exec_lo, exec_lo, s39
                                        ; implicit-def: $vgpr42
.LBB14_51:
	s_and_not1_saveexec_b32 s3, s38
	s_cbranch_execz .LBB14_61
; %bb.52:
	v_add_f32_e32 v2, 0xc016cbe4, v42
                                        ; implicit-def: $vgpr6
                                        ; implicit-def: $vgpr5
	s_delay_alu instid0(VALU_DEP_1) | instskip(SKIP_1) | instid1(VALU_DEP_2)
	v_and_b32_e32 v3, 0x7fffffff, v2
	v_cmp_ngt_f32_e64 s4, 0x48000000, |v2|
	v_lshrrev_b32_e32 v8, 23, v3
	s_delay_alu instid0(VALU_DEP_2) | instskip(NEXT) | instid1(SALU_CYCLE_1)
	s_and_saveexec_b32 s0, s4
	s_xor_b32 s5, exec_lo, s0
	s_cbranch_execz .LBB14_54
; %bb.53:
	s_mov_b32 s0, 0x7fffff
	v_mov_b32_e32 v7, 0
	v_and_or_b32 v16, v3, s0, 0x800000
	v_add_nc_u32_e32 v14, 0xffffff88, v8
	s_delay_alu instid0(VALU_DEP_2) | instskip(NEXT) | instid1(VALU_DEP_2)
	v_mad_u64_u32 v[5:6], null, 0xfe5163ab, v16, 0
	v_cmp_lt_u32_e32 vcc_lo, 63, v14
	v_cndmask_b32_e64 v15, 0, 0xffffffc0, vcc_lo
	s_delay_alu instid0(VALU_DEP_3) | instskip(NEXT) | instid1(VALU_DEP_1)
	v_mad_u64_u32 v[9:10], null, 0x3c439041, v16, v[6:7]
	v_dual_mov_b32 v6, v10 :: v_dual_add_nc_u32 v15, v15, v14
	s_delay_alu instid0(VALU_DEP_1) | instskip(NEXT) | instid1(VALU_DEP_2)
	v_cmp_lt_u32_e64 s0, 31, v15
	v_mad_u64_u32 v[10:11], null, 0xdb629599, v16, v[6:7]
	s_delay_alu instid0(VALU_DEP_2) | instskip(NEXT) | instid1(VALU_DEP_1)
	v_cndmask_b32_e64 v17, 0, 0xffffffe0, s0
	v_dual_mov_b32 v6, v11 :: v_dual_add_nc_u32 v17, v17, v15
	s_delay_alu instid0(VALU_DEP_3) | instskip(NEXT) | instid1(VALU_DEP_2)
	v_cndmask_b32_e32 v5, v10, v5, vcc_lo
	v_cmp_lt_u32_e64 s1, 31, v17
	s_delay_alu instid0(VALU_DEP_3) | instskip(NEXT) | instid1(VALU_DEP_1)
	v_mad_u64_u32 v[11:12], null, 0xf534ddc0, v16, v[6:7]
	v_dual_mov_b32 v6, v12 :: v_dual_cndmask_b32 v9, v11, v9
	s_delay_alu instid0(VALU_DEP_1) | instskip(NEXT) | instid1(VALU_DEP_2)
	v_mad_u64_u32 v[12:13], null, 0xfc2757d1, v16, v[6:7]
	v_cndmask_b32_e64 v5, v9, v5, s0
	s_delay_alu instid0(VALU_DEP_2) | instskip(NEXT) | instid1(VALU_DEP_1)
	v_mov_b32_e32 v6, v13
	v_mad_u64_u32 v[13:14], null, 0x4e441529, v16, v[6:7]
	s_delay_alu instid0(VALU_DEP_1) | instskip(NEXT) | instid1(VALU_DEP_1)
	v_mov_b32_e32 v6, v14
	v_mad_u64_u32 v[14:15], null, 0xa2f9836e, v16, v[6:7]
	v_cndmask_b32_e64 v6, 0, 0xffffffe0, s1
	s_delay_alu instid0(VALU_DEP_1) | instskip(NEXT) | instid1(VALU_DEP_3)
	v_dual_cndmask_b32 v7, v13, v11 :: v_dual_add_nc_u32 v6, v6, v17
	v_dual_cndmask_b32 v14, v14, v12 :: v_dual_cndmask_b32 v13, v15, v13
	v_cndmask_b32_e32 v12, v12, v10, vcc_lo
	s_delay_alu instid0(VALU_DEP_3) | instskip(NEXT) | instid1(VALU_DEP_3)
	v_cmp_eq_u32_e64 s2, 0, v6
	v_cndmask_b32_e64 v11, v14, v7, s0
	s_delay_alu instid0(VALU_DEP_4) | instskip(NEXT) | instid1(VALU_DEP_4)
	v_cndmask_b32_e64 v13, v13, v14, s0
	v_cndmask_b32_e64 v7, v7, v12, s0
	v_sub_nc_u32_e32 v14, 32, v6
	v_cndmask_b32_e64 v12, v12, v9, s0
	s_delay_alu instid0(VALU_DEP_4) | instskip(NEXT) | instid1(VALU_DEP_4)
	v_cndmask_b32_e64 v13, v13, v11, s1
	v_cndmask_b32_e64 v11, v11, v7, s1
	s_delay_alu instid0(VALU_DEP_3) | instskip(SKIP_1) | instid1(VALU_DEP_3)
	v_cndmask_b32_e64 v7, v7, v12, s1
	v_cndmask_b32_e64 v5, v12, v5, s1
	v_alignbit_b32 v15, v13, v11, v14
	s_delay_alu instid0(VALU_DEP_3) | instskip(NEXT) | instid1(VALU_DEP_3)
	v_alignbit_b32 v16, v11, v7, v14
	v_alignbit_b32 v14, v7, v5, v14
	s_delay_alu instid0(VALU_DEP_3) | instskip(NEXT) | instid1(VALU_DEP_3)
	v_cndmask_b32_e64 v6, v15, v13, s2
	v_cndmask_b32_e64 v10, v16, v11, s2
	s_delay_alu instid0(VALU_DEP_3) | instskip(NEXT) | instid1(VALU_DEP_3)
	v_cndmask_b32_e64 v7, v14, v7, s2
	v_bfe_u32 v11, v6, 29, 1
	s_delay_alu instid0(VALU_DEP_3) | instskip(NEXT) | instid1(VALU_DEP_3)
	v_alignbit_b32 v9, v6, v10, 30
	v_alignbit_b32 v10, v10, v7, 30
	;; [unrolled: 1-line block ×3, first 2 shown]
	s_delay_alu instid0(VALU_DEP_4) | instskip(NEXT) | instid1(VALU_DEP_1)
	v_sub_nc_u32_e32 v13, 0, v11
	v_xor_b32_e32 v12, v9, v13
	v_cmp_ne_u32_e32 vcc_lo, v9, v13
	v_xor_b32_e32 v7, v10, v13
	v_xor_b32_e32 v5, v5, v13
	s_delay_alu instid0(VALU_DEP_4) | instskip(NEXT) | instid1(VALU_DEP_1)
	v_clz_i32_u32_e32 v15, v12
	v_add_nc_u32_e32 v14, 1, v15
	s_delay_alu instid0(VALU_DEP_1) | instskip(NEXT) | instid1(VALU_DEP_1)
	v_cndmask_b32_e32 v9, 33, v14, vcc_lo
	v_sub_nc_u32_e32 v10, 32, v9
	s_delay_alu instid0(VALU_DEP_1) | instskip(SKIP_3) | instid1(VALU_DEP_3)
	v_alignbit_b32 v12, v12, v7, v10
	v_alignbit_b32 v5, v7, v5, v10
	v_lshrrev_b32_e32 v7, 29, v6
	v_lshrrev_b32_e32 v6, 30, v6
	v_alignbit_b32 v10, v12, v5, 9
	s_delay_alu instid0(VALU_DEP_3) | instskip(SKIP_1) | instid1(VALU_DEP_4)
	v_lshlrev_b32_e32 v7, 31, v7
	v_alignbit_b32 v12, v9, v12, 9
	v_add_nc_u32_e32 v6, v11, v6
	s_delay_alu instid0(VALU_DEP_4) | instskip(NEXT) | instid1(VALU_DEP_3)
	v_clz_i32_u32_e32 v13, v10
	v_or_b32_e32 v12, v12, v7
	v_or_b32_e32 v7, 0x33800000, v7
	s_delay_alu instid0(VALU_DEP_3) | instskip(NEXT) | instid1(VALU_DEP_3)
	v_min_u32_e32 v13, 32, v13
	v_xor_b32_e32 v12, 1.0, v12
	s_delay_alu instid0(VALU_DEP_2) | instskip(SKIP_1) | instid1(VALU_DEP_3)
	v_sub_nc_u32_e32 v14, 31, v13
	v_add_lshl_u32 v9, v13, v9, 23
	v_mul_f32_e32 v13, 0x3fc90fda, v12
	s_delay_alu instid0(VALU_DEP_3) | instskip(NEXT) | instid1(VALU_DEP_3)
	v_alignbit_b32 v5, v10, v5, v14
	v_sub_nc_u32_e32 v7, v7, v9
	s_delay_alu instid0(VALU_DEP_3) | instskip(NEXT) | instid1(VALU_DEP_3)
	v_fma_f32 v9, 0x3fc90fda, v12, -v13
	v_lshrrev_b32_e32 v5, 9, v5
	s_delay_alu instid0(VALU_DEP_2) | instskip(NEXT) | instid1(VALU_DEP_2)
	v_fmamk_f32 v9, v12, 0x33a22168, v9
	v_or_b32_e32 v5, v7, v5
	s_delay_alu instid0(VALU_DEP_1) | instskip(NEXT) | instid1(VALU_DEP_1)
	v_fmac_f32_e32 v9, 0x3fc90fda, v5
	v_add_f32_e32 v5, v13, v9
	s_or_saveexec_b32 s0, s5
	v_mul_f32_e64 v10, 0x3f22f983, |v2|
	s_xor_b32 exec_lo, exec_lo, s0
	s_branch .LBB14_55
.LBB14_54:
	s_or_saveexec_b32 s0, s5
	v_mul_f32_e64 v10, 0x3f22f983, |v2|
	s_xor_b32 exec_lo, exec_lo, s0
.LBB14_55:
	s_delay_alu instid0(VALU_DEP_1) | instskip(NEXT) | instid1(VALU_DEP_1)
	v_rndne_f32_e32 v6, v10
	v_fma_f32 v5, 0xbfc90fda, v6, |v2|
	s_delay_alu instid0(VALU_DEP_1) | instskip(NEXT) | instid1(VALU_DEP_1)
	v_fmamk_f32 v5, v6, 0xb3a22168, v5
	v_fmamk_f32 v5, v6, 0xa7c234c4, v5
	v_cvt_i32_f32_e32 v6, v6
; %bb.56:
	s_or_b32 exec_lo, exec_lo, s0
                                        ; implicit-def: $vgpr9
                                        ; implicit-def: $vgpr7
	s_and_saveexec_b32 s0, s4
	s_delay_alu instid0(SALU_CYCLE_1)
	s_xor_b32 s4, exec_lo, s0
	s_cbranch_execz .LBB14_58
; %bb.57:
	s_mov_b32 s0, 0x7fffff
	v_mov_b32_e32 v11, 0
	v_and_or_b32 v18, v3, s0, 0x800000
	s_delay_alu instid0(VALU_DEP_1) | instskip(NEXT) | instid1(VALU_DEP_1)
	v_mad_u64_u32 v[9:10], null, 0xfe5163ab, v18, 0
	v_mad_u64_u32 v[12:13], null, 0x3c439041, v18, v[10:11]
	s_delay_alu instid0(VALU_DEP_1) | instskip(NEXT) | instid1(VALU_DEP_1)
	v_mov_b32_e32 v10, v13
	v_mad_u64_u32 v[13:14], null, 0xdb629599, v18, v[10:11]
	s_delay_alu instid0(VALU_DEP_1) | instskip(NEXT) | instid1(VALU_DEP_1)
	v_mov_b32_e32 v10, v14
	v_mad_u64_u32 v[14:15], null, 0xf534ddc0, v18, v[10:11]
	s_delay_alu instid0(VALU_DEP_1) | instskip(NEXT) | instid1(VALU_DEP_1)
	v_dual_mov_b32 v10, v15 :: v_dual_add_nc_u32 v15, 0xffffff88, v8
	v_mad_u64_u32 v[7:8], null, 0xfc2757d1, v18, v[10:11]
	s_delay_alu instid0(VALU_DEP_2) | instskip(SKIP_1) | instid1(VALU_DEP_3)
	v_cmp_lt_u32_e32 vcc_lo, 63, v15
	v_cndmask_b32_e64 v16, 0, 0xffffffc0, vcc_lo
	v_dual_mov_b32 v10, v8 :: v_dual_cndmask_b32 v9, v13, v9
	s_delay_alu instid0(VALU_DEP_2) | instskip(NEXT) | instid1(VALU_DEP_2)
	v_add_nc_u32_e32 v8, v16, v15
	v_mad_u64_u32 v[15:16], null, 0x4e441529, v18, v[10:11]
	s_delay_alu instid0(VALU_DEP_2) | instskip(NEXT) | instid1(VALU_DEP_2)
	v_cmp_lt_u32_e64 s0, 31, v8
	v_mov_b32_e32 v10, v16
	s_delay_alu instid0(VALU_DEP_2) | instskip(NEXT) | instid1(VALU_DEP_1)
	v_cndmask_b32_e64 v17, 0, 0xffffffe0, s0
	v_add_nc_u32_e32 v8, v17, v8
	s_delay_alu instid0(VALU_DEP_3) | instskip(SKIP_1) | instid1(VALU_DEP_3)
	v_mad_u64_u32 v[16:17], null, 0xa2f9836e, v18, v[10:11]
	v_cndmask_b32_e32 v11, v15, v14, vcc_lo
	v_cmp_lt_u32_e64 s1, 31, v8
	s_delay_alu instid0(VALU_DEP_3) | instskip(NEXT) | instid1(VALU_DEP_2)
	v_cndmask_b32_e32 v16, v16, v7, vcc_lo
	v_cndmask_b32_e64 v10, 0, 0xffffffe0, s1
	v_cndmask_b32_e32 v15, v17, v15, vcc_lo
	s_delay_alu instid0(VALU_DEP_2) | instskip(SKIP_2) | instid1(VALU_DEP_4)
	v_dual_cndmask_b32 v7, v7, v13 :: v_dual_add_nc_u32 v8, v10, v8
	v_cndmask_b32_e32 v10, v14, v12, vcc_lo
	v_cndmask_b32_e64 v12, v16, v11, s0
	v_cndmask_b32_e64 v14, v15, v16, s0
	s_delay_alu instid0(VALU_DEP_4)
	v_cndmask_b32_e64 v11, v11, v7, s0
	v_sub_nc_u32_e32 v15, 32, v8
	v_cndmask_b32_e64 v7, v7, v10, s0
	v_cmp_eq_u32_e64 s2, 0, v8
	v_cndmask_b32_e64 v14, v14, v12, s1
	v_cndmask_b32_e64 v12, v12, v11, s1
	;; [unrolled: 1-line block ×4, first 2 shown]
	s_delay_alu instid0(VALU_DEP_3) | instskip(NEXT) | instid1(VALU_DEP_3)
	v_alignbit_b32 v16, v14, v12, v15
	v_cndmask_b32_e64 v7, v7, v9, s1
	s_delay_alu instid0(VALU_DEP_3) | instskip(NEXT) | instid1(VALU_DEP_3)
	v_alignbit_b32 v17, v12, v11, v15
	v_cndmask_b32_e64 v8, v16, v14, s2
	;; [unrolled: 3-line block ×3, first 2 shown]
	s_delay_alu instid0(VALU_DEP_3) | instskip(NEXT) | instid1(VALU_DEP_3)
	v_bfe_u32 v13, v8, 29, 1
	v_cndmask_b32_e64 v11, v15, v11, s2
	s_delay_alu instid0(VALU_DEP_3) | instskip(NEXT) | instid1(VALU_DEP_3)
	v_alignbit_b32 v10, v8, v12, 30
	v_sub_nc_u32_e32 v14, 0, v13
	s_delay_alu instid0(VALU_DEP_3) | instskip(SKIP_1) | instid1(VALU_DEP_3)
	v_alignbit_b32 v12, v12, v11, 30
	v_alignbit_b32 v7, v11, v7, 30
	v_xor_b32_e32 v9, v10, v14
	v_cmp_ne_u32_e32 vcc_lo, v10, v14
	s_delay_alu instid0(VALU_DEP_4) | instskip(NEXT) | instid1(VALU_DEP_4)
	v_xor_b32_e32 v11, v12, v14
	v_xor_b32_e32 v7, v7, v14
	s_delay_alu instid0(VALU_DEP_4) | instskip(NEXT) | instid1(VALU_DEP_1)
	v_clz_i32_u32_e32 v16, v9
	v_add_nc_u32_e32 v15, 1, v16
	s_delay_alu instid0(VALU_DEP_1) | instskip(NEXT) | instid1(VALU_DEP_1)
	v_cndmask_b32_e32 v10, 33, v15, vcc_lo
	v_sub_nc_u32_e32 v12, 32, v10
	s_delay_alu instid0(VALU_DEP_1) | instskip(SKIP_3) | instid1(VALU_DEP_3)
	v_alignbit_b32 v9, v9, v11, v12
	v_alignbit_b32 v7, v11, v7, v12
	v_lshrrev_b32_e32 v11, 29, v8
	v_lshrrev_b32_e32 v8, 30, v8
	v_alignbit_b32 v12, v9, v7, 9
	s_delay_alu instid0(VALU_DEP_3) | instskip(SKIP_1) | instid1(VALU_DEP_3)
	v_lshlrev_b32_e32 v11, 31, v11
	v_alignbit_b32 v9, v10, v9, 9
	v_clz_i32_u32_e32 v14, v12
	s_delay_alu instid0(VALU_DEP_2) | instskip(SKIP_1) | instid1(VALU_DEP_3)
	v_or_b32_e32 v9, v9, v11
	v_or_b32_e32 v11, 0x33800000, v11
	v_min_u32_e32 v14, 32, v14
	s_delay_alu instid0(VALU_DEP_3) | instskip(NEXT) | instid1(VALU_DEP_2)
	v_xor_b32_e32 v9, 1.0, v9
	v_sub_nc_u32_e32 v15, 31, v14
	v_add_lshl_u32 v10, v14, v10, 23
	s_delay_alu instid0(VALU_DEP_3) | instskip(NEXT) | instid1(VALU_DEP_3)
	v_mul_f32_e32 v14, 0x3fc90fda, v9
	v_alignbit_b32 v7, v12, v7, v15
	s_delay_alu instid0(VALU_DEP_3) | instskip(NEXT) | instid1(VALU_DEP_3)
	v_sub_nc_u32_e32 v10, v11, v10
	v_fma_f32 v11, 0x3fc90fda, v9, -v14
	s_delay_alu instid0(VALU_DEP_3) | instskip(NEXT) | instid1(VALU_DEP_2)
	v_lshrrev_b32_e32 v7, 9, v7
	v_fmamk_f32 v9, v9, 0x33a22168, v11
	s_delay_alu instid0(VALU_DEP_2) | instskip(NEXT) | instid1(VALU_DEP_1)
	v_or_b32_e32 v7, v10, v7
                                        ; implicit-def: $vgpr10
	v_fmac_f32_e32 v9, 0x3fc90fda, v7
	s_delay_alu instid0(VALU_DEP_1)
	v_add_f32_e32 v7, v14, v9
	v_add_nc_u32_e32 v9, v13, v8
	s_and_not1_saveexec_b32 s0, s4
	s_cbranch_execnz .LBB14_59
	s_branch .LBB14_60
.LBB14_58:
	s_and_not1_saveexec_b32 s0, s4
.LBB14_59:
	v_rndne_f32_e32 v8, v10
	s_delay_alu instid0(VALU_DEP_1) | instskip(SKIP_1) | instid1(VALU_DEP_2)
	v_fma_f32 v7, 0xbfc90fda, v8, |v2|
	v_cvt_i32_f32_e32 v9, v8
	v_fmamk_f32 v7, v8, 0xb3a22168, v7
	s_delay_alu instid0(VALU_DEP_1)
	v_fmamk_f32 v7, v8, 0xa7c234c4, v7
.LBB14_60:
	s_or_b32 exec_lo, exec_lo, s0
	v_div_scale_f32 v8, null, v42, v42, 0x40a00000
	v_div_scale_f32 v12, vcc_lo, 0x40a00000, v42, 0x40a00000
	s_mov_b32 s0, 0xb94c1982
	s_delay_alu instid0(VALU_DEP_2) | instskip(SKIP_4) | instid1(VALU_DEP_1)
	v_rcp_f32_e32 v10, v8
	s_mov_b32 s1, 0x37d75334
	v_xor_b32_e32 v3, v3, v2
	s_waitcnt_depctr 0xfff
	v_fma_f32 v11, -v8, v10, 1.0
	v_fmac_f32_e32 v10, v11, v10
	s_delay_alu instid0(VALU_DEP_1) | instskip(NEXT) | instid1(VALU_DEP_1)
	v_mul_f32_e32 v11, v12, v10
	v_fma_f32 v13, -v8, v11, v12
	s_delay_alu instid0(VALU_DEP_1) | instskip(SKIP_1) | instid1(VALU_DEP_2)
	v_fmac_f32_e32 v11, v13, v10
	v_mul_f32_e32 v13, v7, v7
	v_fma_f32 v8, -v8, v11, v12
	s_delay_alu instid0(VALU_DEP_2) | instskip(NEXT) | instid1(VALU_DEP_2)
	v_fmaak_f32 v22, s0, v13, 0x3c0881c4
	v_div_fmas_f32 v8, v8, v10, v11
	v_mul_f32_e32 v10, v5, v5
	s_delay_alu instid0(VALU_DEP_3) | instskip(NEXT) | instid1(VALU_DEP_3)
	v_fmaak_f32 v22, v13, v22, 0xbe2aaa9d
	v_div_fixup_f32 v8, v8, v42, 0x40a00000
	s_delay_alu instid0(VALU_DEP_3)
	v_fmaak_f32 v20, s0, v10, 0x3c0881c4
	v_fmaak_f32 v21, s1, v10, 0xbab64f3b
	;; [unrolled: 1-line block ×3, first 2 shown]
	v_cmp_gt_f32_e64 s0, 0xf800000, v42
	v_dual_mul_f32 v12, v8, v8 :: v_dual_and_b32 v11, 1, v6
	v_lshlrev_b32_e32 v6, 30, v6
	v_and_b32_e32 v14, 1, v9
	s_delay_alu instid0(VALU_DEP_3)
	v_dual_fmaak_f32 v18, 0, v12, 0x42947983 :: v_dual_lshlrev_b32 v9, 30, v9
	v_fmaak_f32 v15, 0, v12, 0x3d513fd3
	v_fmaak_f32 v16, 0, v12, 0x3a15c4d9
	;; [unrolled: 1-line block ×7, first 2 shown]
	v_dual_fmaak_f32 v17, v12, v17, 0x3d95ca45 :: v_dual_mul_f32 v22, v13, v22
	v_fmaak_f32 v16, v12, v16, 0x3d8cfeeb
	v_mul_f32_e32 v20, v10, v20
	v_fmaak_f32 v18, v12, v18, 0x44840e5d
	v_fmaak_f32 v15, v12, v15, 0x4297a5cd
	v_fmaak_f32 v17, v12, v17, 0x3f9047f6
	v_dual_fmac_f32 v7, v7, v22 :: v_dual_fmaak_f32 v16, v12, v16, 0x3f8d754e
	s_delay_alu instid0(VALU_DEP_4) | instskip(NEXT) | instid1(VALU_DEP_4)
	v_dual_fmac_f32 v5, v5, v20 :: v_dual_fmaak_f32 v18, v12, v18, 0x459bd349
	v_fmaak_f32 v15, v12, v15, 0x43b763ca
	s_delay_alu instid0(VALU_DEP_4) | instskip(NEXT) | instid1(VALU_DEP_4)
	v_fmaak_f32 v17, v12, v17, 0x40a39628
	v_fmaak_f32 v16, v12, v16, 0x40a25d18
	;; [unrolled: 1-line block ×12, first 2 shown]
	v_fma_f32 v10, v10, v21, 1.0
	v_fmaak_f32 v18, v12, v18, 0x4530a316
	v_fmaak_f32 v15, v12, v15, 0x4353b052
	v_fma_f32 v17, v12, v17, 1.0
	v_fma_f32 v16, v12, v16, 1.0
	v_fma_f32 v13, v13, v23, 1.0
	v_fmaak_f32 v18, v12, v18, 0x43a80bfb
	v_fmaak_f32 v12, v12, v15, 0x41c9a7fa
	v_cmp_eq_u32_e64 s2, 0, v11
	v_div_scale_f32 v15, null, v16, v16, v17
	v_div_scale_f32 v30, vcc_lo, v17, v16, v17
	s_delay_alu instid0(VALU_DEP_4) | instskip(NEXT) | instid1(VALU_DEP_3)
	v_div_scale_f32 v24, null, v18, v18, v12
	v_rcp_f32_e32 v25, v15
	v_cndmask_b32_e64 v5, v10, v5, s2
	v_cmp_eq_u32_e64 s2, 0, v14
	s_delay_alu instid0(VALU_DEP_3) | instskip(SKIP_2) | instid1(VALU_DEP_3)
	v_rcp_f32_e32 v26, v24
	v_and_b32_e32 v6, 0x80000000, v6
	v_and_b32_e32 v9, 0x80000000, v9
	v_cndmask_b32_e64 v7, -v7, v13, s2
	s_delay_alu instid0(VALU_DEP_3) | instskip(NEXT) | instid1(TRANS32_DEP_2)
	v_xor3_b32 v3, v3, v6, v5
	v_fma_f32 v28, -v15, v25, 1.0
	s_delay_alu instid0(VALU_DEP_3) | instskip(NEXT) | instid1(TRANS32_DEP_1)
	v_xor_b32_e32 v7, v9, v7
	v_fma_f32 v29, -v24, v26, 1.0
	s_delay_alu instid0(VALU_DEP_3) | instskip(SKIP_2) | instid1(VALU_DEP_4)
	v_fmac_f32_e32 v25, v28, v25
	v_mul_f32_e32 v19, 0x4f800000, v42
	v_div_scale_f32 v28, s1, v12, v18, v12
	v_fmac_f32_e32 v26, v29, v26
	s_delay_alu instid0(VALU_DEP_4) | instskip(NEXT) | instid1(VALU_DEP_4)
	v_mul_f32_e32 v20, v30, v25
	v_cndmask_b32_e64 v19, v42, v19, s0
	s_delay_alu instid0(VALU_DEP_3) | instskip(NEXT) | instid1(VALU_DEP_3)
	v_mul_f32_e32 v21, v28, v26
	v_fma_f32 v23, -v15, v20, v30
	s_delay_alu instid0(VALU_DEP_3) | instskip(NEXT) | instid1(VALU_DEP_2)
	v_sqrt_f32_e32 v27, v19
	v_fma_f32 v31, -v24, v21, v28
	s_delay_alu instid0(VALU_DEP_2) | instskip(NEXT) | instid1(VALU_DEP_2)
	v_fmac_f32_e32 v20, v23, v25
	v_fmac_f32_e32 v21, v31, v26
	s_delay_alu instid0(VALU_DEP_2)
	v_fma_f32 v13, -v15, v20, v30
	s_waitcnt_depctr 0xfff
	v_add_nc_u32_e32 v22, -1, v27
	v_add_nc_u32_e32 v29, 1, v27
	v_fma_f32 v5, -v24, v21, v28
	v_div_fmas_f32 v6, v13, v25, v20
	s_delay_alu instid0(VALU_DEP_4)
	v_fma_f32 v10, -v22, v27, v19
	s_mov_b32 vcc_lo, s1
	v_fma_f32 v11, -v29, v27, v19
	v_div_fmas_f32 v5, v5, v26, v21
	v_div_fixup_f32 v6, v6, v16, v17
	v_cmp_ge_f32_e32 vcc_lo, 0, v10
	s_delay_alu instid0(VALU_DEP_4) | instskip(SKIP_3) | instid1(VALU_DEP_3)
	v_cmp_lt_f32_e64 s1, 0, v11
	v_cndmask_b32_e32 v9, v27, v22, vcc_lo
	v_cmp_class_f32_e64 vcc_lo, v2, 0x1f8
	v_div_fixup_f32 v2, v5, v18, v12
	v_cndmask_b32_e64 v5, v9, v29, s1
	s_delay_alu instid0(VALU_DEP_2) | instskip(SKIP_2) | instid1(VALU_DEP_4)
	v_dual_cndmask_b32 v7, 0x7fc00000, v7 :: v_dual_mul_f32 v2, v8, v2
	v_cndmask_b32_e32 v3, 0x7fc00000, v3, vcc_lo
	v_cmp_class_f32_e64 vcc_lo, v19, 0x260
	v_mul_f32_e32 v8, 0x37800000, v5
	s_delay_alu instid0(VALU_DEP_4) | instskip(NEXT) | instid1(VALU_DEP_2)
	v_mul_f32_e32 v2, v2, v7
	v_cndmask_b32_e64 v5, v5, v8, s0
	s_delay_alu instid0(VALU_DEP_2) | instskip(NEXT) | instid1(VALU_DEP_1)
	v_fmac_f32_e32 v2, v6, v3
	v_dual_cndmask_b32 v3, v5, v19 :: v_dual_mul_f32 v2, 0x3f4c422a, v2
	s_delay_alu instid0(VALU_DEP_1) | instskip(NEXT) | instid1(VALU_DEP_1)
	v_div_scale_f32 v5, null, v3, v3, v2
	v_rcp_f32_e32 v6, v5
	s_waitcnt_depctr 0xfff
	v_fma_f32 v7, -v5, v6, 1.0
	s_delay_alu instid0(VALU_DEP_1) | instskip(SKIP_1) | instid1(VALU_DEP_1)
	v_fmac_f32_e32 v6, v7, v6
	v_div_scale_f32 v7, vcc_lo, v2, v3, v2
	v_mul_f32_e32 v8, v7, v6
	s_delay_alu instid0(VALU_DEP_1) | instskip(NEXT) | instid1(VALU_DEP_1)
	v_fma_f32 v9, -v5, v8, v7
	v_fmac_f32_e32 v8, v9, v6
	s_delay_alu instid0(VALU_DEP_1) | instskip(NEXT) | instid1(VALU_DEP_1)
	v_fma_f32 v5, -v5, v8, v7
	v_div_fmas_f32 v5, v5, v6, v8
	s_delay_alu instid0(VALU_DEP_1)
	v_div_fixup_f32 v58, v5, v3, v2
.LBB14_61:
	s_or_b32 exec_lo, exec_lo, s3
.LBB14_62:
	s_delay_alu instid0(SALU_CYCLE_1) | instskip(SKIP_2) | instid1(VALU_DEP_1)
	s_or_b32 exec_lo, exec_lo, s37
	v_add_nc_u32_e32 v2, 0x300, v47
	s_mov_b32 s37, exec_lo
	v_cmpx_lt_i32_e64 v2, v4
	s_cbranch_execz .LBB14_72
; %bb.63:
	s_mov_b32 s0, exec_lo
	s_waitcnt vmcnt(0) lgkmcnt(0)
	v_cmpx_ge_f32_e32 0x40a00000, v41
	s_xor_b32 s38, exec_lo, s0
	s_cbranch_execz .LBB14_69
; %bb.64:
	v_mov_b32_e32 v59, 0xff800000
	s_mov_b32 s39, exec_lo
	v_cmpx_neq_f32_e32 0, v41
	s_cbranch_execz .LBB14_68
; %bb.65:
	v_mov_b32_e32 v59, 0x7fc00000
	s_mov_b32 s40, exec_lo
	v_cmpx_nge_f32_e32 0, v41
	s_cbranch_execz .LBB14_67
; %bb.66:
	v_mul_f32_e32 v2, v41, v41
	s_getpc_b64 s[0:1]
	s_add_u32 s0, s0, _Z17bessel_j1_forwardIfET_S0_@rel32@lo+4
	s_addc_u32 s1, s1, _Z17bessel_j1_forwardIfET_S0_@rel32@hi+12
	v_dual_mov_b32 v43, v1 :: v_dual_mov_b32 v42, v0
	v_dual_mov_b32 v0, v41 :: v_dual_fmaak_f32 v3, 0, v2, 0x4414934d
	v_dual_fmaak_f32 v5, 0, v2, 0x4e9695f3 :: v_dual_mov_b32 v44, v4
	s_delay_alu instid0(VALU_DEP_2) | instskip(NEXT) | instid1(VALU_DEP_2)
	v_fmaak_f32 v3, v2, v3, 0x48660b06
	v_fmaak_f32 v5, v2, v5, 0xd316b96b
	s_delay_alu instid0(VALU_DEP_2) | instskip(NEXT) | instid1(VALU_DEP_2)
	v_fmaak_f32 v3, v2, v3, 0x4c8c277d
	v_fmaak_f32 v5, v2, v5, 0x56d04aa6
	;; [unrolled: 3-line block ×5, first 2 shown]
	s_delay_alu instid0(VALU_DEP_2) | instskip(NEXT) | instid1(VALU_DEP_1)
	v_fmaak_f32 v3, v2, v3, 0x5b741f1e
	v_fmaak_f32 v2, v2, v3, 0x5e5c878d
	s_delay_alu instid0(VALU_DEP_1) | instskip(SKIP_1) | instid1(VALU_DEP_2)
	v_div_scale_f32 v3, null, v2, v2, v5
	v_div_scale_f32 v8, vcc_lo, v5, v2, v5
	v_rcp_f32_e32 v6, v3
	s_waitcnt_depctr 0xfff
	v_fma_f32 v7, -v3, v6, 1.0
	s_delay_alu instid0(VALU_DEP_1) | instskip(NEXT) | instid1(VALU_DEP_1)
	v_fmac_f32_e32 v6, v7, v6
	v_mul_f32_e32 v7, v8, v6
	s_delay_alu instid0(VALU_DEP_1) | instskip(NEXT) | instid1(VALU_DEP_1)
	v_fma_f32 v9, -v3, v7, v8
	v_fmac_f32_e32 v7, v9, v6
	s_delay_alu instid0(VALU_DEP_1) | instskip(NEXT) | instid1(VALU_DEP_1)
	v_fma_f32 v3, -v3, v7, v8
	v_div_fmas_f32 v3, v3, v6, v7
	s_delay_alu instid0(VALU_DEP_1)
	v_div_fixup_f32 v46, v3, v2, v5
	s_swappc_b64 s[30:31], s[0:1]
	v_cmp_gt_f32_e32 vcc_lo, 0x800000, v41
	v_div_scale_f32 v3, null, v41, v41, -1.0
	v_div_scale_f32 v8, s0, -1.0, v41, -1.0
	v_cndmask_b32_e64 v5, 1.0, 0x4f800000, vcc_lo
	v_mov_b32_e32 v2, v0
	s_delay_alu instid0(VALU_DEP_4) | instskip(SKIP_1) | instid1(VALU_DEP_3)
	v_rcp_f32_e32 v6, v3
	v_dual_mov_b32 v4, v44 :: v_dual_mov_b32 v1, v43
	v_mul_f32_e32 v5, v41, v5
	s_delay_alu instid0(VALU_DEP_1) | instskip(SKIP_3) | instid1(VALU_DEP_1)
	v_log_f32_e32 v5, v5
	v_mov_b32_e32 v0, v42
	s_waitcnt_depctr 0xfff
	v_fma_f32 v7, -v3, v6, 1.0
	v_dual_fmac_f32 v6, v7, v6 :: v_dual_mul_f32 v7, 0x3f317217, v5
	v_cmp_gt_f32_e64 s1, 0x7f800000, |v5|
	s_delay_alu instid0(VALU_DEP_2) | instskip(NEXT) | instid1(VALU_DEP_1)
	v_fma_f32 v10, 0x3f317217, v5, -v7
	v_fmamk_f32 v10, v5, 0x3377d1cf, v10
	s_delay_alu instid0(VALU_DEP_1) | instskip(NEXT) | instid1(VALU_DEP_1)
	v_add_f32_e32 v7, v7, v10
	v_cndmask_b32_e64 v5, v5, v7, s1
	v_cndmask_b32_e64 v7, 0, 0x41b17218, vcc_lo
	s_mov_b32 vcc_lo, s0
	s_delay_alu instid0(VALU_DEP_1) | instskip(SKIP_1) | instid1(VALU_DEP_1)
	v_sub_f32_e32 v5, v5, v7
	v_mul_f32_e32 v9, v8, v6
	v_fma_f32 v11, -v3, v9, v8
	s_delay_alu instid0(VALU_DEP_1) | instskip(NEXT) | instid1(VALU_DEP_1)
	v_fmac_f32_e32 v9, v11, v6
	v_fma_f32 v3, -v3, v9, v8
	s_delay_alu instid0(VALU_DEP_1) | instskip(NEXT) | instid1(VALU_DEP_1)
	v_div_fmas_f32 v3, v3, v6, v9
	v_div_fixup_f32 v3, v3, v41, -1.0
	s_delay_alu instid0(VALU_DEP_1) | instskip(NEXT) | instid1(VALU_DEP_1)
	v_fmac_f32_e32 v3, v5, v2
	v_mul_f32_e32 v59, 0x3f22f983, v3
	s_delay_alu instid0(VALU_DEP_1)
	v_fmac_f32_e32 v59, v41, v46
.LBB14_67:
	s_or_b32 exec_lo, exec_lo, s40
.LBB14_68:
	s_delay_alu instid0(SALU_CYCLE_1)
	s_or_b32 exec_lo, exec_lo, s39
                                        ; implicit-def: $vgpr41
.LBB14_69:
	s_and_not1_saveexec_b32 s3, s38
	s_cbranch_execz .LBB14_83
; %bb.70:
	v_add_f32_e32 v2, 0xc016cbe4, v41
                                        ; implicit-def: $vgpr6
                                        ; implicit-def: $vgpr5
	s_delay_alu instid0(VALU_DEP_1) | instskip(SKIP_1) | instid1(VALU_DEP_2)
	v_and_b32_e32 v3, 0x7fffffff, v2
	v_cmp_ngt_f32_e64 s4, 0x48000000, |v2|
	v_lshrrev_b32_e32 v8, 23, v3
	s_delay_alu instid0(VALU_DEP_2) | instskip(NEXT) | instid1(SALU_CYCLE_1)
	s_and_saveexec_b32 s0, s4
	s_xor_b32 s5, exec_lo, s0
	s_cbranch_execz .LBB14_76
; %bb.71:
	s_mov_b32 s0, 0x7fffff
	v_mov_b32_e32 v7, 0
	v_and_or_b32 v16, v3, s0, 0x800000
	v_add_nc_u32_e32 v14, 0xffffff88, v8
	s_delay_alu instid0(VALU_DEP_2) | instskip(NEXT) | instid1(VALU_DEP_2)
	v_mad_u64_u32 v[5:6], null, 0xfe5163ab, v16, 0
	v_cmp_lt_u32_e32 vcc_lo, 63, v14
	v_cndmask_b32_e64 v15, 0, 0xffffffc0, vcc_lo
	s_delay_alu instid0(VALU_DEP_3) | instskip(NEXT) | instid1(VALU_DEP_1)
	v_mad_u64_u32 v[9:10], null, 0x3c439041, v16, v[6:7]
	v_dual_mov_b32 v6, v10 :: v_dual_add_nc_u32 v15, v15, v14
	s_delay_alu instid0(VALU_DEP_1) | instskip(NEXT) | instid1(VALU_DEP_2)
	v_cmp_lt_u32_e64 s0, 31, v15
	v_mad_u64_u32 v[10:11], null, 0xdb629599, v16, v[6:7]
	s_delay_alu instid0(VALU_DEP_2) | instskip(NEXT) | instid1(VALU_DEP_1)
	v_cndmask_b32_e64 v17, 0, 0xffffffe0, s0
	v_dual_mov_b32 v6, v11 :: v_dual_add_nc_u32 v17, v17, v15
	s_delay_alu instid0(VALU_DEP_3) | instskip(NEXT) | instid1(VALU_DEP_2)
	v_cndmask_b32_e32 v5, v10, v5, vcc_lo
	v_cmp_lt_u32_e64 s1, 31, v17
	s_delay_alu instid0(VALU_DEP_3) | instskip(NEXT) | instid1(VALU_DEP_1)
	v_mad_u64_u32 v[11:12], null, 0xf534ddc0, v16, v[6:7]
	v_dual_mov_b32 v6, v12 :: v_dual_cndmask_b32 v9, v11, v9
	s_delay_alu instid0(VALU_DEP_1) | instskip(NEXT) | instid1(VALU_DEP_2)
	v_mad_u64_u32 v[12:13], null, 0xfc2757d1, v16, v[6:7]
	v_cndmask_b32_e64 v5, v9, v5, s0
	s_delay_alu instid0(VALU_DEP_2) | instskip(NEXT) | instid1(VALU_DEP_1)
	v_mov_b32_e32 v6, v13
	v_mad_u64_u32 v[13:14], null, 0x4e441529, v16, v[6:7]
	s_delay_alu instid0(VALU_DEP_1) | instskip(NEXT) | instid1(VALU_DEP_1)
	v_mov_b32_e32 v6, v14
	v_mad_u64_u32 v[14:15], null, 0xa2f9836e, v16, v[6:7]
	v_cndmask_b32_e64 v6, 0, 0xffffffe0, s1
	s_delay_alu instid0(VALU_DEP_1) | instskip(NEXT) | instid1(VALU_DEP_3)
	v_dual_cndmask_b32 v7, v13, v11 :: v_dual_add_nc_u32 v6, v6, v17
	v_dual_cndmask_b32 v14, v14, v12 :: v_dual_cndmask_b32 v13, v15, v13
	v_cndmask_b32_e32 v12, v12, v10, vcc_lo
	s_delay_alu instid0(VALU_DEP_3) | instskip(NEXT) | instid1(VALU_DEP_3)
	v_cmp_eq_u32_e64 s2, 0, v6
	v_cndmask_b32_e64 v11, v14, v7, s0
	s_delay_alu instid0(VALU_DEP_4) | instskip(NEXT) | instid1(VALU_DEP_4)
	v_cndmask_b32_e64 v13, v13, v14, s0
	v_cndmask_b32_e64 v7, v7, v12, s0
	v_sub_nc_u32_e32 v14, 32, v6
	v_cndmask_b32_e64 v12, v12, v9, s0
	s_delay_alu instid0(VALU_DEP_4) | instskip(NEXT) | instid1(VALU_DEP_4)
	v_cndmask_b32_e64 v13, v13, v11, s1
	v_cndmask_b32_e64 v11, v11, v7, s1
	s_delay_alu instid0(VALU_DEP_3) | instskip(SKIP_1) | instid1(VALU_DEP_3)
	v_cndmask_b32_e64 v7, v7, v12, s1
	v_cndmask_b32_e64 v5, v12, v5, s1
	v_alignbit_b32 v15, v13, v11, v14
	s_delay_alu instid0(VALU_DEP_3) | instskip(NEXT) | instid1(VALU_DEP_3)
	v_alignbit_b32 v16, v11, v7, v14
	v_alignbit_b32 v14, v7, v5, v14
	s_delay_alu instid0(VALU_DEP_3) | instskip(NEXT) | instid1(VALU_DEP_3)
	v_cndmask_b32_e64 v6, v15, v13, s2
	v_cndmask_b32_e64 v10, v16, v11, s2
	s_delay_alu instid0(VALU_DEP_3) | instskip(NEXT) | instid1(VALU_DEP_3)
	v_cndmask_b32_e64 v7, v14, v7, s2
	v_bfe_u32 v11, v6, 29, 1
	s_delay_alu instid0(VALU_DEP_3) | instskip(NEXT) | instid1(VALU_DEP_3)
	v_alignbit_b32 v9, v6, v10, 30
	v_alignbit_b32 v10, v10, v7, 30
	;; [unrolled: 1-line block ×3, first 2 shown]
	s_delay_alu instid0(VALU_DEP_4) | instskip(NEXT) | instid1(VALU_DEP_1)
	v_sub_nc_u32_e32 v13, 0, v11
	v_xor_b32_e32 v12, v9, v13
	v_cmp_ne_u32_e32 vcc_lo, v9, v13
	v_xor_b32_e32 v7, v10, v13
	v_xor_b32_e32 v5, v5, v13
	s_delay_alu instid0(VALU_DEP_4) | instskip(NEXT) | instid1(VALU_DEP_1)
	v_clz_i32_u32_e32 v15, v12
	v_add_nc_u32_e32 v14, 1, v15
	s_delay_alu instid0(VALU_DEP_1) | instskip(NEXT) | instid1(VALU_DEP_1)
	v_cndmask_b32_e32 v9, 33, v14, vcc_lo
	v_sub_nc_u32_e32 v10, 32, v9
	s_delay_alu instid0(VALU_DEP_1) | instskip(SKIP_3) | instid1(VALU_DEP_3)
	v_alignbit_b32 v12, v12, v7, v10
	v_alignbit_b32 v5, v7, v5, v10
	v_lshrrev_b32_e32 v7, 29, v6
	v_lshrrev_b32_e32 v6, 30, v6
	v_alignbit_b32 v10, v12, v5, 9
	s_delay_alu instid0(VALU_DEP_3) | instskip(SKIP_1) | instid1(VALU_DEP_4)
	v_lshlrev_b32_e32 v7, 31, v7
	v_alignbit_b32 v12, v9, v12, 9
	v_add_nc_u32_e32 v6, v11, v6
	s_delay_alu instid0(VALU_DEP_4) | instskip(NEXT) | instid1(VALU_DEP_3)
	v_clz_i32_u32_e32 v13, v10
	v_or_b32_e32 v12, v12, v7
	v_or_b32_e32 v7, 0x33800000, v7
	s_delay_alu instid0(VALU_DEP_3) | instskip(NEXT) | instid1(VALU_DEP_3)
	v_min_u32_e32 v13, 32, v13
	v_xor_b32_e32 v12, 1.0, v12
	s_delay_alu instid0(VALU_DEP_2) | instskip(SKIP_1) | instid1(VALU_DEP_3)
	v_sub_nc_u32_e32 v14, 31, v13
	v_add_lshl_u32 v9, v13, v9, 23
	v_mul_f32_e32 v13, 0x3fc90fda, v12
	s_delay_alu instid0(VALU_DEP_3) | instskip(NEXT) | instid1(VALU_DEP_3)
	v_alignbit_b32 v5, v10, v5, v14
	v_sub_nc_u32_e32 v7, v7, v9
	s_delay_alu instid0(VALU_DEP_3) | instskip(NEXT) | instid1(VALU_DEP_3)
	v_fma_f32 v9, 0x3fc90fda, v12, -v13
	v_lshrrev_b32_e32 v5, 9, v5
	s_delay_alu instid0(VALU_DEP_2) | instskip(NEXT) | instid1(VALU_DEP_2)
	v_fmamk_f32 v9, v12, 0x33a22168, v9
	v_or_b32_e32 v5, v7, v5
	s_delay_alu instid0(VALU_DEP_1) | instskip(NEXT) | instid1(VALU_DEP_1)
	v_fmac_f32_e32 v9, 0x3fc90fda, v5
	v_add_f32_e32 v5, v13, v9
	s_or_saveexec_b32 s0, s5
	v_mul_f32_e64 v10, 0x3f22f983, |v2|
	s_xor_b32 exec_lo, exec_lo, s0
	s_branch .LBB14_77
.LBB14_72:
	s_or_b32 exec_lo, exec_lo, s37
	s_and_saveexec_b32 s0, s35
	s_delay_alu instid0(SALU_CYCLE_1)
	s_xor_b32 s0, exec_lo, s0
	s_cbranch_execz .LBB14_84
.LBB14_73:
	v_dual_mov_b32 v46, 0 :: v_dual_mov_b32 v47, v60
	s_delay_alu instid0(VALU_DEP_1) | instskip(NEXT) | instid1(VALU_DEP_1)
	v_lshlrev_b64 v[2:3], 2, v[45:46]
	v_add_co_u32 v2, vcc_lo, v0, v2
	s_delay_alu instid0(VALU_DEP_2) | instskip(SKIP_2) | instid1(SALU_CYCLE_1)
	v_add_co_ci_u32_e32 v3, vcc_lo, v1, v3, vcc_lo
	flat_store_b32 v[2:3], v56
	s_or_b32 exec_lo, exec_lo, s0
	s_mov_b32 s0, exec_lo
	v_cmpx_lt_i32_e64 v47, v4
	s_cbranch_execnz .LBB14_85
.LBB14_74:
	s_or_b32 exec_lo, exec_lo, s0
	s_delay_alu instid0(SALU_CYCLE_1)
	s_mov_b32 s0, exec_lo
	v_cmpx_lt_i32_e64 v47, v4
	s_cbranch_execz .LBB14_86
.LBB14_75:
	v_dual_mov_b32 v3, 0 :: v_dual_add_nc_u32 v2, s36, v47
	v_add_nc_u32_e32 v47, 0x100, v47
	s_delay_alu instid0(VALU_DEP_2) | instskip(NEXT) | instid1(VALU_DEP_1)
	v_lshlrev_b64 v[2:3], 2, v[2:3]
	v_add_co_u32 v2, vcc_lo, v0, v2
	s_delay_alu instid0(VALU_DEP_2) | instskip(SKIP_2) | instid1(SALU_CYCLE_1)
	v_add_co_ci_u32_e32 v3, vcc_lo, v1, v3, vcc_lo
	flat_store_b32 v[2:3], v58
	s_or_b32 exec_lo, exec_lo, s0
	s_mov_b32 s0, exec_lo
	v_cmpx_lt_i32_e64 v47, v4
	s_cbranch_execnz .LBB14_87
	s_branch .LBB14_88
.LBB14_76:
	s_or_saveexec_b32 s0, s5
	v_mul_f32_e64 v10, 0x3f22f983, |v2|
	s_xor_b32 exec_lo, exec_lo, s0
.LBB14_77:
	s_delay_alu instid0(VALU_DEP_1) | instskip(NEXT) | instid1(VALU_DEP_1)
	v_rndne_f32_e32 v6, v10
	v_fma_f32 v5, 0xbfc90fda, v6, |v2|
	s_delay_alu instid0(VALU_DEP_1) | instskip(NEXT) | instid1(VALU_DEP_1)
	v_fmamk_f32 v5, v6, 0xb3a22168, v5
	v_fmamk_f32 v5, v6, 0xa7c234c4, v5
	v_cvt_i32_f32_e32 v6, v6
; %bb.78:
	s_or_b32 exec_lo, exec_lo, s0
                                        ; implicit-def: $vgpr9
                                        ; implicit-def: $vgpr7
	s_and_saveexec_b32 s0, s4
	s_delay_alu instid0(SALU_CYCLE_1)
	s_xor_b32 s4, exec_lo, s0
	s_cbranch_execz .LBB14_80
; %bb.79:
	s_mov_b32 s0, 0x7fffff
	v_mov_b32_e32 v11, 0
	v_and_or_b32 v18, v3, s0, 0x800000
	s_delay_alu instid0(VALU_DEP_1) | instskip(NEXT) | instid1(VALU_DEP_1)
	v_mad_u64_u32 v[9:10], null, 0xfe5163ab, v18, 0
	v_mad_u64_u32 v[12:13], null, 0x3c439041, v18, v[10:11]
	s_delay_alu instid0(VALU_DEP_1) | instskip(NEXT) | instid1(VALU_DEP_1)
	v_mov_b32_e32 v10, v13
	v_mad_u64_u32 v[13:14], null, 0xdb629599, v18, v[10:11]
	s_delay_alu instid0(VALU_DEP_1) | instskip(NEXT) | instid1(VALU_DEP_1)
	v_mov_b32_e32 v10, v14
	v_mad_u64_u32 v[14:15], null, 0xf534ddc0, v18, v[10:11]
	s_delay_alu instid0(VALU_DEP_1) | instskip(NEXT) | instid1(VALU_DEP_1)
	v_dual_mov_b32 v10, v15 :: v_dual_add_nc_u32 v15, 0xffffff88, v8
	v_mad_u64_u32 v[7:8], null, 0xfc2757d1, v18, v[10:11]
	s_delay_alu instid0(VALU_DEP_2) | instskip(SKIP_1) | instid1(VALU_DEP_3)
	v_cmp_lt_u32_e32 vcc_lo, 63, v15
	v_cndmask_b32_e64 v16, 0, 0xffffffc0, vcc_lo
	v_dual_mov_b32 v10, v8 :: v_dual_cndmask_b32 v9, v13, v9
	s_delay_alu instid0(VALU_DEP_2) | instskip(NEXT) | instid1(VALU_DEP_2)
	v_add_nc_u32_e32 v8, v16, v15
	v_mad_u64_u32 v[15:16], null, 0x4e441529, v18, v[10:11]
	s_delay_alu instid0(VALU_DEP_2) | instskip(NEXT) | instid1(VALU_DEP_2)
	v_cmp_lt_u32_e64 s0, 31, v8
	v_mov_b32_e32 v10, v16
	s_delay_alu instid0(VALU_DEP_2) | instskip(NEXT) | instid1(VALU_DEP_1)
	v_cndmask_b32_e64 v17, 0, 0xffffffe0, s0
	v_add_nc_u32_e32 v8, v17, v8
	s_delay_alu instid0(VALU_DEP_3) | instskip(SKIP_1) | instid1(VALU_DEP_3)
	v_mad_u64_u32 v[16:17], null, 0xa2f9836e, v18, v[10:11]
	v_cndmask_b32_e32 v11, v15, v14, vcc_lo
	v_cmp_lt_u32_e64 s1, 31, v8
	s_delay_alu instid0(VALU_DEP_3) | instskip(NEXT) | instid1(VALU_DEP_2)
	v_cndmask_b32_e32 v16, v16, v7, vcc_lo
	v_cndmask_b32_e64 v10, 0, 0xffffffe0, s1
	v_cndmask_b32_e32 v15, v17, v15, vcc_lo
	s_delay_alu instid0(VALU_DEP_2) | instskip(SKIP_2) | instid1(VALU_DEP_4)
	v_dual_cndmask_b32 v7, v7, v13 :: v_dual_add_nc_u32 v8, v10, v8
	v_cndmask_b32_e32 v10, v14, v12, vcc_lo
	v_cndmask_b32_e64 v12, v16, v11, s0
	v_cndmask_b32_e64 v14, v15, v16, s0
	s_delay_alu instid0(VALU_DEP_4)
	v_cndmask_b32_e64 v11, v11, v7, s0
	v_sub_nc_u32_e32 v15, 32, v8
	v_cndmask_b32_e64 v7, v7, v10, s0
	v_cmp_eq_u32_e64 s2, 0, v8
	v_cndmask_b32_e64 v14, v14, v12, s1
	v_cndmask_b32_e64 v12, v12, v11, s1
	;; [unrolled: 1-line block ×4, first 2 shown]
	s_delay_alu instid0(VALU_DEP_3) | instskip(NEXT) | instid1(VALU_DEP_3)
	v_alignbit_b32 v16, v14, v12, v15
	v_cndmask_b32_e64 v7, v7, v9, s1
	s_delay_alu instid0(VALU_DEP_3) | instskip(NEXT) | instid1(VALU_DEP_3)
	v_alignbit_b32 v17, v12, v11, v15
	v_cndmask_b32_e64 v8, v16, v14, s2
	;; [unrolled: 3-line block ×3, first 2 shown]
	s_delay_alu instid0(VALU_DEP_3) | instskip(NEXT) | instid1(VALU_DEP_3)
	v_bfe_u32 v13, v8, 29, 1
	v_cndmask_b32_e64 v11, v15, v11, s2
	s_delay_alu instid0(VALU_DEP_3) | instskip(NEXT) | instid1(VALU_DEP_3)
	v_alignbit_b32 v10, v8, v12, 30
	v_sub_nc_u32_e32 v14, 0, v13
	s_delay_alu instid0(VALU_DEP_3) | instskip(SKIP_1) | instid1(VALU_DEP_3)
	v_alignbit_b32 v12, v12, v11, 30
	v_alignbit_b32 v7, v11, v7, 30
	v_xor_b32_e32 v9, v10, v14
	v_cmp_ne_u32_e32 vcc_lo, v10, v14
	s_delay_alu instid0(VALU_DEP_4) | instskip(NEXT) | instid1(VALU_DEP_4)
	v_xor_b32_e32 v11, v12, v14
	v_xor_b32_e32 v7, v7, v14
	s_delay_alu instid0(VALU_DEP_4) | instskip(NEXT) | instid1(VALU_DEP_1)
	v_clz_i32_u32_e32 v16, v9
	v_add_nc_u32_e32 v15, 1, v16
	s_delay_alu instid0(VALU_DEP_1) | instskip(NEXT) | instid1(VALU_DEP_1)
	v_cndmask_b32_e32 v10, 33, v15, vcc_lo
	v_sub_nc_u32_e32 v12, 32, v10
	s_delay_alu instid0(VALU_DEP_1) | instskip(SKIP_3) | instid1(VALU_DEP_3)
	v_alignbit_b32 v9, v9, v11, v12
	v_alignbit_b32 v7, v11, v7, v12
	v_lshrrev_b32_e32 v11, 29, v8
	v_lshrrev_b32_e32 v8, 30, v8
	v_alignbit_b32 v12, v9, v7, 9
	s_delay_alu instid0(VALU_DEP_3) | instskip(SKIP_1) | instid1(VALU_DEP_3)
	v_lshlrev_b32_e32 v11, 31, v11
	v_alignbit_b32 v9, v10, v9, 9
	v_clz_i32_u32_e32 v14, v12
	s_delay_alu instid0(VALU_DEP_2) | instskip(SKIP_1) | instid1(VALU_DEP_3)
	v_or_b32_e32 v9, v9, v11
	v_or_b32_e32 v11, 0x33800000, v11
	v_min_u32_e32 v14, 32, v14
	s_delay_alu instid0(VALU_DEP_3) | instskip(NEXT) | instid1(VALU_DEP_2)
	v_xor_b32_e32 v9, 1.0, v9
	v_sub_nc_u32_e32 v15, 31, v14
	v_add_lshl_u32 v10, v14, v10, 23
	s_delay_alu instid0(VALU_DEP_3) | instskip(NEXT) | instid1(VALU_DEP_3)
	v_mul_f32_e32 v14, 0x3fc90fda, v9
	v_alignbit_b32 v7, v12, v7, v15
	s_delay_alu instid0(VALU_DEP_3) | instskip(NEXT) | instid1(VALU_DEP_3)
	v_sub_nc_u32_e32 v10, v11, v10
	v_fma_f32 v11, 0x3fc90fda, v9, -v14
	s_delay_alu instid0(VALU_DEP_3) | instskip(NEXT) | instid1(VALU_DEP_2)
	v_lshrrev_b32_e32 v7, 9, v7
	v_fmamk_f32 v9, v9, 0x33a22168, v11
	s_delay_alu instid0(VALU_DEP_2) | instskip(NEXT) | instid1(VALU_DEP_1)
	v_or_b32_e32 v7, v10, v7
                                        ; implicit-def: $vgpr10
	v_fmac_f32_e32 v9, 0x3fc90fda, v7
	s_delay_alu instid0(VALU_DEP_1)
	v_add_f32_e32 v7, v14, v9
	v_add_nc_u32_e32 v9, v13, v8
	s_and_not1_saveexec_b32 s0, s4
	s_cbranch_execnz .LBB14_81
	s_branch .LBB14_82
.LBB14_80:
	s_and_not1_saveexec_b32 s0, s4
.LBB14_81:
	v_rndne_f32_e32 v8, v10
	s_delay_alu instid0(VALU_DEP_1) | instskip(SKIP_1) | instid1(VALU_DEP_2)
	v_fma_f32 v7, 0xbfc90fda, v8, |v2|
	v_cvt_i32_f32_e32 v9, v8
	v_fmamk_f32 v7, v8, 0xb3a22168, v7
	s_delay_alu instid0(VALU_DEP_1)
	v_fmamk_f32 v7, v8, 0xa7c234c4, v7
.LBB14_82:
	s_or_b32 exec_lo, exec_lo, s0
	v_div_scale_f32 v8, null, v41, v41, 0x40a00000
	v_div_scale_f32 v12, vcc_lo, 0x40a00000, v41, 0x40a00000
	s_mov_b32 s0, 0xb94c1982
	s_delay_alu instid0(VALU_DEP_2) | instskip(SKIP_4) | instid1(VALU_DEP_1)
	v_rcp_f32_e32 v10, v8
	s_mov_b32 s1, 0x37d75334
	v_xor_b32_e32 v3, v3, v2
	s_waitcnt_depctr 0xfff
	v_fma_f32 v11, -v8, v10, 1.0
	v_fmac_f32_e32 v10, v11, v10
	s_delay_alu instid0(VALU_DEP_1) | instskip(NEXT) | instid1(VALU_DEP_1)
	v_mul_f32_e32 v11, v12, v10
	v_fma_f32 v13, -v8, v11, v12
	s_delay_alu instid0(VALU_DEP_1) | instskip(SKIP_1) | instid1(VALU_DEP_2)
	v_fmac_f32_e32 v11, v13, v10
	v_mul_f32_e32 v13, v7, v7
	v_fma_f32 v8, -v8, v11, v12
	s_delay_alu instid0(VALU_DEP_2) | instskip(NEXT) | instid1(VALU_DEP_2)
	v_fmaak_f32 v22, s0, v13, 0x3c0881c4
	v_div_fmas_f32 v8, v8, v10, v11
	v_mul_f32_e32 v10, v5, v5
	s_delay_alu instid0(VALU_DEP_3) | instskip(SKIP_1) | instid1(VALU_DEP_4)
	v_fmaak_f32 v22, v13, v22, 0xbe2aaa9d
	v_mul_f32_e32 v19, 0x4f800000, v41
	v_div_fixup_f32 v8, v8, v41, 0x40a00000
	s_delay_alu instid0(VALU_DEP_4) | instskip(SKIP_2) | instid1(VALU_DEP_4)
	v_fmaak_f32 v20, s0, v10, 0x3c0881c4
	v_cmp_gt_f32_e64 s0, 0xf800000, v41
	v_fmaak_f32 v21, s1, v10, 0xbab64f3b
	v_dual_fmaak_f32 v23, s1, v13, 0xbab64f3b :: v_dual_mul_f32 v12, v8, v8
	v_and_b32_e32 v11, 1, v6
	v_lshlrev_b32_e32 v6, 30, v6
	v_and_b32_e32 v14, 1, v9
	s_delay_alu instid0(VALU_DEP_4)
	v_dual_fmaak_f32 v18, 0, v12, 0x42947983 :: v_dual_lshlrev_b32 v9, 30, v9
	v_fmaak_f32 v16, 0, v12, 0x3a15c4d9
	v_fmaak_f32 v17, 0, v12, 0x3a47c962
	;; [unrolled: 1-line block ×7, first 2 shown]
	s_delay_alu instid0(VALU_DEP_4) | instskip(SKIP_3) | instid1(VALU_DEP_4)
	v_dual_fmaak_f32 v15, v12, v15, 0x409f6dae :: v_dual_mul_f32 v20, v10, v20
	v_mul_f32_e32 v22, v13, v22
	v_cndmask_b32_e64 v19, v41, v19, s0
	v_fmaak_f32 v16, v12, v16, 0x3d8cfeeb
	v_dual_fmaak_f32 v18, v12, v18, 0x44840e5d :: v_dual_fmac_f32 v5, v5, v20
	s_delay_alu instid0(VALU_DEP_4) | instskip(NEXT) | instid1(VALU_DEP_4)
	v_fmac_f32_e32 v7, v7, v22
	v_sqrt_f32_e32 v27, v19
	s_delay_alu instid0(VALU_DEP_3)
	v_fmaak_f32 v16, v12, v16, 0x3f8d754e
	v_fmaak_f32 v17, v12, v17, 0x3f9047f6
	;; [unrolled: 1-line block ×6, first 2 shown]
	v_cmp_eq_u32_e64 s2, 0, v11
	v_fmaak_f32 v18, v12, v18, 0x46156947
	v_fma_f32 v10, v10, v21, 1.0
	v_dual_fmaak_f32 v17, v12, v17, 0x40a39628 :: v_dual_add_nc_u32 v22, -1, v27
	v_fmaak_f32 v16, v12, v16, 0x410665cf
	s_delay_alu instid0(VALU_DEP_4)
	v_fmaak_f32 v18, v12, v18, 0x45f9e855
	v_fma_f32 v13, v13, v23, 1.0
	v_cndmask_b32_e64 v5, v10, v5, s2
	v_fmaak_f32 v17, v12, v17, 0x4106c8e4
	v_fmaak_f32 v16, v12, v16, 0x40a6b6ea
	;; [unrolled: 1-line block ×3, first 2 shown]
	v_cmp_eq_u32_e64 s2, 0, v14
	v_and_b32_e32 v6, 0x80000000, v6
	v_fmaak_f32 v17, v12, v17, 0x40a6dd51
	v_fma_f32 v16, v12, v16, 1.0
	v_fmaak_f32 v18, v12, v18, 0x43a80bfb
	v_cndmask_b32_e64 v7, -v7, v13, s2
	v_fma_f32 v10, -v22, v27, v19
	v_fma_f32 v17, v12, v17, 1.0
	v_xor3_b32 v3, v3, v6, v5
	v_and_b32_e32 v9, 0x80000000, v9
	s_delay_alu instid0(VALU_DEP_3) | instskip(SKIP_1) | instid1(VALU_DEP_3)
	v_div_scale_f32 v30, vcc_lo, v17, v16, v17
	v_fmaak_f32 v15, v12, v15, 0x4297a5cd
	v_xor_b32_e32 v7, v9, v7
	s_delay_alu instid0(VALU_DEP_2) | instskip(NEXT) | instid1(VALU_DEP_1)
	v_fmaak_f32 v15, v12, v15, 0x43b763ca
	v_fmaak_f32 v15, v12, v15, 0x4431b6ce
	s_delay_alu instid0(VALU_DEP_1) | instskip(NEXT) | instid1(VALU_DEP_1)
	v_fmaak_f32 v15, v12, v15, 0x44155f56
	v_fmaak_f32 v15, v12, v15, 0x4353b052
	s_delay_alu instid0(VALU_DEP_1) | instskip(SKIP_1) | instid1(VALU_DEP_2)
	v_fmaak_f32 v12, v12, v15, 0x41c9a7fa
	v_div_scale_f32 v15, null, v16, v16, v17
	v_div_scale_f32 v24, null, v18, v18, v12
	s_delay_alu instid0(VALU_DEP_2) | instskip(NEXT) | instid1(VALU_DEP_1)
	v_rcp_f32_e32 v25, v15
	v_rcp_f32_e32 v26, v24
	s_waitcnt_depctr 0xfff
	v_fma_f32 v28, -v15, v25, 1.0
	v_fma_f32 v29, -v24, v26, 1.0
	s_delay_alu instid0(VALU_DEP_2) | instskip(SKIP_1) | instid1(VALU_DEP_3)
	v_fmac_f32_e32 v25, v28, v25
	v_div_scale_f32 v28, s1, v12, v18, v12
	v_dual_fmac_f32 v26, v29, v26 :: v_dual_add_nc_u32 v29, 1, v27
	s_delay_alu instid0(VALU_DEP_1) | instskip(NEXT) | instid1(VALU_DEP_2)
	v_dual_mul_f32 v20, v30, v25 :: v_dual_mul_f32 v21, v28, v26
	v_fma_f32 v11, -v29, v27, v19
	s_delay_alu instid0(VALU_DEP_2) | instskip(NEXT) | instid1(VALU_DEP_3)
	v_fma_f32 v23, -v15, v20, v30
	v_fma_f32 v31, -v24, v21, v28
	s_delay_alu instid0(VALU_DEP_2) | instskip(NEXT) | instid1(VALU_DEP_2)
	v_fmac_f32_e32 v20, v23, v25
	v_fmac_f32_e32 v21, v31, v26
	s_delay_alu instid0(VALU_DEP_2) | instskip(NEXT) | instid1(VALU_DEP_2)
	v_fma_f32 v13, -v15, v20, v30
	v_fma_f32 v5, -v24, v21, v28
	s_delay_alu instid0(VALU_DEP_2) | instskip(SKIP_2) | instid1(VALU_DEP_3)
	v_div_fmas_f32 v6, v13, v25, v20
	s_mov_b32 vcc_lo, s1
	v_cmp_lt_f32_e64 s1, 0, v11
	v_div_fmas_f32 v5, v5, v26, v21
	v_cmp_ge_f32_e32 vcc_lo, 0, v10
	v_div_fixup_f32 v6, v6, v16, v17
	v_cndmask_b32_e32 v9, v27, v22, vcc_lo
	v_cmp_class_f32_e64 vcc_lo, v2, 0x1f8
	v_div_fixup_f32 v2, v5, v18, v12
	s_delay_alu instid0(VALU_DEP_3) | instskip(NEXT) | instid1(VALU_DEP_2)
	v_cndmask_b32_e64 v5, v9, v29, s1
	v_dual_cndmask_b32 v7, 0x7fc00000, v7 :: v_dual_mul_f32 v2, v8, v2
	v_cndmask_b32_e32 v3, 0x7fc00000, v3, vcc_lo
	v_cmp_class_f32_e64 vcc_lo, v19, 0x260
	s_delay_alu instid0(VALU_DEP_4) | instskip(NEXT) | instid1(VALU_DEP_4)
	v_mul_f32_e32 v8, 0x37800000, v5
	v_mul_f32_e32 v2, v2, v7
	s_delay_alu instid0(VALU_DEP_2) | instskip(NEXT) | instid1(VALU_DEP_2)
	v_cndmask_b32_e64 v5, v5, v8, s0
	v_fmac_f32_e32 v2, v6, v3
	s_delay_alu instid0(VALU_DEP_1) | instskip(NEXT) | instid1(VALU_DEP_1)
	v_dual_cndmask_b32 v3, v5, v19 :: v_dual_mul_f32 v2, 0x3f4c422a, v2
	v_div_scale_f32 v5, null, v3, v3, v2
	s_delay_alu instid0(VALU_DEP_1) | instskip(SKIP_2) | instid1(VALU_DEP_1)
	v_rcp_f32_e32 v6, v5
	s_waitcnt_depctr 0xfff
	v_fma_f32 v7, -v5, v6, 1.0
	v_fmac_f32_e32 v6, v7, v6
	v_div_scale_f32 v7, vcc_lo, v2, v3, v2
	s_delay_alu instid0(VALU_DEP_1) | instskip(NEXT) | instid1(VALU_DEP_1)
	v_mul_f32_e32 v8, v7, v6
	v_fma_f32 v9, -v5, v8, v7
	s_delay_alu instid0(VALU_DEP_1) | instskip(NEXT) | instid1(VALU_DEP_1)
	v_fmac_f32_e32 v8, v9, v6
	v_fma_f32 v5, -v5, v8, v7
	s_delay_alu instid0(VALU_DEP_1) | instskip(NEXT) | instid1(VALU_DEP_1)
	v_div_fmas_f32 v5, v5, v6, v8
	v_div_fixup_f32 v59, v5, v3, v2
.LBB14_83:
	s_or_b32 exec_lo, exec_lo, s3
	s_delay_alu instid0(SALU_CYCLE_1) | instskip(SKIP_1) | instid1(SALU_CYCLE_1)
	s_or_b32 exec_lo, exec_lo, s37
	s_and_saveexec_b32 s0, s35
	s_xor_b32 s0, exec_lo, s0
	s_cbranch_execnz .LBB14_73
.LBB14_84:
	s_or_b32 exec_lo, exec_lo, s0
	s_delay_alu instid0(SALU_CYCLE_1)
	s_mov_b32 s0, exec_lo
	v_cmpx_lt_i32_e64 v47, v4
	s_cbranch_execz .LBB14_74
.LBB14_85:
	v_dual_mov_b32 v3, 0 :: v_dual_add_nc_u32 v2, s36, v47
	v_add_nc_u32_e32 v47, 0x100, v47
	s_delay_alu instid0(VALU_DEP_2) | instskip(NEXT) | instid1(VALU_DEP_1)
	v_lshlrev_b64 v[2:3], 2, v[2:3]
	v_add_co_u32 v2, vcc_lo, v0, v2
	s_delay_alu instid0(VALU_DEP_2) | instskip(SKIP_2) | instid1(SALU_CYCLE_1)
	v_add_co_ci_u32_e32 v3, vcc_lo, v1, v3, vcc_lo
	flat_store_b32 v[2:3], v57
	s_or_b32 exec_lo, exec_lo, s0
	s_mov_b32 s0, exec_lo
	v_cmpx_lt_i32_e64 v47, v4
	s_cbranch_execnz .LBB14_75
.LBB14_86:
	s_or_b32 exec_lo, exec_lo, s0
	s_delay_alu instid0(SALU_CYCLE_1)
	s_mov_b32 s0, exec_lo
	v_cmpx_lt_i32_e64 v47, v4
	s_cbranch_execz .LBB14_88
.LBB14_87:
	v_dual_mov_b32 v3, 0 :: v_dual_add_nc_u32 v2, s36, v47
	s_delay_alu instid0(VALU_DEP_1) | instskip(NEXT) | instid1(VALU_DEP_1)
	v_lshlrev_b64 v[2:3], 2, v[2:3]
	v_add_co_u32 v0, vcc_lo, v0, v2
	s_delay_alu instid0(VALU_DEP_2)
	v_add_co_ci_u32_e32 v1, vcc_lo, v1, v3, vcc_lo
	flat_store_b32 v[0:1], v59
.LBB14_88:
	s_or_b32 exec_lo, exec_lo, s0
	s_clause 0x8
	scratch_load_b32 v61, off, s33
	scratch_load_b32 v60, off, s33 offset:4
	scratch_load_b32 v59, off, s33 offset:8
	;; [unrolled: 1-line block ×8, first 2 shown]
	s_waitcnt lgkmcnt(0)
	s_clause 0x4
	scratch_load_b32 v44, off, s33 offset:36
	scratch_load_b32 v43, off, s33 offset:40
	;; [unrolled: 1-line block ×5, first 2 shown]
	v_readlane_b32 s30, v62, 7
	v_readlane_b32 s31, v62, 8
	;; [unrolled: 1-line block ×10, first 2 shown]
	s_or_saveexec_b32 s1, -1
	scratch_load_b32 v62, off, s33 offset:56 ; 4-byte Folded Reload
	s_mov_b32 exec_lo, s1
	s_addk_i32 s32, 0xffc0
	s_mov_b32 s33, s0
	s_waitcnt vmcnt(0)
	s_setpc_b64 s[30:31]
.Lfunc_end14:
	.size	_ZN2at6native25elementwise_kernel_helperILb0EZZZNS0_12_GLOBAL__N_121bessel_y1_kernel_cudaERNS_18TensorIteratorBaseEENKUlvE_clEvENKUlvE0_clEvEUlfE_NS0_6memory8policies11unroll_baseILi256ESt5arrayIPcLm2EE23TrivialOffsetCalculatorILi1EjESF_NS8_15LoadWithoutCastENS8_16StoreWithoutCastELi4ELi1EEEEEvT0_T1_, .Lfunc_end14-_ZN2at6native25elementwise_kernel_helperILb0EZZZNS0_12_GLOBAL__N_121bessel_y1_kernel_cudaERNS_18TensorIteratorBaseEENKUlvE_clEvENKUlvE0_clEvEUlfE_NS0_6memory8policies11unroll_baseILi256ESt5arrayIPcLm2EE23TrivialOffsetCalculatorILi1EjESF_NS8_15LoadWithoutCastENS8_16StoreWithoutCastELi4ELi1EEEEEvT0_T1_
                                        ; -- End function
	.section	.AMDGPU.csdata,"",@progbits
; Function info:
; codeLenInByte = 14372
; NumSgprs: 43
; NumVgprs: 63
; ScratchSize: 80
; MemoryBound: 0
	.text
	.p2align	2                               ; -- Begin function _ZN2at6native25elementwise_kernel_helperILb0EZZZNS0_12_GLOBAL__N_121bessel_y1_kernel_cudaERNS_18TensorIteratorBaseEENKUlvE_clEvENKUlvE0_clEvEUlfE_NS0_6memory8policies10vectorizedILi4ESt5arrayIPcLm2EELi4EEEEEvT0_T1_
	.type	_ZN2at6native25elementwise_kernel_helperILb0EZZZNS0_12_GLOBAL__N_121bessel_y1_kernel_cudaERNS_18TensorIteratorBaseEENKUlvE_clEvENKUlvE0_clEvEUlfE_NS0_6memory8policies10vectorizedILi4ESt5arrayIPcLm2EELi4EEEEEvT0_T1_,@function
_ZN2at6native25elementwise_kernel_helperILb0EZZZNS0_12_GLOBAL__N_121bessel_y1_kernel_cudaERNS_18TensorIteratorBaseEENKUlvE_clEvENKUlvE0_clEvEUlfE_NS0_6memory8policies10vectorizedILi4ESt5arrayIPcLm2EELi4EEEEEvT0_T1_: ; @_ZN2at6native25elementwise_kernel_helperILb0EZZZNS0_12_GLOBAL__N_121bessel_y1_kernel_cudaERNS_18TensorIteratorBaseEENKUlvE_clEvENKUlvE0_clEvEUlfE_NS0_6memory8policies10vectorizedILi4ESt5arrayIPcLm2EELi4EEEEEvT0_T1_
; %bb.0:
	s_waitcnt vmcnt(0) expcnt(0) lgkmcnt(0)
	s_mov_b32 s0, s33
	s_mov_b32 s33, s32
	s_or_saveexec_b32 s1, -1
	scratch_store_b32 off, v60, s33 offset:48 ; 4-byte Folded Spill
	s_mov_b32 exec_lo, s1
	v_writelane_b32 v60, s0, 8
	s_add_i32 s32, s32, 64
	s_clause 0xb
	scratch_store_b32 off, v40, s33 offset:44
	; meta instruction
	scratch_store_b32 off, v41, s33 offset:40
	; meta instruction
	;; [unrolled: 2-line block ×11, first 2 shown]
	scratch_store_b32 off, v59, s33
	v_writelane_b32 v60, s34, 0
	v_writelane_b32 v60, s35, 1
	;; [unrolled: 1-line block ×8, first 2 shown]
	s_lshl_b32 s0, s12, 10
	v_dual_mov_b32 v45, v1 :: v_dual_mov_b32 v46, v0
	v_and_b32_e32 v0, 0x3ff, v31
	s_ashr_i32 s1, s0, 31
                                        ; implicit-def: $vgpr56
	s_delay_alu instid0(SALU_CYCLE_1) | instskip(SKIP_1) | instid1(VALU_DEP_1)
	s_lshl_b64 s[36:37], s[0:1], 2
	s_mov_b32 s0, exec_lo
	v_lshlrev_b32_e32 v47, 4, v0
	v_add_co_u32 v0, vcc_lo, v2, s36
	v_add_co_ci_u32_e32 v1, vcc_lo, s37, v3, vcc_lo
	s_delay_alu instid0(VALU_DEP_2) | instskip(NEXT) | instid1(VALU_DEP_2)
	v_add_co_u32 v0, vcc_lo, v0, v47
	v_add_co_ci_u32_e32 v1, vcc_lo, 0, v1, vcc_lo
	flat_load_b128 v[41:44], v[0:1]
	s_waitcnt vmcnt(0) lgkmcnt(0)
	v_cmpx_ge_f32_e32 0x40a00000, v41
	s_xor_b32 s35, exec_lo, s0
	s_cbranch_execz .LBB15_6
; %bb.1:
	v_mov_b32_e32 v56, 0xff800000
	s_mov_b32 s38, exec_lo
	v_cmpx_neq_f32_e32 0, v41
	s_cbranch_execz .LBB15_5
; %bb.2:
	v_mov_b32_e32 v56, 0x7fc00000
	s_mov_b32 s39, exec_lo
	v_cmpx_nge_f32_e32 0, v41
	s_cbranch_execz .LBB15_4
; %bb.3:
	v_mul_f32_e32 v0, v41, v41
	s_getpc_b64 s[0:1]
	s_add_u32 s0, s0, _Z17bessel_j1_forwardIfET_S0_@rel32@lo+4
	s_addc_u32 s1, s1, _Z17bessel_j1_forwardIfET_S0_@rel32@hi+12
	s_delay_alu instid0(VALU_DEP_1) | instskip(SKIP_1) | instid1(VALU_DEP_2)
	v_fmaak_f32 v1, 0, v0, 0x4414934d
	v_fmaak_f32 v2, 0, v0, 0x4e9695f3
	;; [unrolled: 1-line block ×3, first 2 shown]
	s_delay_alu instid0(VALU_DEP_2) | instskip(NEXT) | instid1(VALU_DEP_2)
	v_fmaak_f32 v2, v0, v2, 0xd316b96b
	v_fmaak_f32 v1, v0, v1, 0x4c8c277d
	s_delay_alu instid0(VALU_DEP_2) | instskip(NEXT) | instid1(VALU_DEP_2)
	v_fmaak_f32 v2, v0, v2, 0x56d04aa6
	v_fmaak_f32 v1, v0, v1, 0x508bc61d
	;; [unrolled: 3-line block ×5, first 2 shown]
	s_delay_alu instid0(VALU_DEP_1) | instskip(NEXT) | instid1(VALU_DEP_1)
	v_fmaak_f32 v0, v0, v1, 0x5e5c878d
	v_div_scale_f32 v1, null, v0, v0, v2
	v_div_scale_f32 v5, vcc_lo, v2, v0, v2
	s_delay_alu instid0(VALU_DEP_2) | instskip(SKIP_2) | instid1(VALU_DEP_1)
	v_rcp_f32_e32 v3, v1
	s_waitcnt_depctr 0xfff
	v_fma_f32 v4, -v1, v3, 1.0
	v_fmac_f32_e32 v3, v4, v3
	s_delay_alu instid0(VALU_DEP_1) | instskip(NEXT) | instid1(VALU_DEP_1)
	v_mul_f32_e32 v4, v5, v3
	v_fma_f32 v6, -v1, v4, v5
	s_delay_alu instid0(VALU_DEP_1) | instskip(NEXT) | instid1(VALU_DEP_1)
	v_fmac_f32_e32 v4, v6, v3
	v_fma_f32 v1, -v1, v4, v5
	s_delay_alu instid0(VALU_DEP_1) | instskip(NEXT) | instid1(VALU_DEP_1)
	v_div_fmas_f32 v1, v1, v3, v4
	v_div_fixup_f32 v57, v1, v0, v2
	v_mov_b32_e32 v0, v41
	s_swappc_b64 s[30:31], s[0:1]
	v_div_scale_f32 v1, null, v41, v41, -1.0
	v_cmp_gt_f32_e32 vcc_lo, 0x800000, v41
	v_div_scale_f32 v5, s0, -1.0, v41, -1.0
	s_delay_alu instid0(VALU_DEP_3) | instskip(SKIP_3) | instid1(VALU_DEP_1)
	v_rcp_f32_e32 v3, v1
	v_cndmask_b32_e64 v2, 1.0, 0x4f800000, vcc_lo
	s_waitcnt_depctr 0xfff
	v_fma_f32 v4, -v1, v3, 1.0
	v_dual_mul_f32 v2, v41, v2 :: v_dual_fmac_f32 v3, v4, v3
	s_delay_alu instid0(VALU_DEP_1) | instskip(SKIP_3) | instid1(VALU_DEP_2)
	v_log_f32_e32 v2, v2
	s_waitcnt_depctr 0xfff
	v_mul_f32_e32 v4, 0x3f317217, v2
	v_cmp_gt_f32_e64 s1, 0x7f800000, |v2|
	v_fma_f32 v7, 0x3f317217, v2, -v4
	s_delay_alu instid0(VALU_DEP_1) | instskip(NEXT) | instid1(VALU_DEP_1)
	v_dual_mul_f32 v6, v5, v3 :: v_dual_fmamk_f32 v7, v2, 0x3377d1cf, v7
	v_fma_f32 v8, -v1, v6, v5
	s_delay_alu instid0(VALU_DEP_2) | instskip(NEXT) | instid1(VALU_DEP_2)
	v_add_f32_e32 v4, v4, v7
	v_fmac_f32_e32 v6, v8, v3
	s_delay_alu instid0(VALU_DEP_2) | instskip(NEXT) | instid1(VALU_DEP_2)
	v_cndmask_b32_e64 v2, v2, v4, s1
	v_fma_f32 v1, -v1, v6, v5
	v_cndmask_b32_e64 v4, 0, 0x41b17218, vcc_lo
	s_mov_b32 vcc_lo, s0
	s_delay_alu instid0(VALU_DEP_2) | instskip(NEXT) | instid1(VALU_DEP_2)
	v_div_fmas_f32 v1, v1, v3, v6
	v_sub_f32_e32 v2, v2, v4
	s_delay_alu instid0(VALU_DEP_2) | instskip(NEXT) | instid1(VALU_DEP_1)
	v_div_fixup_f32 v1, v1, v41, -1.0
	v_fmac_f32_e32 v1, v2, v0
	s_delay_alu instid0(VALU_DEP_1) | instskip(NEXT) | instid1(VALU_DEP_1)
	v_mul_f32_e32 v56, 0x3f22f983, v1
	v_fmac_f32_e32 v56, v41, v57
.LBB15_4:
	s_or_b32 exec_lo, exec_lo, s39
.LBB15_5:
	s_delay_alu instid0(SALU_CYCLE_1)
	s_or_b32 exec_lo, exec_lo, s38
.LBB15_6:
	s_and_not1_saveexec_b32 s3, s35
	s_cbranch_execz .LBB15_16
; %bb.7:
	v_add_f32_e32 v0, 0xc016cbe4, v41
                                        ; implicit-def: $vgpr3
                                        ; implicit-def: $vgpr2
	s_delay_alu instid0(VALU_DEP_1) | instskip(SKIP_1) | instid1(VALU_DEP_2)
	v_and_b32_e32 v1, 0x7fffffff, v0
	v_cmp_ngt_f32_e64 s4, 0x48000000, |v0|
	v_lshrrev_b32_e32 v5, 23, v1
	s_delay_alu instid0(VALU_DEP_2) | instskip(NEXT) | instid1(SALU_CYCLE_1)
	s_and_saveexec_b32 s0, s4
	s_xor_b32 s5, exec_lo, s0
	s_cbranch_execz .LBB15_9
; %bb.8:
	s_mov_b32 s0, 0x7fffff
	v_mov_b32_e32 v4, 0
	v_and_or_b32 v13, v1, s0, 0x800000
	v_add_nc_u32_e32 v11, 0xffffff88, v5
	s_delay_alu instid0(VALU_DEP_2) | instskip(NEXT) | instid1(VALU_DEP_2)
	v_mad_u64_u32 v[2:3], null, 0xfe5163ab, v13, 0
	v_cmp_lt_u32_e32 vcc_lo, 63, v11
	v_cndmask_b32_e64 v12, 0, 0xffffffc0, vcc_lo
	s_delay_alu instid0(VALU_DEP_3) | instskip(NEXT) | instid1(VALU_DEP_1)
	v_mad_u64_u32 v[6:7], null, 0x3c439041, v13, v[3:4]
	v_dual_mov_b32 v3, v7 :: v_dual_add_nc_u32 v12, v12, v11
	s_delay_alu instid0(VALU_DEP_1) | instskip(NEXT) | instid1(VALU_DEP_2)
	v_cmp_lt_u32_e64 s0, 31, v12
	v_mad_u64_u32 v[7:8], null, 0xdb629599, v13, v[3:4]
	s_delay_alu instid0(VALU_DEP_2) | instskip(NEXT) | instid1(VALU_DEP_1)
	v_cndmask_b32_e64 v14, 0, 0xffffffe0, s0
	v_dual_mov_b32 v3, v8 :: v_dual_add_nc_u32 v14, v14, v12
	s_delay_alu instid0(VALU_DEP_3) | instskip(NEXT) | instid1(VALU_DEP_2)
	v_cndmask_b32_e32 v2, v7, v2, vcc_lo
	v_cmp_lt_u32_e64 s1, 31, v14
	s_delay_alu instid0(VALU_DEP_3) | instskip(NEXT) | instid1(VALU_DEP_1)
	v_mad_u64_u32 v[8:9], null, 0xf534ddc0, v13, v[3:4]
	v_dual_mov_b32 v3, v9 :: v_dual_cndmask_b32 v6, v8, v6
	s_delay_alu instid0(VALU_DEP_1) | instskip(NEXT) | instid1(VALU_DEP_2)
	v_mad_u64_u32 v[9:10], null, 0xfc2757d1, v13, v[3:4]
	v_cndmask_b32_e64 v2, v6, v2, s0
	s_delay_alu instid0(VALU_DEP_2) | instskip(NEXT) | instid1(VALU_DEP_1)
	v_mov_b32_e32 v3, v10
	v_mad_u64_u32 v[10:11], null, 0x4e441529, v13, v[3:4]
	s_delay_alu instid0(VALU_DEP_1) | instskip(NEXT) | instid1(VALU_DEP_1)
	v_mov_b32_e32 v3, v11
	v_mad_u64_u32 v[11:12], null, 0xa2f9836e, v13, v[3:4]
	v_cndmask_b32_e64 v3, 0, 0xffffffe0, s1
	s_delay_alu instid0(VALU_DEP_1) | instskip(NEXT) | instid1(VALU_DEP_3)
	v_dual_cndmask_b32 v4, v10, v8 :: v_dual_add_nc_u32 v3, v3, v14
	v_dual_cndmask_b32 v11, v11, v9 :: v_dual_cndmask_b32 v10, v12, v10
	v_cndmask_b32_e32 v9, v9, v7, vcc_lo
	s_delay_alu instid0(VALU_DEP_3) | instskip(NEXT) | instid1(VALU_DEP_3)
	v_cmp_eq_u32_e64 s2, 0, v3
	v_cndmask_b32_e64 v8, v11, v4, s0
	s_delay_alu instid0(VALU_DEP_4) | instskip(NEXT) | instid1(VALU_DEP_4)
	v_cndmask_b32_e64 v10, v10, v11, s0
	v_cndmask_b32_e64 v4, v4, v9, s0
	v_sub_nc_u32_e32 v11, 32, v3
	v_cndmask_b32_e64 v9, v9, v6, s0
	s_delay_alu instid0(VALU_DEP_4) | instskip(NEXT) | instid1(VALU_DEP_4)
	v_cndmask_b32_e64 v10, v10, v8, s1
	v_cndmask_b32_e64 v8, v8, v4, s1
	s_delay_alu instid0(VALU_DEP_3) | instskip(SKIP_1) | instid1(VALU_DEP_3)
	v_cndmask_b32_e64 v4, v4, v9, s1
	v_cndmask_b32_e64 v2, v9, v2, s1
	v_alignbit_b32 v12, v10, v8, v11
	s_delay_alu instid0(VALU_DEP_3) | instskip(NEXT) | instid1(VALU_DEP_3)
	v_alignbit_b32 v13, v8, v4, v11
	v_alignbit_b32 v11, v4, v2, v11
	s_delay_alu instid0(VALU_DEP_3) | instskip(NEXT) | instid1(VALU_DEP_3)
	v_cndmask_b32_e64 v3, v12, v10, s2
	v_cndmask_b32_e64 v7, v13, v8, s2
	s_delay_alu instid0(VALU_DEP_3) | instskip(NEXT) | instid1(VALU_DEP_3)
	v_cndmask_b32_e64 v4, v11, v4, s2
	v_bfe_u32 v8, v3, 29, 1
	s_delay_alu instid0(VALU_DEP_3) | instskip(NEXT) | instid1(VALU_DEP_3)
	v_alignbit_b32 v6, v3, v7, 30
	v_alignbit_b32 v7, v7, v4, 30
	;; [unrolled: 1-line block ×3, first 2 shown]
	s_delay_alu instid0(VALU_DEP_4) | instskip(NEXT) | instid1(VALU_DEP_1)
	v_sub_nc_u32_e32 v10, 0, v8
	v_xor_b32_e32 v9, v6, v10
	v_cmp_ne_u32_e32 vcc_lo, v6, v10
	v_xor_b32_e32 v4, v7, v10
	v_xor_b32_e32 v2, v2, v10
	s_delay_alu instid0(VALU_DEP_4) | instskip(NEXT) | instid1(VALU_DEP_1)
	v_clz_i32_u32_e32 v12, v9
	v_add_nc_u32_e32 v11, 1, v12
	s_delay_alu instid0(VALU_DEP_1) | instskip(NEXT) | instid1(VALU_DEP_1)
	v_cndmask_b32_e32 v6, 33, v11, vcc_lo
	v_sub_nc_u32_e32 v7, 32, v6
	s_delay_alu instid0(VALU_DEP_1) | instskip(SKIP_3) | instid1(VALU_DEP_3)
	v_alignbit_b32 v9, v9, v4, v7
	v_alignbit_b32 v2, v4, v2, v7
	v_lshrrev_b32_e32 v4, 29, v3
	v_lshrrev_b32_e32 v3, 30, v3
	v_alignbit_b32 v7, v9, v2, 9
	s_delay_alu instid0(VALU_DEP_3) | instskip(SKIP_1) | instid1(VALU_DEP_4)
	v_lshlrev_b32_e32 v4, 31, v4
	v_alignbit_b32 v9, v6, v9, 9
	v_add_nc_u32_e32 v3, v8, v3
	s_delay_alu instid0(VALU_DEP_4) | instskip(NEXT) | instid1(VALU_DEP_3)
	v_clz_i32_u32_e32 v10, v7
	v_or_b32_e32 v9, v9, v4
	v_or_b32_e32 v4, 0x33800000, v4
	s_delay_alu instid0(VALU_DEP_3) | instskip(NEXT) | instid1(VALU_DEP_3)
	v_min_u32_e32 v10, 32, v10
	v_xor_b32_e32 v9, 1.0, v9
	s_delay_alu instid0(VALU_DEP_2) | instskip(SKIP_1) | instid1(VALU_DEP_3)
	v_sub_nc_u32_e32 v11, 31, v10
	v_add_lshl_u32 v6, v10, v6, 23
	v_mul_f32_e32 v10, 0x3fc90fda, v9
	s_delay_alu instid0(VALU_DEP_3) | instskip(NEXT) | instid1(VALU_DEP_3)
	v_alignbit_b32 v2, v7, v2, v11
	v_sub_nc_u32_e32 v4, v4, v6
	s_delay_alu instid0(VALU_DEP_3) | instskip(NEXT) | instid1(VALU_DEP_3)
	v_fma_f32 v6, 0x3fc90fda, v9, -v10
	v_lshrrev_b32_e32 v2, 9, v2
	s_delay_alu instid0(VALU_DEP_2) | instskip(NEXT) | instid1(VALU_DEP_2)
	v_fmamk_f32 v6, v9, 0x33a22168, v6
	v_or_b32_e32 v2, v4, v2
	s_delay_alu instid0(VALU_DEP_1) | instskip(NEXT) | instid1(VALU_DEP_1)
	v_fmac_f32_e32 v6, 0x3fc90fda, v2
	v_add_f32_e32 v2, v10, v6
	s_or_saveexec_b32 s0, s5
	v_mul_f32_e64 v7, 0x3f22f983, |v0|
	s_xor_b32 exec_lo, exec_lo, s0
	s_branch .LBB15_10
.LBB15_9:
	s_or_saveexec_b32 s0, s5
	v_mul_f32_e64 v7, 0x3f22f983, |v0|
	s_xor_b32 exec_lo, exec_lo, s0
.LBB15_10:
	s_delay_alu instid0(VALU_DEP_1) | instskip(NEXT) | instid1(VALU_DEP_1)
	v_rndne_f32_e32 v3, v7
	v_fma_f32 v2, 0xbfc90fda, v3, |v0|
	s_delay_alu instid0(VALU_DEP_1) | instskip(NEXT) | instid1(VALU_DEP_1)
	v_fmamk_f32 v2, v3, 0xb3a22168, v2
	v_fmamk_f32 v2, v3, 0xa7c234c4, v2
	v_cvt_i32_f32_e32 v3, v3
; %bb.11:
	s_or_b32 exec_lo, exec_lo, s0
                                        ; implicit-def: $vgpr6
                                        ; implicit-def: $vgpr4
	s_and_saveexec_b32 s0, s4
	s_delay_alu instid0(SALU_CYCLE_1)
	s_xor_b32 s4, exec_lo, s0
	s_cbranch_execz .LBB15_13
; %bb.12:
	s_mov_b32 s0, 0x7fffff
	v_mov_b32_e32 v8, 0
	v_and_or_b32 v15, v1, s0, 0x800000
	s_delay_alu instid0(VALU_DEP_1) | instskip(NEXT) | instid1(VALU_DEP_1)
	v_mad_u64_u32 v[6:7], null, 0xfe5163ab, v15, 0
	v_mad_u64_u32 v[9:10], null, 0x3c439041, v15, v[7:8]
	s_delay_alu instid0(VALU_DEP_1) | instskip(NEXT) | instid1(VALU_DEP_1)
	v_mov_b32_e32 v7, v10
	v_mad_u64_u32 v[10:11], null, 0xdb629599, v15, v[7:8]
	s_delay_alu instid0(VALU_DEP_1) | instskip(NEXT) | instid1(VALU_DEP_1)
	v_mov_b32_e32 v7, v11
	v_mad_u64_u32 v[11:12], null, 0xf534ddc0, v15, v[7:8]
	s_delay_alu instid0(VALU_DEP_1) | instskip(NEXT) | instid1(VALU_DEP_1)
	v_dual_mov_b32 v7, v12 :: v_dual_add_nc_u32 v12, 0xffffff88, v5
	v_mad_u64_u32 v[4:5], null, 0xfc2757d1, v15, v[7:8]
	s_delay_alu instid0(VALU_DEP_2) | instskip(SKIP_1) | instid1(VALU_DEP_3)
	v_cmp_lt_u32_e32 vcc_lo, 63, v12
	v_cndmask_b32_e64 v13, 0, 0xffffffc0, vcc_lo
	v_dual_mov_b32 v7, v5 :: v_dual_cndmask_b32 v6, v10, v6
	s_delay_alu instid0(VALU_DEP_2) | instskip(NEXT) | instid1(VALU_DEP_2)
	v_add_nc_u32_e32 v5, v13, v12
	v_mad_u64_u32 v[12:13], null, 0x4e441529, v15, v[7:8]
	s_delay_alu instid0(VALU_DEP_2) | instskip(NEXT) | instid1(VALU_DEP_2)
	v_cmp_lt_u32_e64 s0, 31, v5
	v_mov_b32_e32 v7, v13
	s_delay_alu instid0(VALU_DEP_2) | instskip(NEXT) | instid1(VALU_DEP_1)
	v_cndmask_b32_e64 v14, 0, 0xffffffe0, s0
	v_add_nc_u32_e32 v5, v14, v5
	s_delay_alu instid0(VALU_DEP_3) | instskip(SKIP_1) | instid1(VALU_DEP_3)
	v_mad_u64_u32 v[13:14], null, 0xa2f9836e, v15, v[7:8]
	v_cndmask_b32_e32 v8, v12, v11, vcc_lo
	v_cmp_lt_u32_e64 s1, 31, v5
	s_delay_alu instid0(VALU_DEP_3) | instskip(NEXT) | instid1(VALU_DEP_2)
	v_cndmask_b32_e32 v13, v13, v4, vcc_lo
	v_cndmask_b32_e64 v7, 0, 0xffffffe0, s1
	v_cndmask_b32_e32 v12, v14, v12, vcc_lo
	s_delay_alu instid0(VALU_DEP_2) | instskip(SKIP_2) | instid1(VALU_DEP_4)
	v_dual_cndmask_b32 v4, v4, v10 :: v_dual_add_nc_u32 v5, v7, v5
	v_cndmask_b32_e32 v7, v11, v9, vcc_lo
	v_cndmask_b32_e64 v9, v13, v8, s0
	v_cndmask_b32_e64 v11, v12, v13, s0
	s_delay_alu instid0(VALU_DEP_4)
	v_cndmask_b32_e64 v8, v8, v4, s0
	v_sub_nc_u32_e32 v12, 32, v5
	v_cndmask_b32_e64 v4, v4, v7, s0
	v_cmp_eq_u32_e64 s2, 0, v5
	v_cndmask_b32_e64 v11, v11, v9, s1
	v_cndmask_b32_e64 v9, v9, v8, s1
	v_cndmask_b32_e64 v6, v7, v6, s0
	v_cndmask_b32_e64 v8, v8, v4, s1
	s_delay_alu instid0(VALU_DEP_3) | instskip(NEXT) | instid1(VALU_DEP_3)
	v_alignbit_b32 v13, v11, v9, v12
	v_cndmask_b32_e64 v4, v4, v6, s1
	s_delay_alu instid0(VALU_DEP_3) | instskip(NEXT) | instid1(VALU_DEP_3)
	v_alignbit_b32 v14, v9, v8, v12
	v_cndmask_b32_e64 v5, v13, v11, s2
	;; [unrolled: 3-line block ×3, first 2 shown]
	s_delay_alu instid0(VALU_DEP_3) | instskip(NEXT) | instid1(VALU_DEP_3)
	v_bfe_u32 v10, v5, 29, 1
	v_cndmask_b32_e64 v8, v12, v8, s2
	s_delay_alu instid0(VALU_DEP_3) | instskip(NEXT) | instid1(VALU_DEP_3)
	v_alignbit_b32 v7, v5, v9, 30
	v_sub_nc_u32_e32 v11, 0, v10
	s_delay_alu instid0(VALU_DEP_3) | instskip(SKIP_1) | instid1(VALU_DEP_3)
	v_alignbit_b32 v9, v9, v8, 30
	v_alignbit_b32 v4, v8, v4, 30
	v_xor_b32_e32 v6, v7, v11
	v_cmp_ne_u32_e32 vcc_lo, v7, v11
	s_delay_alu instid0(VALU_DEP_4) | instskip(NEXT) | instid1(VALU_DEP_4)
	v_xor_b32_e32 v8, v9, v11
	v_xor_b32_e32 v4, v4, v11
	s_delay_alu instid0(VALU_DEP_4) | instskip(NEXT) | instid1(VALU_DEP_1)
	v_clz_i32_u32_e32 v13, v6
	v_add_nc_u32_e32 v12, 1, v13
	s_delay_alu instid0(VALU_DEP_1) | instskip(NEXT) | instid1(VALU_DEP_1)
	v_cndmask_b32_e32 v7, 33, v12, vcc_lo
	v_sub_nc_u32_e32 v9, 32, v7
	s_delay_alu instid0(VALU_DEP_1) | instskip(SKIP_3) | instid1(VALU_DEP_3)
	v_alignbit_b32 v6, v6, v8, v9
	v_alignbit_b32 v4, v8, v4, v9
	v_lshrrev_b32_e32 v8, 29, v5
	v_lshrrev_b32_e32 v5, 30, v5
	v_alignbit_b32 v9, v6, v4, 9
	s_delay_alu instid0(VALU_DEP_3) | instskip(SKIP_1) | instid1(VALU_DEP_3)
	v_lshlrev_b32_e32 v8, 31, v8
	v_alignbit_b32 v6, v7, v6, 9
	v_clz_i32_u32_e32 v11, v9
	s_delay_alu instid0(VALU_DEP_2) | instskip(SKIP_1) | instid1(VALU_DEP_3)
	v_or_b32_e32 v6, v6, v8
	v_or_b32_e32 v8, 0x33800000, v8
	v_min_u32_e32 v11, 32, v11
	s_delay_alu instid0(VALU_DEP_3) | instskip(NEXT) | instid1(VALU_DEP_2)
	v_xor_b32_e32 v6, 1.0, v6
	v_sub_nc_u32_e32 v12, 31, v11
	v_add_lshl_u32 v7, v11, v7, 23
	s_delay_alu instid0(VALU_DEP_3) | instskip(NEXT) | instid1(VALU_DEP_3)
	v_mul_f32_e32 v11, 0x3fc90fda, v6
	v_alignbit_b32 v4, v9, v4, v12
	s_delay_alu instid0(VALU_DEP_3) | instskip(NEXT) | instid1(VALU_DEP_3)
	v_sub_nc_u32_e32 v7, v8, v7
	v_fma_f32 v8, 0x3fc90fda, v6, -v11
	s_delay_alu instid0(VALU_DEP_3) | instskip(NEXT) | instid1(VALU_DEP_2)
	v_lshrrev_b32_e32 v4, 9, v4
	v_fmamk_f32 v6, v6, 0x33a22168, v8
	s_delay_alu instid0(VALU_DEP_2) | instskip(NEXT) | instid1(VALU_DEP_1)
	v_or_b32_e32 v4, v7, v4
                                        ; implicit-def: $vgpr7
	v_fmac_f32_e32 v6, 0x3fc90fda, v4
	s_delay_alu instid0(VALU_DEP_1)
	v_add_f32_e32 v4, v11, v6
	v_add_nc_u32_e32 v6, v10, v5
	s_and_not1_saveexec_b32 s0, s4
	s_cbranch_execnz .LBB15_14
	s_branch .LBB15_15
.LBB15_13:
	s_and_not1_saveexec_b32 s0, s4
.LBB15_14:
	v_rndne_f32_e32 v5, v7
	s_delay_alu instid0(VALU_DEP_1) | instskip(SKIP_1) | instid1(VALU_DEP_2)
	v_fma_f32 v4, 0xbfc90fda, v5, |v0|
	v_cvt_i32_f32_e32 v6, v5
	v_fmamk_f32 v4, v5, 0xb3a22168, v4
	s_delay_alu instid0(VALU_DEP_1)
	v_fmamk_f32 v4, v5, 0xa7c234c4, v4
.LBB15_15:
	s_or_b32 exec_lo, exec_lo, s0
	v_div_scale_f32 v5, null, v41, v41, 0x40a00000
	v_div_scale_f32 v9, vcc_lo, 0x40a00000, v41, 0x40a00000
	s_mov_b32 s0, 0xb94c1982
	s_delay_alu instid0(VALU_DEP_2) | instskip(SKIP_4) | instid1(VALU_DEP_1)
	v_rcp_f32_e32 v7, v5
	s_mov_b32 s1, 0x37d75334
	v_xor_b32_e32 v1, v1, v0
	s_waitcnt_depctr 0xfff
	v_fma_f32 v8, -v5, v7, 1.0
	v_fmac_f32_e32 v7, v8, v7
	s_delay_alu instid0(VALU_DEP_1) | instskip(NEXT) | instid1(VALU_DEP_1)
	v_mul_f32_e32 v8, v9, v7
	v_fma_f32 v10, -v5, v8, v9
	s_delay_alu instid0(VALU_DEP_1) | instskip(SKIP_1) | instid1(VALU_DEP_2)
	v_fmac_f32_e32 v8, v10, v7
	v_mul_f32_e32 v10, v4, v4
	v_fma_f32 v5, -v5, v8, v9
	s_delay_alu instid0(VALU_DEP_2) | instskip(SKIP_1) | instid1(VALU_DEP_3)
	v_fmaak_f32 v19, s0, v10, 0x3c0881c4
	v_fmaak_f32 v20, s1, v10, 0xbab64f3b
	v_div_fmas_f32 v5, v5, v7, v8
	v_mul_f32_e32 v7, v2, v2
	s_delay_alu instid0(VALU_DEP_4)
	v_fmaak_f32 v19, v10, v19, 0xbe2aaa9d
	v_mul_f32_e32 v16, 0x4f800000, v41
	v_fmaak_f32 v20, v10, v20, 0x3d2aabf7
	v_div_fixup_f32 v5, v5, v41, 0x40a00000
	v_fmaak_f32 v17, s0, v7, 0x3c0881c4
	v_cmp_gt_f32_e64 s0, 0xf800000, v41
	v_fmaak_f32 v18, s1, v7, 0xbab64f3b
	v_mul_f32_e32 v19, v10, v19
	v_dual_mul_f32 v9, v5, v5 :: v_dual_and_b32 v8, 1, v3
	v_lshlrev_b32_e32 v3, 30, v3
	v_and_b32_e32 v11, 1, v6
	v_cndmask_b32_e64 v16, v41, v16, s0
	s_delay_alu instid0(VALU_DEP_4) | instskip(SKIP_3) | instid1(VALU_DEP_4)
	v_fmaak_f32 v14, 0, v9, 0x3a47c962
	v_fmaak_f32 v13, 0, v9, 0x3a15c4d9
	;; [unrolled: 1-line block ×3, first 2 shown]
	v_dual_fmaak_f32 v15, 0, v9, 0x42947983 :: v_dual_lshlrev_b32 v6, 30, v6
	v_fmaak_f32 v14, v9, v14, 0x3d95ca45
	s_delay_alu instid0(VALU_DEP_4) | instskip(SKIP_2) | instid1(VALU_DEP_3)
	v_dual_fmaak_f32 v13, v9, v13, 0x3d8cfeeb :: v_dual_fmac_f32 v4, v4, v19
	v_sqrt_f32_e32 v24, v16
	v_fmaak_f32 v17, v7, v17, 0xbe2aaa9d
	v_fmaak_f32 v14, v9, v14, 0x3f9047f6
	s_delay_alu instid0(VALU_DEP_3)
	v_fmaak_f32 v13, v9, v13, 0x3f8d754e
	v_fmaak_f32 v12, v9, v12, 0x409f6dae
	;; [unrolled: 1-line block ×3, first 2 shown]
	v_mul_f32_e32 v17, v7, v17
	v_fmaak_f32 v15, v9, v15, 0x44840e5d
	v_fmaak_f32 v20, v10, v20, 0xbf000004
	v_cmp_eq_u32_e64 s2, 0, v8
	v_fmaak_f32 v18, v7, v18, 0xbf000004
	v_fmac_f32_e32 v2, v2, v17
	v_fmaak_f32 v13, v9, v13, 0x40a25d18
	v_fmaak_f32 v15, v9, v15, 0x459bd349
	v_fma_f32 v10, v10, v20, 1.0
	v_fma_f32 v7, v7, v18, 1.0
	v_and_b32_e32 v3, 0x80000000, v3
	v_dual_fmaak_f32 v14, v9, v14, 0x40a39628 :: v_dual_add_nc_u32 v19, -1, v24
	v_fmaak_f32 v13, v9, v13, 0x410665cf
	v_fmaak_f32 v15, v9, v15, 0x46156947
	v_cndmask_b32_e64 v2, v7, v2, s2
	v_cmp_eq_u32_e64 s2, 0, v11
	v_fmaak_f32 v14, v9, v14, 0x4106c8e4
	v_fmaak_f32 v13, v9, v13, 0x40a6b6ea
	;; [unrolled: 1-line block ×3, first 2 shown]
	v_fma_f32 v7, -v19, v24, v16
	v_cndmask_b32_e64 v4, -v4, v10, s2
	v_fmaak_f32 v14, v9, v14, 0x40a6dd51
	v_fma_f32 v13, v9, v13, 1.0
	v_fmaak_f32 v15, v9, v15, 0x4530a316
	v_xor3_b32 v1, v1, v3, v2
	v_and_b32_e32 v6, 0x80000000, v6
	v_fma_f32 v14, v9, v14, 1.0
	s_delay_alu instid0(VALU_DEP_4) | instskip(NEXT) | instid1(VALU_DEP_3)
	v_fmaak_f32 v15, v9, v15, 0x43a80bfb
	v_xor_b32_e32 v4, v6, v4
	s_delay_alu instid0(VALU_DEP_3) | instskip(SKIP_1) | instid1(VALU_DEP_1)
	v_div_scale_f32 v27, vcc_lo, v14, v13, v14
	v_fmaak_f32 v12, v9, v12, 0x4297a5cd
	v_fmaak_f32 v12, v9, v12, 0x43b763ca
	s_delay_alu instid0(VALU_DEP_1) | instskip(NEXT) | instid1(VALU_DEP_1)
	v_fmaak_f32 v12, v9, v12, 0x4431b6ce
	v_fmaak_f32 v12, v9, v12, 0x44155f56
	s_delay_alu instid0(VALU_DEP_1) | instskip(NEXT) | instid1(VALU_DEP_1)
	v_fmaak_f32 v12, v9, v12, 0x4353b052
	v_fmaak_f32 v9, v9, v12, 0x41c9a7fa
	v_div_scale_f32 v12, null, v13, v13, v14
	s_delay_alu instid0(VALU_DEP_2) | instskip(NEXT) | instid1(VALU_DEP_2)
	v_div_scale_f32 v21, null, v15, v15, v9
	v_rcp_f32_e32 v22, v12
	s_delay_alu instid0(VALU_DEP_1) | instskip(SKIP_3) | instid1(VALU_DEP_2)
	v_rcp_f32_e32 v23, v21
	s_waitcnt_depctr 0xfff
	v_fma_f32 v25, -v12, v22, 1.0
	v_fma_f32 v26, -v21, v23, 1.0
	v_fmac_f32_e32 v22, v25, v22
	v_div_scale_f32 v25, s1, v9, v15, v9
	s_delay_alu instid0(VALU_DEP_3) | instskip(NEXT) | instid1(VALU_DEP_1)
	v_dual_fmac_f32 v23, v26, v23 :: v_dual_add_nc_u32 v26, 1, v24
	v_dual_mul_f32 v17, v27, v22 :: v_dual_mul_f32 v18, v25, v23
	s_delay_alu instid0(VALU_DEP_2) | instskip(NEXT) | instid1(VALU_DEP_2)
	v_fma_f32 v8, -v26, v24, v16
	v_fma_f32 v20, -v12, v17, v27
	s_delay_alu instid0(VALU_DEP_3) | instskip(NEXT) | instid1(VALU_DEP_2)
	v_fma_f32 v28, -v21, v18, v25
	v_fmac_f32_e32 v17, v20, v22
	s_delay_alu instid0(VALU_DEP_2) | instskip(NEXT) | instid1(VALU_DEP_2)
	v_fmac_f32_e32 v18, v28, v23
	v_fma_f32 v10, -v12, v17, v27
	s_delay_alu instid0(VALU_DEP_2) | instskip(NEXT) | instid1(VALU_DEP_2)
	v_fma_f32 v2, -v21, v18, v25
	v_div_fmas_f32 v3, v10, v22, v17
	s_mov_b32 vcc_lo, s1
	v_cmp_lt_f32_e64 s1, 0, v8
	s_delay_alu instid0(VALU_DEP_3)
	v_div_fmas_f32 v2, v2, v23, v18
	v_cmp_ge_f32_e32 vcc_lo, 0, v7
	v_div_fixup_f32 v3, v3, v13, v14
	v_cndmask_b32_e32 v6, v24, v19, vcc_lo
	v_cmp_class_f32_e64 vcc_lo, v0, 0x1f8
	v_div_fixup_f32 v0, v2, v15, v9
	s_delay_alu instid0(VALU_DEP_3) | instskip(SKIP_1) | instid1(VALU_DEP_3)
	v_cndmask_b32_e64 v2, v6, v26, s1
	v_cndmask_b32_e32 v4, 0x7fc00000, v4, vcc_lo
	v_dual_mul_f32 v0, v5, v0 :: v_dual_cndmask_b32 v1, 0x7fc00000, v1
	v_cmp_class_f32_e64 vcc_lo, v16, 0x260
	s_delay_alu instid0(VALU_DEP_2) | instskip(NEXT) | instid1(VALU_DEP_1)
	v_dual_mul_f32 v5, 0x37800000, v2 :: v_dual_mul_f32 v0, v0, v4
	v_cndmask_b32_e64 v2, v2, v5, s0
	s_delay_alu instid0(VALU_DEP_1) | instskip(NEXT) | instid1(VALU_DEP_1)
	v_dual_fmac_f32 v0, v3, v1 :: v_dual_cndmask_b32 v1, v2, v16
	v_mul_f32_e32 v0, 0x3f4c422a, v0
	s_delay_alu instid0(VALU_DEP_1) | instskip(NEXT) | instid1(VALU_DEP_1)
	v_div_scale_f32 v2, null, v1, v1, v0
	v_rcp_f32_e32 v3, v2
	s_waitcnt_depctr 0xfff
	v_fma_f32 v4, -v2, v3, 1.0
	s_delay_alu instid0(VALU_DEP_1) | instskip(SKIP_1) | instid1(VALU_DEP_1)
	v_fmac_f32_e32 v3, v4, v3
	v_div_scale_f32 v4, vcc_lo, v0, v1, v0
	v_mul_f32_e32 v5, v4, v3
	s_delay_alu instid0(VALU_DEP_1) | instskip(NEXT) | instid1(VALU_DEP_1)
	v_fma_f32 v6, -v2, v5, v4
	v_fmac_f32_e32 v5, v6, v3
	s_delay_alu instid0(VALU_DEP_1) | instskip(NEXT) | instid1(VALU_DEP_1)
	v_fma_f32 v2, -v2, v5, v4
	v_div_fmas_f32 v2, v2, v3, v5
	s_delay_alu instid0(VALU_DEP_1)
	v_div_fixup_f32 v56, v2, v1, v0
.LBB15_16:
	s_or_b32 exec_lo, exec_lo, s3
	s_delay_alu instid0(SALU_CYCLE_1)
	s_mov_b32 s0, exec_lo
	v_cmpx_ge_f32_e32 0x40a00000, v42
	s_xor_b32 s35, exec_lo, s0
	s_cbranch_execz .LBB15_22
; %bb.17:
	v_mov_b32_e32 v57, 0xff800000
	s_mov_b32 s38, exec_lo
	v_cmpx_neq_f32_e32 0, v42
	s_cbranch_execz .LBB15_21
; %bb.18:
	v_mov_b32_e32 v57, 0x7fc00000
	s_mov_b32 s39, exec_lo
	v_cmpx_nge_f32_e32 0, v42
	s_cbranch_execz .LBB15_20
; %bb.19:
	v_mul_f32_e32 v0, v42, v42
	s_getpc_b64 s[0:1]
	s_add_u32 s0, s0, _Z17bessel_j1_forwardIfET_S0_@rel32@lo+4
	s_addc_u32 s1, s1, _Z17bessel_j1_forwardIfET_S0_@rel32@hi+12
	s_delay_alu instid0(VALU_DEP_1) | instskip(SKIP_1) | instid1(VALU_DEP_2)
	v_fmaak_f32 v1, 0, v0, 0x4414934d
	v_fmaak_f32 v2, 0, v0, 0x4e9695f3
	;; [unrolled: 1-line block ×3, first 2 shown]
	s_delay_alu instid0(VALU_DEP_2) | instskip(NEXT) | instid1(VALU_DEP_2)
	v_fmaak_f32 v2, v0, v2, 0xd316b96b
	v_fmaak_f32 v1, v0, v1, 0x4c8c277d
	s_delay_alu instid0(VALU_DEP_2) | instskip(NEXT) | instid1(VALU_DEP_2)
	v_fmaak_f32 v2, v0, v2, 0x56d04aa6
	v_fmaak_f32 v1, v0, v1, 0x508bc61d
	;; [unrolled: 3-line block ×5, first 2 shown]
	s_delay_alu instid0(VALU_DEP_1) | instskip(NEXT) | instid1(VALU_DEP_1)
	v_fmaak_f32 v0, v0, v1, 0x5e5c878d
	v_div_scale_f32 v1, null, v0, v0, v2
	v_div_scale_f32 v5, vcc_lo, v2, v0, v2
	s_delay_alu instid0(VALU_DEP_2) | instskip(SKIP_2) | instid1(VALU_DEP_1)
	v_rcp_f32_e32 v3, v1
	s_waitcnt_depctr 0xfff
	v_fma_f32 v4, -v1, v3, 1.0
	v_fmac_f32_e32 v3, v4, v3
	s_delay_alu instid0(VALU_DEP_1) | instskip(NEXT) | instid1(VALU_DEP_1)
	v_mul_f32_e32 v4, v5, v3
	v_fma_f32 v6, -v1, v4, v5
	s_delay_alu instid0(VALU_DEP_1) | instskip(NEXT) | instid1(VALU_DEP_1)
	v_fmac_f32_e32 v4, v6, v3
	v_fma_f32 v1, -v1, v4, v5
	s_delay_alu instid0(VALU_DEP_1) | instskip(NEXT) | instid1(VALU_DEP_1)
	v_div_fmas_f32 v1, v1, v3, v4
	v_div_fixup_f32 v41, v1, v0, v2
	v_mov_b32_e32 v0, v42
	s_swappc_b64 s[30:31], s[0:1]
	v_div_scale_f32 v1, null, v42, v42, -1.0
	v_cmp_gt_f32_e32 vcc_lo, 0x800000, v42
	v_div_scale_f32 v5, s0, -1.0, v42, -1.0
	s_delay_alu instid0(VALU_DEP_3) | instskip(SKIP_3) | instid1(VALU_DEP_1)
	v_rcp_f32_e32 v3, v1
	v_cndmask_b32_e64 v2, 1.0, 0x4f800000, vcc_lo
	s_waitcnt_depctr 0xfff
	v_fma_f32 v4, -v1, v3, 1.0
	v_dual_mul_f32 v2, v42, v2 :: v_dual_fmac_f32 v3, v4, v3
	s_delay_alu instid0(VALU_DEP_1) | instskip(SKIP_3) | instid1(VALU_DEP_2)
	v_log_f32_e32 v2, v2
	s_waitcnt_depctr 0xfff
	v_mul_f32_e32 v4, 0x3f317217, v2
	v_cmp_gt_f32_e64 s1, 0x7f800000, |v2|
	v_fma_f32 v7, 0x3f317217, v2, -v4
	s_delay_alu instid0(VALU_DEP_1) | instskip(NEXT) | instid1(VALU_DEP_1)
	v_dual_mul_f32 v6, v5, v3 :: v_dual_fmamk_f32 v7, v2, 0x3377d1cf, v7
	v_fma_f32 v8, -v1, v6, v5
	s_delay_alu instid0(VALU_DEP_2) | instskip(NEXT) | instid1(VALU_DEP_2)
	v_add_f32_e32 v4, v4, v7
	v_fmac_f32_e32 v6, v8, v3
	s_delay_alu instid0(VALU_DEP_2) | instskip(NEXT) | instid1(VALU_DEP_2)
	v_cndmask_b32_e64 v2, v2, v4, s1
	v_fma_f32 v1, -v1, v6, v5
	v_cndmask_b32_e64 v4, 0, 0x41b17218, vcc_lo
	s_mov_b32 vcc_lo, s0
	s_delay_alu instid0(VALU_DEP_2) | instskip(NEXT) | instid1(VALU_DEP_2)
	v_div_fmas_f32 v1, v1, v3, v6
	v_sub_f32_e32 v2, v2, v4
	s_delay_alu instid0(VALU_DEP_2) | instskip(NEXT) | instid1(VALU_DEP_1)
	v_div_fixup_f32 v1, v1, v42, -1.0
	v_fmac_f32_e32 v1, v2, v0
	s_delay_alu instid0(VALU_DEP_1) | instskip(NEXT) | instid1(VALU_DEP_1)
	v_mul_f32_e32 v57, 0x3f22f983, v1
	v_fmac_f32_e32 v57, v42, v41
.LBB15_20:
	s_or_b32 exec_lo, exec_lo, s39
.LBB15_21:
	s_delay_alu instid0(SALU_CYCLE_1)
	s_or_b32 exec_lo, exec_lo, s38
.LBB15_22:
	s_and_not1_saveexec_b32 s3, s35
	s_cbranch_execz .LBB15_32
; %bb.23:
	v_add_f32_e32 v0, 0xc016cbe4, v42
                                        ; implicit-def: $vgpr3
                                        ; implicit-def: $vgpr2
	s_delay_alu instid0(VALU_DEP_1) | instskip(SKIP_1) | instid1(VALU_DEP_2)
	v_and_b32_e32 v1, 0x7fffffff, v0
	v_cmp_ngt_f32_e64 s4, 0x48000000, |v0|
	v_lshrrev_b32_e32 v5, 23, v1
	s_delay_alu instid0(VALU_DEP_2) | instskip(NEXT) | instid1(SALU_CYCLE_1)
	s_and_saveexec_b32 s0, s4
	s_xor_b32 s5, exec_lo, s0
	s_cbranch_execz .LBB15_25
; %bb.24:
	s_mov_b32 s0, 0x7fffff
	v_mov_b32_e32 v4, 0
	v_and_or_b32 v13, v1, s0, 0x800000
	v_add_nc_u32_e32 v11, 0xffffff88, v5
	s_delay_alu instid0(VALU_DEP_2) | instskip(NEXT) | instid1(VALU_DEP_2)
	v_mad_u64_u32 v[2:3], null, 0xfe5163ab, v13, 0
	v_cmp_lt_u32_e32 vcc_lo, 63, v11
	v_cndmask_b32_e64 v12, 0, 0xffffffc0, vcc_lo
	s_delay_alu instid0(VALU_DEP_3) | instskip(NEXT) | instid1(VALU_DEP_1)
	v_mad_u64_u32 v[6:7], null, 0x3c439041, v13, v[3:4]
	v_dual_mov_b32 v3, v7 :: v_dual_add_nc_u32 v12, v12, v11
	s_delay_alu instid0(VALU_DEP_1) | instskip(NEXT) | instid1(VALU_DEP_2)
	v_cmp_lt_u32_e64 s0, 31, v12
	v_mad_u64_u32 v[7:8], null, 0xdb629599, v13, v[3:4]
	s_delay_alu instid0(VALU_DEP_2) | instskip(NEXT) | instid1(VALU_DEP_1)
	v_cndmask_b32_e64 v14, 0, 0xffffffe0, s0
	v_dual_mov_b32 v3, v8 :: v_dual_add_nc_u32 v14, v14, v12
	s_delay_alu instid0(VALU_DEP_3) | instskip(NEXT) | instid1(VALU_DEP_2)
	v_cndmask_b32_e32 v2, v7, v2, vcc_lo
	v_cmp_lt_u32_e64 s1, 31, v14
	s_delay_alu instid0(VALU_DEP_3) | instskip(NEXT) | instid1(VALU_DEP_1)
	v_mad_u64_u32 v[8:9], null, 0xf534ddc0, v13, v[3:4]
	v_dual_mov_b32 v3, v9 :: v_dual_cndmask_b32 v6, v8, v6
	s_delay_alu instid0(VALU_DEP_1) | instskip(NEXT) | instid1(VALU_DEP_2)
	v_mad_u64_u32 v[9:10], null, 0xfc2757d1, v13, v[3:4]
	v_cndmask_b32_e64 v2, v6, v2, s0
	s_delay_alu instid0(VALU_DEP_2) | instskip(NEXT) | instid1(VALU_DEP_1)
	v_mov_b32_e32 v3, v10
	v_mad_u64_u32 v[10:11], null, 0x4e441529, v13, v[3:4]
	s_delay_alu instid0(VALU_DEP_1) | instskip(NEXT) | instid1(VALU_DEP_1)
	v_mov_b32_e32 v3, v11
	v_mad_u64_u32 v[11:12], null, 0xa2f9836e, v13, v[3:4]
	v_cndmask_b32_e64 v3, 0, 0xffffffe0, s1
	s_delay_alu instid0(VALU_DEP_1) | instskip(NEXT) | instid1(VALU_DEP_3)
	v_dual_cndmask_b32 v4, v10, v8 :: v_dual_add_nc_u32 v3, v3, v14
	v_dual_cndmask_b32 v11, v11, v9 :: v_dual_cndmask_b32 v10, v12, v10
	v_cndmask_b32_e32 v9, v9, v7, vcc_lo
	s_delay_alu instid0(VALU_DEP_3) | instskip(NEXT) | instid1(VALU_DEP_3)
	v_cmp_eq_u32_e64 s2, 0, v3
	v_cndmask_b32_e64 v8, v11, v4, s0
	s_delay_alu instid0(VALU_DEP_4) | instskip(NEXT) | instid1(VALU_DEP_4)
	v_cndmask_b32_e64 v10, v10, v11, s0
	v_cndmask_b32_e64 v4, v4, v9, s0
	v_sub_nc_u32_e32 v11, 32, v3
	v_cndmask_b32_e64 v9, v9, v6, s0
	s_delay_alu instid0(VALU_DEP_4) | instskip(NEXT) | instid1(VALU_DEP_4)
	v_cndmask_b32_e64 v10, v10, v8, s1
	v_cndmask_b32_e64 v8, v8, v4, s1
	s_delay_alu instid0(VALU_DEP_3) | instskip(SKIP_1) | instid1(VALU_DEP_3)
	v_cndmask_b32_e64 v4, v4, v9, s1
	v_cndmask_b32_e64 v2, v9, v2, s1
	v_alignbit_b32 v12, v10, v8, v11
	s_delay_alu instid0(VALU_DEP_3) | instskip(NEXT) | instid1(VALU_DEP_3)
	v_alignbit_b32 v13, v8, v4, v11
	v_alignbit_b32 v11, v4, v2, v11
	s_delay_alu instid0(VALU_DEP_3) | instskip(NEXT) | instid1(VALU_DEP_3)
	v_cndmask_b32_e64 v3, v12, v10, s2
	v_cndmask_b32_e64 v7, v13, v8, s2
	s_delay_alu instid0(VALU_DEP_3) | instskip(NEXT) | instid1(VALU_DEP_3)
	v_cndmask_b32_e64 v4, v11, v4, s2
	v_bfe_u32 v8, v3, 29, 1
	s_delay_alu instid0(VALU_DEP_3) | instskip(NEXT) | instid1(VALU_DEP_3)
	v_alignbit_b32 v6, v3, v7, 30
	v_alignbit_b32 v7, v7, v4, 30
	;; [unrolled: 1-line block ×3, first 2 shown]
	s_delay_alu instid0(VALU_DEP_4) | instskip(NEXT) | instid1(VALU_DEP_1)
	v_sub_nc_u32_e32 v10, 0, v8
	v_xor_b32_e32 v9, v6, v10
	v_cmp_ne_u32_e32 vcc_lo, v6, v10
	v_xor_b32_e32 v4, v7, v10
	v_xor_b32_e32 v2, v2, v10
	s_delay_alu instid0(VALU_DEP_4) | instskip(NEXT) | instid1(VALU_DEP_1)
	v_clz_i32_u32_e32 v12, v9
	v_add_nc_u32_e32 v11, 1, v12
	s_delay_alu instid0(VALU_DEP_1) | instskip(NEXT) | instid1(VALU_DEP_1)
	v_cndmask_b32_e32 v6, 33, v11, vcc_lo
	v_sub_nc_u32_e32 v7, 32, v6
	s_delay_alu instid0(VALU_DEP_1) | instskip(SKIP_3) | instid1(VALU_DEP_3)
	v_alignbit_b32 v9, v9, v4, v7
	v_alignbit_b32 v2, v4, v2, v7
	v_lshrrev_b32_e32 v4, 29, v3
	v_lshrrev_b32_e32 v3, 30, v3
	v_alignbit_b32 v7, v9, v2, 9
	s_delay_alu instid0(VALU_DEP_3) | instskip(SKIP_1) | instid1(VALU_DEP_4)
	v_lshlrev_b32_e32 v4, 31, v4
	v_alignbit_b32 v9, v6, v9, 9
	v_add_nc_u32_e32 v3, v8, v3
	s_delay_alu instid0(VALU_DEP_4) | instskip(NEXT) | instid1(VALU_DEP_3)
	v_clz_i32_u32_e32 v10, v7
	v_or_b32_e32 v9, v9, v4
	v_or_b32_e32 v4, 0x33800000, v4
	s_delay_alu instid0(VALU_DEP_3) | instskip(NEXT) | instid1(VALU_DEP_3)
	v_min_u32_e32 v10, 32, v10
	v_xor_b32_e32 v9, 1.0, v9
	s_delay_alu instid0(VALU_DEP_2) | instskip(SKIP_1) | instid1(VALU_DEP_3)
	v_sub_nc_u32_e32 v11, 31, v10
	v_add_lshl_u32 v6, v10, v6, 23
	v_mul_f32_e32 v10, 0x3fc90fda, v9
	s_delay_alu instid0(VALU_DEP_3) | instskip(NEXT) | instid1(VALU_DEP_3)
	v_alignbit_b32 v2, v7, v2, v11
	v_sub_nc_u32_e32 v4, v4, v6
	s_delay_alu instid0(VALU_DEP_3) | instskip(NEXT) | instid1(VALU_DEP_3)
	v_fma_f32 v6, 0x3fc90fda, v9, -v10
	v_lshrrev_b32_e32 v2, 9, v2
	s_delay_alu instid0(VALU_DEP_2) | instskip(NEXT) | instid1(VALU_DEP_2)
	v_fmamk_f32 v6, v9, 0x33a22168, v6
	v_or_b32_e32 v2, v4, v2
	s_delay_alu instid0(VALU_DEP_1) | instskip(NEXT) | instid1(VALU_DEP_1)
	v_fmac_f32_e32 v6, 0x3fc90fda, v2
	v_add_f32_e32 v2, v10, v6
	s_or_saveexec_b32 s0, s5
	v_mul_f32_e64 v7, 0x3f22f983, |v0|
	s_xor_b32 exec_lo, exec_lo, s0
	s_branch .LBB15_26
.LBB15_25:
	s_or_saveexec_b32 s0, s5
	v_mul_f32_e64 v7, 0x3f22f983, |v0|
	s_xor_b32 exec_lo, exec_lo, s0
.LBB15_26:
	s_delay_alu instid0(VALU_DEP_1) | instskip(NEXT) | instid1(VALU_DEP_1)
	v_rndne_f32_e32 v3, v7
	v_fma_f32 v2, 0xbfc90fda, v3, |v0|
	s_delay_alu instid0(VALU_DEP_1) | instskip(NEXT) | instid1(VALU_DEP_1)
	v_fmamk_f32 v2, v3, 0xb3a22168, v2
	v_fmamk_f32 v2, v3, 0xa7c234c4, v2
	v_cvt_i32_f32_e32 v3, v3
; %bb.27:
	s_or_b32 exec_lo, exec_lo, s0
                                        ; implicit-def: $vgpr6
                                        ; implicit-def: $vgpr4
	s_and_saveexec_b32 s0, s4
	s_delay_alu instid0(SALU_CYCLE_1)
	s_xor_b32 s4, exec_lo, s0
	s_cbranch_execz .LBB15_29
; %bb.28:
	s_mov_b32 s0, 0x7fffff
	v_mov_b32_e32 v8, 0
	v_and_or_b32 v15, v1, s0, 0x800000
	s_delay_alu instid0(VALU_DEP_1) | instskip(NEXT) | instid1(VALU_DEP_1)
	v_mad_u64_u32 v[6:7], null, 0xfe5163ab, v15, 0
	v_mad_u64_u32 v[9:10], null, 0x3c439041, v15, v[7:8]
	s_delay_alu instid0(VALU_DEP_1) | instskip(NEXT) | instid1(VALU_DEP_1)
	v_mov_b32_e32 v7, v10
	v_mad_u64_u32 v[10:11], null, 0xdb629599, v15, v[7:8]
	s_delay_alu instid0(VALU_DEP_1) | instskip(NEXT) | instid1(VALU_DEP_1)
	v_mov_b32_e32 v7, v11
	v_mad_u64_u32 v[11:12], null, 0xf534ddc0, v15, v[7:8]
	s_delay_alu instid0(VALU_DEP_1) | instskip(NEXT) | instid1(VALU_DEP_1)
	v_dual_mov_b32 v7, v12 :: v_dual_add_nc_u32 v12, 0xffffff88, v5
	v_mad_u64_u32 v[4:5], null, 0xfc2757d1, v15, v[7:8]
	s_delay_alu instid0(VALU_DEP_2) | instskip(SKIP_1) | instid1(VALU_DEP_3)
	v_cmp_lt_u32_e32 vcc_lo, 63, v12
	v_cndmask_b32_e64 v13, 0, 0xffffffc0, vcc_lo
	v_dual_mov_b32 v7, v5 :: v_dual_cndmask_b32 v6, v10, v6
	s_delay_alu instid0(VALU_DEP_2) | instskip(NEXT) | instid1(VALU_DEP_2)
	v_add_nc_u32_e32 v5, v13, v12
	v_mad_u64_u32 v[12:13], null, 0x4e441529, v15, v[7:8]
	s_delay_alu instid0(VALU_DEP_2) | instskip(NEXT) | instid1(VALU_DEP_2)
	v_cmp_lt_u32_e64 s0, 31, v5
	v_mov_b32_e32 v7, v13
	s_delay_alu instid0(VALU_DEP_2) | instskip(NEXT) | instid1(VALU_DEP_1)
	v_cndmask_b32_e64 v14, 0, 0xffffffe0, s0
	v_add_nc_u32_e32 v5, v14, v5
	s_delay_alu instid0(VALU_DEP_3) | instskip(SKIP_1) | instid1(VALU_DEP_3)
	v_mad_u64_u32 v[13:14], null, 0xa2f9836e, v15, v[7:8]
	v_cndmask_b32_e32 v8, v12, v11, vcc_lo
	v_cmp_lt_u32_e64 s1, 31, v5
	s_delay_alu instid0(VALU_DEP_3) | instskip(NEXT) | instid1(VALU_DEP_2)
	v_cndmask_b32_e32 v13, v13, v4, vcc_lo
	v_cndmask_b32_e64 v7, 0, 0xffffffe0, s1
	v_cndmask_b32_e32 v12, v14, v12, vcc_lo
	s_delay_alu instid0(VALU_DEP_2) | instskip(SKIP_2) | instid1(VALU_DEP_4)
	v_dual_cndmask_b32 v4, v4, v10 :: v_dual_add_nc_u32 v5, v7, v5
	v_cndmask_b32_e32 v7, v11, v9, vcc_lo
	v_cndmask_b32_e64 v9, v13, v8, s0
	v_cndmask_b32_e64 v11, v12, v13, s0
	s_delay_alu instid0(VALU_DEP_4)
	v_cndmask_b32_e64 v8, v8, v4, s0
	v_sub_nc_u32_e32 v12, 32, v5
	v_cndmask_b32_e64 v4, v4, v7, s0
	v_cmp_eq_u32_e64 s2, 0, v5
	v_cndmask_b32_e64 v11, v11, v9, s1
	v_cndmask_b32_e64 v9, v9, v8, s1
	;; [unrolled: 1-line block ×4, first 2 shown]
	s_delay_alu instid0(VALU_DEP_3) | instskip(NEXT) | instid1(VALU_DEP_3)
	v_alignbit_b32 v13, v11, v9, v12
	v_cndmask_b32_e64 v4, v4, v6, s1
	s_delay_alu instid0(VALU_DEP_3) | instskip(NEXT) | instid1(VALU_DEP_3)
	v_alignbit_b32 v14, v9, v8, v12
	v_cndmask_b32_e64 v5, v13, v11, s2
	;; [unrolled: 3-line block ×3, first 2 shown]
	s_delay_alu instid0(VALU_DEP_3) | instskip(NEXT) | instid1(VALU_DEP_3)
	v_bfe_u32 v10, v5, 29, 1
	v_cndmask_b32_e64 v8, v12, v8, s2
	s_delay_alu instid0(VALU_DEP_3) | instskip(NEXT) | instid1(VALU_DEP_3)
	v_alignbit_b32 v7, v5, v9, 30
	v_sub_nc_u32_e32 v11, 0, v10
	s_delay_alu instid0(VALU_DEP_3) | instskip(SKIP_1) | instid1(VALU_DEP_3)
	v_alignbit_b32 v9, v9, v8, 30
	v_alignbit_b32 v4, v8, v4, 30
	v_xor_b32_e32 v6, v7, v11
	v_cmp_ne_u32_e32 vcc_lo, v7, v11
	s_delay_alu instid0(VALU_DEP_4) | instskip(NEXT) | instid1(VALU_DEP_4)
	v_xor_b32_e32 v8, v9, v11
	v_xor_b32_e32 v4, v4, v11
	s_delay_alu instid0(VALU_DEP_4) | instskip(NEXT) | instid1(VALU_DEP_1)
	v_clz_i32_u32_e32 v13, v6
	v_add_nc_u32_e32 v12, 1, v13
	s_delay_alu instid0(VALU_DEP_1) | instskip(NEXT) | instid1(VALU_DEP_1)
	v_cndmask_b32_e32 v7, 33, v12, vcc_lo
	v_sub_nc_u32_e32 v9, 32, v7
	s_delay_alu instid0(VALU_DEP_1) | instskip(SKIP_3) | instid1(VALU_DEP_3)
	v_alignbit_b32 v6, v6, v8, v9
	v_alignbit_b32 v4, v8, v4, v9
	v_lshrrev_b32_e32 v8, 29, v5
	v_lshrrev_b32_e32 v5, 30, v5
	v_alignbit_b32 v9, v6, v4, 9
	s_delay_alu instid0(VALU_DEP_3) | instskip(SKIP_1) | instid1(VALU_DEP_3)
	v_lshlrev_b32_e32 v8, 31, v8
	v_alignbit_b32 v6, v7, v6, 9
	v_clz_i32_u32_e32 v11, v9
	s_delay_alu instid0(VALU_DEP_2) | instskip(SKIP_1) | instid1(VALU_DEP_3)
	v_or_b32_e32 v6, v6, v8
	v_or_b32_e32 v8, 0x33800000, v8
	v_min_u32_e32 v11, 32, v11
	s_delay_alu instid0(VALU_DEP_3) | instskip(NEXT) | instid1(VALU_DEP_2)
	v_xor_b32_e32 v6, 1.0, v6
	v_sub_nc_u32_e32 v12, 31, v11
	v_add_lshl_u32 v7, v11, v7, 23
	s_delay_alu instid0(VALU_DEP_3) | instskip(NEXT) | instid1(VALU_DEP_3)
	v_mul_f32_e32 v11, 0x3fc90fda, v6
	v_alignbit_b32 v4, v9, v4, v12
	s_delay_alu instid0(VALU_DEP_3) | instskip(NEXT) | instid1(VALU_DEP_3)
	v_sub_nc_u32_e32 v7, v8, v7
	v_fma_f32 v8, 0x3fc90fda, v6, -v11
	s_delay_alu instid0(VALU_DEP_3) | instskip(NEXT) | instid1(VALU_DEP_2)
	v_lshrrev_b32_e32 v4, 9, v4
	v_fmamk_f32 v6, v6, 0x33a22168, v8
	s_delay_alu instid0(VALU_DEP_2) | instskip(NEXT) | instid1(VALU_DEP_1)
	v_or_b32_e32 v4, v7, v4
                                        ; implicit-def: $vgpr7
	v_fmac_f32_e32 v6, 0x3fc90fda, v4
	s_delay_alu instid0(VALU_DEP_1)
	v_add_f32_e32 v4, v11, v6
	v_add_nc_u32_e32 v6, v10, v5
	s_and_not1_saveexec_b32 s0, s4
	s_cbranch_execnz .LBB15_30
	s_branch .LBB15_31
.LBB15_29:
	s_and_not1_saveexec_b32 s0, s4
.LBB15_30:
	v_rndne_f32_e32 v5, v7
	s_delay_alu instid0(VALU_DEP_1) | instskip(SKIP_1) | instid1(VALU_DEP_2)
	v_fma_f32 v4, 0xbfc90fda, v5, |v0|
	v_cvt_i32_f32_e32 v6, v5
	v_fmamk_f32 v4, v5, 0xb3a22168, v4
	s_delay_alu instid0(VALU_DEP_1)
	v_fmamk_f32 v4, v5, 0xa7c234c4, v4
.LBB15_31:
	s_or_b32 exec_lo, exec_lo, s0
	v_div_scale_f32 v5, null, v42, v42, 0x40a00000
	v_div_scale_f32 v9, vcc_lo, 0x40a00000, v42, 0x40a00000
	s_mov_b32 s0, 0xb94c1982
	s_delay_alu instid0(VALU_DEP_2) | instskip(SKIP_4) | instid1(VALU_DEP_1)
	v_rcp_f32_e32 v7, v5
	s_mov_b32 s1, 0x37d75334
	v_xor_b32_e32 v1, v1, v0
	s_waitcnt_depctr 0xfff
	v_fma_f32 v8, -v5, v7, 1.0
	v_fmac_f32_e32 v7, v8, v7
	s_delay_alu instid0(VALU_DEP_1) | instskip(NEXT) | instid1(VALU_DEP_1)
	v_mul_f32_e32 v8, v9, v7
	v_fma_f32 v10, -v5, v8, v9
	s_delay_alu instid0(VALU_DEP_1) | instskip(SKIP_1) | instid1(VALU_DEP_2)
	v_fmac_f32_e32 v8, v10, v7
	v_mul_f32_e32 v10, v4, v4
	v_fma_f32 v5, -v5, v8, v9
	s_delay_alu instid0(VALU_DEP_2) | instskip(SKIP_1) | instid1(VALU_DEP_3)
	v_fmaak_f32 v19, s0, v10, 0x3c0881c4
	v_fmaak_f32 v20, s1, v10, 0xbab64f3b
	v_div_fmas_f32 v5, v5, v7, v8
	v_mul_f32_e32 v7, v2, v2
	s_delay_alu instid0(VALU_DEP_4)
	v_fmaak_f32 v19, v10, v19, 0xbe2aaa9d
	v_mul_f32_e32 v16, 0x4f800000, v42
	v_fmaak_f32 v20, v10, v20, 0x3d2aabf7
	v_div_fixup_f32 v5, v5, v42, 0x40a00000
	v_fmaak_f32 v17, s0, v7, 0x3c0881c4
	v_cmp_gt_f32_e64 s0, 0xf800000, v42
	v_fmaak_f32 v18, s1, v7, 0xbab64f3b
	v_mul_f32_e32 v19, v10, v19
	v_dual_mul_f32 v9, v5, v5 :: v_dual_and_b32 v8, 1, v3
	v_lshlrev_b32_e32 v3, 30, v3
	v_and_b32_e32 v11, 1, v6
	v_cndmask_b32_e64 v16, v42, v16, s0
	s_delay_alu instid0(VALU_DEP_4) | instskip(SKIP_3) | instid1(VALU_DEP_4)
	v_fmaak_f32 v14, 0, v9, 0x3a47c962
	v_fmaak_f32 v13, 0, v9, 0x3a15c4d9
	v_fmaak_f32 v12, 0, v9, 0x3d513fd3
	v_dual_fmaak_f32 v15, 0, v9, 0x42947983 :: v_dual_lshlrev_b32 v6, 30, v6
	v_fmaak_f32 v14, v9, v14, 0x3d95ca45
	s_delay_alu instid0(VALU_DEP_4) | instskip(SKIP_2) | instid1(VALU_DEP_3)
	v_dual_fmaak_f32 v13, v9, v13, 0x3d8cfeeb :: v_dual_fmac_f32 v4, v4, v19
	v_sqrt_f32_e32 v24, v16
	v_fmaak_f32 v17, v7, v17, 0xbe2aaa9d
	v_fmaak_f32 v14, v9, v14, 0x3f9047f6
	s_delay_alu instid0(VALU_DEP_3)
	v_fmaak_f32 v13, v9, v13, 0x3f8d754e
	v_fmaak_f32 v12, v9, v12, 0x409f6dae
	;; [unrolled: 1-line block ×3, first 2 shown]
	v_mul_f32_e32 v17, v7, v17
	v_fmaak_f32 v15, v9, v15, 0x44840e5d
	v_fmaak_f32 v20, v10, v20, 0xbf000004
	v_cmp_eq_u32_e64 s2, 0, v8
	v_fmaak_f32 v18, v7, v18, 0xbf000004
	v_fmac_f32_e32 v2, v2, v17
	v_fmaak_f32 v13, v9, v13, 0x40a25d18
	v_fmaak_f32 v15, v9, v15, 0x459bd349
	v_fma_f32 v10, v10, v20, 1.0
	v_fma_f32 v7, v7, v18, 1.0
	v_and_b32_e32 v3, 0x80000000, v3
	v_dual_fmaak_f32 v14, v9, v14, 0x40a39628 :: v_dual_add_nc_u32 v19, -1, v24
	v_fmaak_f32 v13, v9, v13, 0x410665cf
	v_fmaak_f32 v15, v9, v15, 0x46156947
	v_cndmask_b32_e64 v2, v7, v2, s2
	v_cmp_eq_u32_e64 s2, 0, v11
	v_fmaak_f32 v14, v9, v14, 0x4106c8e4
	v_fmaak_f32 v13, v9, v13, 0x40a6b6ea
	;; [unrolled: 1-line block ×3, first 2 shown]
	v_fma_f32 v7, -v19, v24, v16
	v_cndmask_b32_e64 v4, -v4, v10, s2
	v_fmaak_f32 v14, v9, v14, 0x40a6dd51
	v_fma_f32 v13, v9, v13, 1.0
	v_fmaak_f32 v15, v9, v15, 0x4530a316
	v_xor3_b32 v1, v1, v3, v2
	v_and_b32_e32 v6, 0x80000000, v6
	v_fma_f32 v14, v9, v14, 1.0
	s_delay_alu instid0(VALU_DEP_4) | instskip(NEXT) | instid1(VALU_DEP_3)
	v_fmaak_f32 v15, v9, v15, 0x43a80bfb
	v_xor_b32_e32 v4, v6, v4
	s_delay_alu instid0(VALU_DEP_3) | instskip(SKIP_1) | instid1(VALU_DEP_1)
	v_div_scale_f32 v27, vcc_lo, v14, v13, v14
	v_fmaak_f32 v12, v9, v12, 0x4297a5cd
	v_fmaak_f32 v12, v9, v12, 0x43b763ca
	s_delay_alu instid0(VALU_DEP_1) | instskip(NEXT) | instid1(VALU_DEP_1)
	v_fmaak_f32 v12, v9, v12, 0x4431b6ce
	v_fmaak_f32 v12, v9, v12, 0x44155f56
	s_delay_alu instid0(VALU_DEP_1) | instskip(NEXT) | instid1(VALU_DEP_1)
	v_fmaak_f32 v12, v9, v12, 0x4353b052
	v_fmaak_f32 v9, v9, v12, 0x41c9a7fa
	v_div_scale_f32 v12, null, v13, v13, v14
	s_delay_alu instid0(VALU_DEP_2) | instskip(NEXT) | instid1(VALU_DEP_2)
	v_div_scale_f32 v21, null, v15, v15, v9
	v_rcp_f32_e32 v22, v12
	s_delay_alu instid0(VALU_DEP_1) | instskip(SKIP_3) | instid1(VALU_DEP_2)
	v_rcp_f32_e32 v23, v21
	s_waitcnt_depctr 0xfff
	v_fma_f32 v25, -v12, v22, 1.0
	v_fma_f32 v26, -v21, v23, 1.0
	v_fmac_f32_e32 v22, v25, v22
	v_div_scale_f32 v25, s1, v9, v15, v9
	s_delay_alu instid0(VALU_DEP_3) | instskip(NEXT) | instid1(VALU_DEP_1)
	v_dual_fmac_f32 v23, v26, v23 :: v_dual_add_nc_u32 v26, 1, v24
	v_dual_mul_f32 v17, v27, v22 :: v_dual_mul_f32 v18, v25, v23
	s_delay_alu instid0(VALU_DEP_2) | instskip(NEXT) | instid1(VALU_DEP_2)
	v_fma_f32 v8, -v26, v24, v16
	v_fma_f32 v20, -v12, v17, v27
	s_delay_alu instid0(VALU_DEP_3) | instskip(NEXT) | instid1(VALU_DEP_2)
	v_fma_f32 v28, -v21, v18, v25
	v_fmac_f32_e32 v17, v20, v22
	s_delay_alu instid0(VALU_DEP_2) | instskip(NEXT) | instid1(VALU_DEP_2)
	v_fmac_f32_e32 v18, v28, v23
	v_fma_f32 v10, -v12, v17, v27
	s_delay_alu instid0(VALU_DEP_2) | instskip(NEXT) | instid1(VALU_DEP_2)
	v_fma_f32 v2, -v21, v18, v25
	v_div_fmas_f32 v3, v10, v22, v17
	s_mov_b32 vcc_lo, s1
	v_cmp_lt_f32_e64 s1, 0, v8
	s_delay_alu instid0(VALU_DEP_3)
	v_div_fmas_f32 v2, v2, v23, v18
	v_cmp_ge_f32_e32 vcc_lo, 0, v7
	v_div_fixup_f32 v3, v3, v13, v14
	v_cndmask_b32_e32 v6, v24, v19, vcc_lo
	v_cmp_class_f32_e64 vcc_lo, v0, 0x1f8
	v_div_fixup_f32 v0, v2, v15, v9
	s_delay_alu instid0(VALU_DEP_3) | instskip(SKIP_1) | instid1(VALU_DEP_3)
	v_cndmask_b32_e64 v2, v6, v26, s1
	v_cndmask_b32_e32 v4, 0x7fc00000, v4, vcc_lo
	v_dual_mul_f32 v0, v5, v0 :: v_dual_cndmask_b32 v1, 0x7fc00000, v1
	v_cmp_class_f32_e64 vcc_lo, v16, 0x260
	s_delay_alu instid0(VALU_DEP_2) | instskip(NEXT) | instid1(VALU_DEP_1)
	v_dual_mul_f32 v5, 0x37800000, v2 :: v_dual_mul_f32 v0, v0, v4
	v_cndmask_b32_e64 v2, v2, v5, s0
	s_delay_alu instid0(VALU_DEP_1) | instskip(NEXT) | instid1(VALU_DEP_1)
	v_dual_fmac_f32 v0, v3, v1 :: v_dual_cndmask_b32 v1, v2, v16
	v_mul_f32_e32 v0, 0x3f4c422a, v0
	s_delay_alu instid0(VALU_DEP_1) | instskip(NEXT) | instid1(VALU_DEP_1)
	v_div_scale_f32 v2, null, v1, v1, v0
	v_rcp_f32_e32 v3, v2
	s_waitcnt_depctr 0xfff
	v_fma_f32 v4, -v2, v3, 1.0
	s_delay_alu instid0(VALU_DEP_1) | instskip(SKIP_1) | instid1(VALU_DEP_1)
	v_fmac_f32_e32 v3, v4, v3
	v_div_scale_f32 v4, vcc_lo, v0, v1, v0
	v_mul_f32_e32 v5, v4, v3
	s_delay_alu instid0(VALU_DEP_1) | instskip(NEXT) | instid1(VALU_DEP_1)
	v_fma_f32 v6, -v2, v5, v4
	v_fmac_f32_e32 v5, v6, v3
	s_delay_alu instid0(VALU_DEP_1) | instskip(NEXT) | instid1(VALU_DEP_1)
	v_fma_f32 v2, -v2, v5, v4
	v_div_fmas_f32 v2, v2, v3, v5
	s_delay_alu instid0(VALU_DEP_1)
	v_div_fixup_f32 v57, v2, v1, v0
.LBB15_32:
	s_or_b32 exec_lo, exec_lo, s3
	s_delay_alu instid0(SALU_CYCLE_1)
	s_mov_b32 s0, exec_lo
	v_cmpx_ge_f32_e32 0x40a00000, v43
	s_xor_b32 s35, exec_lo, s0
	s_cbranch_execz .LBB15_38
; %bb.33:
	v_mov_b32_e32 v58, 0xff800000
	s_mov_b32 s38, exec_lo
	v_cmpx_neq_f32_e32 0, v43
	s_cbranch_execz .LBB15_37
; %bb.34:
	v_mov_b32_e32 v58, 0x7fc00000
	s_mov_b32 s39, exec_lo
	v_cmpx_nge_f32_e32 0, v43
	s_cbranch_execz .LBB15_36
; %bb.35:
	v_mul_f32_e32 v0, v43, v43
	s_getpc_b64 s[0:1]
	s_add_u32 s0, s0, _Z17bessel_j1_forwardIfET_S0_@rel32@lo+4
	s_addc_u32 s1, s1, _Z17bessel_j1_forwardIfET_S0_@rel32@hi+12
	s_delay_alu instid0(VALU_DEP_1) | instskip(SKIP_1) | instid1(VALU_DEP_2)
	v_fmaak_f32 v1, 0, v0, 0x4414934d
	v_fmaak_f32 v2, 0, v0, 0x4e9695f3
	;; [unrolled: 1-line block ×3, first 2 shown]
	s_delay_alu instid0(VALU_DEP_2) | instskip(NEXT) | instid1(VALU_DEP_2)
	v_fmaak_f32 v2, v0, v2, 0xd316b96b
	v_fmaak_f32 v1, v0, v1, 0x4c8c277d
	s_delay_alu instid0(VALU_DEP_2) | instskip(NEXT) | instid1(VALU_DEP_2)
	v_fmaak_f32 v2, v0, v2, 0x56d04aa6
	v_fmaak_f32 v1, v0, v1, 0x508bc61d
	;; [unrolled: 3-line block ×5, first 2 shown]
	s_delay_alu instid0(VALU_DEP_1) | instskip(NEXT) | instid1(VALU_DEP_1)
	v_fmaak_f32 v0, v0, v1, 0x5e5c878d
	v_div_scale_f32 v1, null, v0, v0, v2
	v_div_scale_f32 v5, vcc_lo, v2, v0, v2
	s_delay_alu instid0(VALU_DEP_2) | instskip(SKIP_2) | instid1(VALU_DEP_1)
	v_rcp_f32_e32 v3, v1
	s_waitcnt_depctr 0xfff
	v_fma_f32 v4, -v1, v3, 1.0
	v_fmac_f32_e32 v3, v4, v3
	s_delay_alu instid0(VALU_DEP_1) | instskip(NEXT) | instid1(VALU_DEP_1)
	v_mul_f32_e32 v4, v5, v3
	v_fma_f32 v6, -v1, v4, v5
	s_delay_alu instid0(VALU_DEP_1) | instskip(NEXT) | instid1(VALU_DEP_1)
	v_fmac_f32_e32 v4, v6, v3
	v_fma_f32 v1, -v1, v4, v5
	s_delay_alu instid0(VALU_DEP_1) | instskip(NEXT) | instid1(VALU_DEP_1)
	v_div_fmas_f32 v1, v1, v3, v4
	v_div_fixup_f32 v41, v1, v0, v2
	v_mov_b32_e32 v0, v43
	s_swappc_b64 s[30:31], s[0:1]
	v_div_scale_f32 v1, null, v43, v43, -1.0
	v_cmp_gt_f32_e32 vcc_lo, 0x800000, v43
	v_div_scale_f32 v5, s0, -1.0, v43, -1.0
	s_delay_alu instid0(VALU_DEP_3) | instskip(SKIP_3) | instid1(VALU_DEP_1)
	v_rcp_f32_e32 v3, v1
	v_cndmask_b32_e64 v2, 1.0, 0x4f800000, vcc_lo
	s_waitcnt_depctr 0xfff
	v_fma_f32 v4, -v1, v3, 1.0
	v_dual_mul_f32 v2, v43, v2 :: v_dual_fmac_f32 v3, v4, v3
	s_delay_alu instid0(VALU_DEP_1) | instskip(SKIP_3) | instid1(VALU_DEP_2)
	v_log_f32_e32 v2, v2
	s_waitcnt_depctr 0xfff
	v_mul_f32_e32 v4, 0x3f317217, v2
	v_cmp_gt_f32_e64 s1, 0x7f800000, |v2|
	v_fma_f32 v7, 0x3f317217, v2, -v4
	s_delay_alu instid0(VALU_DEP_1) | instskip(NEXT) | instid1(VALU_DEP_1)
	v_dual_mul_f32 v6, v5, v3 :: v_dual_fmamk_f32 v7, v2, 0x3377d1cf, v7
	v_fma_f32 v8, -v1, v6, v5
	s_delay_alu instid0(VALU_DEP_2) | instskip(NEXT) | instid1(VALU_DEP_2)
	v_add_f32_e32 v4, v4, v7
	v_fmac_f32_e32 v6, v8, v3
	s_delay_alu instid0(VALU_DEP_2) | instskip(NEXT) | instid1(VALU_DEP_2)
	v_cndmask_b32_e64 v2, v2, v4, s1
	v_fma_f32 v1, -v1, v6, v5
	v_cndmask_b32_e64 v4, 0, 0x41b17218, vcc_lo
	s_mov_b32 vcc_lo, s0
	s_delay_alu instid0(VALU_DEP_2) | instskip(NEXT) | instid1(VALU_DEP_2)
	v_div_fmas_f32 v1, v1, v3, v6
	v_sub_f32_e32 v2, v2, v4
	s_delay_alu instid0(VALU_DEP_2) | instskip(NEXT) | instid1(VALU_DEP_1)
	v_div_fixup_f32 v1, v1, v43, -1.0
	v_fmac_f32_e32 v1, v2, v0
	s_delay_alu instid0(VALU_DEP_1) | instskip(NEXT) | instid1(VALU_DEP_1)
	v_mul_f32_e32 v58, 0x3f22f983, v1
	v_fmac_f32_e32 v58, v43, v41
.LBB15_36:
	s_or_b32 exec_lo, exec_lo, s39
.LBB15_37:
	s_delay_alu instid0(SALU_CYCLE_1)
	s_or_b32 exec_lo, exec_lo, s38
.LBB15_38:
	s_and_not1_saveexec_b32 s3, s35
	s_cbranch_execz .LBB15_48
; %bb.39:
	v_add_f32_e32 v0, 0xc016cbe4, v43
                                        ; implicit-def: $vgpr3
                                        ; implicit-def: $vgpr2
	s_delay_alu instid0(VALU_DEP_1) | instskip(SKIP_1) | instid1(VALU_DEP_2)
	v_and_b32_e32 v1, 0x7fffffff, v0
	v_cmp_ngt_f32_e64 s4, 0x48000000, |v0|
	v_lshrrev_b32_e32 v5, 23, v1
	s_delay_alu instid0(VALU_DEP_2) | instskip(NEXT) | instid1(SALU_CYCLE_1)
	s_and_saveexec_b32 s0, s4
	s_xor_b32 s5, exec_lo, s0
	s_cbranch_execz .LBB15_41
; %bb.40:
	s_mov_b32 s0, 0x7fffff
	v_mov_b32_e32 v4, 0
	v_and_or_b32 v13, v1, s0, 0x800000
	v_add_nc_u32_e32 v11, 0xffffff88, v5
	s_delay_alu instid0(VALU_DEP_2) | instskip(NEXT) | instid1(VALU_DEP_2)
	v_mad_u64_u32 v[2:3], null, 0xfe5163ab, v13, 0
	v_cmp_lt_u32_e32 vcc_lo, 63, v11
	v_cndmask_b32_e64 v12, 0, 0xffffffc0, vcc_lo
	s_delay_alu instid0(VALU_DEP_3) | instskip(NEXT) | instid1(VALU_DEP_1)
	v_mad_u64_u32 v[6:7], null, 0x3c439041, v13, v[3:4]
	v_dual_mov_b32 v3, v7 :: v_dual_add_nc_u32 v12, v12, v11
	s_delay_alu instid0(VALU_DEP_1) | instskip(NEXT) | instid1(VALU_DEP_2)
	v_cmp_lt_u32_e64 s0, 31, v12
	v_mad_u64_u32 v[7:8], null, 0xdb629599, v13, v[3:4]
	s_delay_alu instid0(VALU_DEP_2) | instskip(NEXT) | instid1(VALU_DEP_1)
	v_cndmask_b32_e64 v14, 0, 0xffffffe0, s0
	v_dual_mov_b32 v3, v8 :: v_dual_add_nc_u32 v14, v14, v12
	s_delay_alu instid0(VALU_DEP_3) | instskip(NEXT) | instid1(VALU_DEP_2)
	v_cndmask_b32_e32 v2, v7, v2, vcc_lo
	v_cmp_lt_u32_e64 s1, 31, v14
	s_delay_alu instid0(VALU_DEP_3) | instskip(NEXT) | instid1(VALU_DEP_1)
	v_mad_u64_u32 v[8:9], null, 0xf534ddc0, v13, v[3:4]
	v_dual_mov_b32 v3, v9 :: v_dual_cndmask_b32 v6, v8, v6
	s_delay_alu instid0(VALU_DEP_1) | instskip(NEXT) | instid1(VALU_DEP_2)
	v_mad_u64_u32 v[9:10], null, 0xfc2757d1, v13, v[3:4]
	v_cndmask_b32_e64 v2, v6, v2, s0
	s_delay_alu instid0(VALU_DEP_2) | instskip(NEXT) | instid1(VALU_DEP_1)
	v_mov_b32_e32 v3, v10
	v_mad_u64_u32 v[10:11], null, 0x4e441529, v13, v[3:4]
	s_delay_alu instid0(VALU_DEP_1) | instskip(NEXT) | instid1(VALU_DEP_1)
	v_mov_b32_e32 v3, v11
	v_mad_u64_u32 v[11:12], null, 0xa2f9836e, v13, v[3:4]
	v_cndmask_b32_e64 v3, 0, 0xffffffe0, s1
	s_delay_alu instid0(VALU_DEP_1) | instskip(NEXT) | instid1(VALU_DEP_3)
	v_dual_cndmask_b32 v4, v10, v8 :: v_dual_add_nc_u32 v3, v3, v14
	v_dual_cndmask_b32 v11, v11, v9 :: v_dual_cndmask_b32 v10, v12, v10
	v_cndmask_b32_e32 v9, v9, v7, vcc_lo
	s_delay_alu instid0(VALU_DEP_3) | instskip(NEXT) | instid1(VALU_DEP_3)
	v_cmp_eq_u32_e64 s2, 0, v3
	v_cndmask_b32_e64 v8, v11, v4, s0
	s_delay_alu instid0(VALU_DEP_4) | instskip(NEXT) | instid1(VALU_DEP_4)
	v_cndmask_b32_e64 v10, v10, v11, s0
	v_cndmask_b32_e64 v4, v4, v9, s0
	v_sub_nc_u32_e32 v11, 32, v3
	v_cndmask_b32_e64 v9, v9, v6, s0
	s_delay_alu instid0(VALU_DEP_4) | instskip(NEXT) | instid1(VALU_DEP_4)
	v_cndmask_b32_e64 v10, v10, v8, s1
	v_cndmask_b32_e64 v8, v8, v4, s1
	s_delay_alu instid0(VALU_DEP_3) | instskip(SKIP_1) | instid1(VALU_DEP_3)
	v_cndmask_b32_e64 v4, v4, v9, s1
	v_cndmask_b32_e64 v2, v9, v2, s1
	v_alignbit_b32 v12, v10, v8, v11
	s_delay_alu instid0(VALU_DEP_3) | instskip(NEXT) | instid1(VALU_DEP_3)
	v_alignbit_b32 v13, v8, v4, v11
	v_alignbit_b32 v11, v4, v2, v11
	s_delay_alu instid0(VALU_DEP_3) | instskip(NEXT) | instid1(VALU_DEP_3)
	v_cndmask_b32_e64 v3, v12, v10, s2
	v_cndmask_b32_e64 v7, v13, v8, s2
	s_delay_alu instid0(VALU_DEP_3) | instskip(NEXT) | instid1(VALU_DEP_3)
	v_cndmask_b32_e64 v4, v11, v4, s2
	v_bfe_u32 v8, v3, 29, 1
	s_delay_alu instid0(VALU_DEP_3) | instskip(NEXT) | instid1(VALU_DEP_3)
	v_alignbit_b32 v6, v3, v7, 30
	v_alignbit_b32 v7, v7, v4, 30
	v_alignbit_b32 v2, v4, v2, 30
	s_delay_alu instid0(VALU_DEP_4) | instskip(NEXT) | instid1(VALU_DEP_1)
	v_sub_nc_u32_e32 v10, 0, v8
	v_xor_b32_e32 v9, v6, v10
	v_cmp_ne_u32_e32 vcc_lo, v6, v10
	v_xor_b32_e32 v4, v7, v10
	v_xor_b32_e32 v2, v2, v10
	s_delay_alu instid0(VALU_DEP_4) | instskip(NEXT) | instid1(VALU_DEP_1)
	v_clz_i32_u32_e32 v12, v9
	v_add_nc_u32_e32 v11, 1, v12
	s_delay_alu instid0(VALU_DEP_1) | instskip(NEXT) | instid1(VALU_DEP_1)
	v_cndmask_b32_e32 v6, 33, v11, vcc_lo
	v_sub_nc_u32_e32 v7, 32, v6
	s_delay_alu instid0(VALU_DEP_1) | instskip(SKIP_3) | instid1(VALU_DEP_3)
	v_alignbit_b32 v9, v9, v4, v7
	v_alignbit_b32 v2, v4, v2, v7
	v_lshrrev_b32_e32 v4, 29, v3
	v_lshrrev_b32_e32 v3, 30, v3
	v_alignbit_b32 v7, v9, v2, 9
	s_delay_alu instid0(VALU_DEP_3) | instskip(SKIP_1) | instid1(VALU_DEP_4)
	v_lshlrev_b32_e32 v4, 31, v4
	v_alignbit_b32 v9, v6, v9, 9
	v_add_nc_u32_e32 v3, v8, v3
	s_delay_alu instid0(VALU_DEP_4) | instskip(NEXT) | instid1(VALU_DEP_3)
	v_clz_i32_u32_e32 v10, v7
	v_or_b32_e32 v9, v9, v4
	v_or_b32_e32 v4, 0x33800000, v4
	s_delay_alu instid0(VALU_DEP_3) | instskip(NEXT) | instid1(VALU_DEP_3)
	v_min_u32_e32 v10, 32, v10
	v_xor_b32_e32 v9, 1.0, v9
	s_delay_alu instid0(VALU_DEP_2) | instskip(SKIP_1) | instid1(VALU_DEP_3)
	v_sub_nc_u32_e32 v11, 31, v10
	v_add_lshl_u32 v6, v10, v6, 23
	v_mul_f32_e32 v10, 0x3fc90fda, v9
	s_delay_alu instid0(VALU_DEP_3) | instskip(NEXT) | instid1(VALU_DEP_3)
	v_alignbit_b32 v2, v7, v2, v11
	v_sub_nc_u32_e32 v4, v4, v6
	s_delay_alu instid0(VALU_DEP_3) | instskip(NEXT) | instid1(VALU_DEP_3)
	v_fma_f32 v6, 0x3fc90fda, v9, -v10
	v_lshrrev_b32_e32 v2, 9, v2
	s_delay_alu instid0(VALU_DEP_2) | instskip(NEXT) | instid1(VALU_DEP_2)
	v_fmamk_f32 v6, v9, 0x33a22168, v6
	v_or_b32_e32 v2, v4, v2
	s_delay_alu instid0(VALU_DEP_1) | instskip(NEXT) | instid1(VALU_DEP_1)
	v_fmac_f32_e32 v6, 0x3fc90fda, v2
	v_add_f32_e32 v2, v10, v6
	s_or_saveexec_b32 s0, s5
	v_mul_f32_e64 v7, 0x3f22f983, |v0|
	s_xor_b32 exec_lo, exec_lo, s0
	s_branch .LBB15_42
.LBB15_41:
	s_or_saveexec_b32 s0, s5
	v_mul_f32_e64 v7, 0x3f22f983, |v0|
	s_xor_b32 exec_lo, exec_lo, s0
.LBB15_42:
	s_delay_alu instid0(VALU_DEP_1) | instskip(NEXT) | instid1(VALU_DEP_1)
	v_rndne_f32_e32 v3, v7
	v_fma_f32 v2, 0xbfc90fda, v3, |v0|
	s_delay_alu instid0(VALU_DEP_1) | instskip(NEXT) | instid1(VALU_DEP_1)
	v_fmamk_f32 v2, v3, 0xb3a22168, v2
	v_fmamk_f32 v2, v3, 0xa7c234c4, v2
	v_cvt_i32_f32_e32 v3, v3
; %bb.43:
	s_or_b32 exec_lo, exec_lo, s0
                                        ; implicit-def: $vgpr6
                                        ; implicit-def: $vgpr4
	s_and_saveexec_b32 s0, s4
	s_delay_alu instid0(SALU_CYCLE_1)
	s_xor_b32 s4, exec_lo, s0
	s_cbranch_execz .LBB15_45
; %bb.44:
	s_mov_b32 s0, 0x7fffff
	v_mov_b32_e32 v8, 0
	v_and_or_b32 v15, v1, s0, 0x800000
	s_delay_alu instid0(VALU_DEP_1) | instskip(NEXT) | instid1(VALU_DEP_1)
	v_mad_u64_u32 v[6:7], null, 0xfe5163ab, v15, 0
	v_mad_u64_u32 v[9:10], null, 0x3c439041, v15, v[7:8]
	s_delay_alu instid0(VALU_DEP_1) | instskip(NEXT) | instid1(VALU_DEP_1)
	v_mov_b32_e32 v7, v10
	v_mad_u64_u32 v[10:11], null, 0xdb629599, v15, v[7:8]
	s_delay_alu instid0(VALU_DEP_1) | instskip(NEXT) | instid1(VALU_DEP_1)
	v_mov_b32_e32 v7, v11
	v_mad_u64_u32 v[11:12], null, 0xf534ddc0, v15, v[7:8]
	s_delay_alu instid0(VALU_DEP_1) | instskip(NEXT) | instid1(VALU_DEP_1)
	v_dual_mov_b32 v7, v12 :: v_dual_add_nc_u32 v12, 0xffffff88, v5
	v_mad_u64_u32 v[4:5], null, 0xfc2757d1, v15, v[7:8]
	s_delay_alu instid0(VALU_DEP_2) | instskip(SKIP_1) | instid1(VALU_DEP_3)
	v_cmp_lt_u32_e32 vcc_lo, 63, v12
	v_cndmask_b32_e64 v13, 0, 0xffffffc0, vcc_lo
	v_dual_mov_b32 v7, v5 :: v_dual_cndmask_b32 v6, v10, v6
	s_delay_alu instid0(VALU_DEP_2) | instskip(NEXT) | instid1(VALU_DEP_2)
	v_add_nc_u32_e32 v5, v13, v12
	v_mad_u64_u32 v[12:13], null, 0x4e441529, v15, v[7:8]
	s_delay_alu instid0(VALU_DEP_2) | instskip(NEXT) | instid1(VALU_DEP_2)
	v_cmp_lt_u32_e64 s0, 31, v5
	v_mov_b32_e32 v7, v13
	s_delay_alu instid0(VALU_DEP_2) | instskip(NEXT) | instid1(VALU_DEP_1)
	v_cndmask_b32_e64 v14, 0, 0xffffffe0, s0
	v_add_nc_u32_e32 v5, v14, v5
	s_delay_alu instid0(VALU_DEP_3) | instskip(SKIP_1) | instid1(VALU_DEP_3)
	v_mad_u64_u32 v[13:14], null, 0xa2f9836e, v15, v[7:8]
	v_cndmask_b32_e32 v8, v12, v11, vcc_lo
	v_cmp_lt_u32_e64 s1, 31, v5
	s_delay_alu instid0(VALU_DEP_3) | instskip(NEXT) | instid1(VALU_DEP_2)
	v_cndmask_b32_e32 v13, v13, v4, vcc_lo
	v_cndmask_b32_e64 v7, 0, 0xffffffe0, s1
	v_cndmask_b32_e32 v12, v14, v12, vcc_lo
	s_delay_alu instid0(VALU_DEP_2) | instskip(SKIP_2) | instid1(VALU_DEP_4)
	v_dual_cndmask_b32 v4, v4, v10 :: v_dual_add_nc_u32 v5, v7, v5
	v_cndmask_b32_e32 v7, v11, v9, vcc_lo
	v_cndmask_b32_e64 v9, v13, v8, s0
	v_cndmask_b32_e64 v11, v12, v13, s0
	s_delay_alu instid0(VALU_DEP_4)
	v_cndmask_b32_e64 v8, v8, v4, s0
	v_sub_nc_u32_e32 v12, 32, v5
	v_cndmask_b32_e64 v4, v4, v7, s0
	v_cmp_eq_u32_e64 s2, 0, v5
	v_cndmask_b32_e64 v11, v11, v9, s1
	v_cndmask_b32_e64 v9, v9, v8, s1
	;; [unrolled: 1-line block ×4, first 2 shown]
	s_delay_alu instid0(VALU_DEP_3) | instskip(NEXT) | instid1(VALU_DEP_3)
	v_alignbit_b32 v13, v11, v9, v12
	v_cndmask_b32_e64 v4, v4, v6, s1
	s_delay_alu instid0(VALU_DEP_3) | instskip(NEXT) | instid1(VALU_DEP_3)
	v_alignbit_b32 v14, v9, v8, v12
	v_cndmask_b32_e64 v5, v13, v11, s2
	;; [unrolled: 3-line block ×3, first 2 shown]
	s_delay_alu instid0(VALU_DEP_3) | instskip(NEXT) | instid1(VALU_DEP_3)
	v_bfe_u32 v10, v5, 29, 1
	v_cndmask_b32_e64 v8, v12, v8, s2
	s_delay_alu instid0(VALU_DEP_3) | instskip(NEXT) | instid1(VALU_DEP_3)
	v_alignbit_b32 v7, v5, v9, 30
	v_sub_nc_u32_e32 v11, 0, v10
	s_delay_alu instid0(VALU_DEP_3) | instskip(SKIP_1) | instid1(VALU_DEP_3)
	v_alignbit_b32 v9, v9, v8, 30
	v_alignbit_b32 v4, v8, v4, 30
	v_xor_b32_e32 v6, v7, v11
	v_cmp_ne_u32_e32 vcc_lo, v7, v11
	s_delay_alu instid0(VALU_DEP_4) | instskip(NEXT) | instid1(VALU_DEP_4)
	v_xor_b32_e32 v8, v9, v11
	v_xor_b32_e32 v4, v4, v11
	s_delay_alu instid0(VALU_DEP_4) | instskip(NEXT) | instid1(VALU_DEP_1)
	v_clz_i32_u32_e32 v13, v6
	v_add_nc_u32_e32 v12, 1, v13
	s_delay_alu instid0(VALU_DEP_1) | instskip(NEXT) | instid1(VALU_DEP_1)
	v_cndmask_b32_e32 v7, 33, v12, vcc_lo
	v_sub_nc_u32_e32 v9, 32, v7
	s_delay_alu instid0(VALU_DEP_1) | instskip(SKIP_3) | instid1(VALU_DEP_3)
	v_alignbit_b32 v6, v6, v8, v9
	v_alignbit_b32 v4, v8, v4, v9
	v_lshrrev_b32_e32 v8, 29, v5
	v_lshrrev_b32_e32 v5, 30, v5
	v_alignbit_b32 v9, v6, v4, 9
	s_delay_alu instid0(VALU_DEP_3) | instskip(SKIP_1) | instid1(VALU_DEP_3)
	v_lshlrev_b32_e32 v8, 31, v8
	v_alignbit_b32 v6, v7, v6, 9
	v_clz_i32_u32_e32 v11, v9
	s_delay_alu instid0(VALU_DEP_2) | instskip(SKIP_1) | instid1(VALU_DEP_3)
	v_or_b32_e32 v6, v6, v8
	v_or_b32_e32 v8, 0x33800000, v8
	v_min_u32_e32 v11, 32, v11
	s_delay_alu instid0(VALU_DEP_3) | instskip(NEXT) | instid1(VALU_DEP_2)
	v_xor_b32_e32 v6, 1.0, v6
	v_sub_nc_u32_e32 v12, 31, v11
	v_add_lshl_u32 v7, v11, v7, 23
	s_delay_alu instid0(VALU_DEP_3) | instskip(NEXT) | instid1(VALU_DEP_3)
	v_mul_f32_e32 v11, 0x3fc90fda, v6
	v_alignbit_b32 v4, v9, v4, v12
	s_delay_alu instid0(VALU_DEP_3) | instskip(NEXT) | instid1(VALU_DEP_3)
	v_sub_nc_u32_e32 v7, v8, v7
	v_fma_f32 v8, 0x3fc90fda, v6, -v11
	s_delay_alu instid0(VALU_DEP_3) | instskip(NEXT) | instid1(VALU_DEP_2)
	v_lshrrev_b32_e32 v4, 9, v4
	v_fmamk_f32 v6, v6, 0x33a22168, v8
	s_delay_alu instid0(VALU_DEP_2) | instskip(NEXT) | instid1(VALU_DEP_1)
	v_or_b32_e32 v4, v7, v4
                                        ; implicit-def: $vgpr7
	v_fmac_f32_e32 v6, 0x3fc90fda, v4
	s_delay_alu instid0(VALU_DEP_1)
	v_add_f32_e32 v4, v11, v6
	v_add_nc_u32_e32 v6, v10, v5
	s_and_not1_saveexec_b32 s0, s4
	s_cbranch_execnz .LBB15_46
	s_branch .LBB15_47
.LBB15_45:
	s_and_not1_saveexec_b32 s0, s4
.LBB15_46:
	v_rndne_f32_e32 v5, v7
	s_delay_alu instid0(VALU_DEP_1) | instskip(SKIP_1) | instid1(VALU_DEP_2)
	v_fma_f32 v4, 0xbfc90fda, v5, |v0|
	v_cvt_i32_f32_e32 v6, v5
	v_fmamk_f32 v4, v5, 0xb3a22168, v4
	s_delay_alu instid0(VALU_DEP_1)
	v_fmamk_f32 v4, v5, 0xa7c234c4, v4
.LBB15_47:
	s_or_b32 exec_lo, exec_lo, s0
	v_div_scale_f32 v5, null, v43, v43, 0x40a00000
	v_div_scale_f32 v9, vcc_lo, 0x40a00000, v43, 0x40a00000
	s_mov_b32 s0, 0xb94c1982
	s_delay_alu instid0(VALU_DEP_2) | instskip(SKIP_4) | instid1(VALU_DEP_1)
	v_rcp_f32_e32 v7, v5
	s_mov_b32 s1, 0x37d75334
	v_xor_b32_e32 v1, v1, v0
	s_waitcnt_depctr 0xfff
	v_fma_f32 v8, -v5, v7, 1.0
	v_fmac_f32_e32 v7, v8, v7
	s_delay_alu instid0(VALU_DEP_1) | instskip(NEXT) | instid1(VALU_DEP_1)
	v_mul_f32_e32 v8, v9, v7
	v_fma_f32 v10, -v5, v8, v9
	s_delay_alu instid0(VALU_DEP_1) | instskip(SKIP_1) | instid1(VALU_DEP_2)
	v_fmac_f32_e32 v8, v10, v7
	v_mul_f32_e32 v10, v4, v4
	v_fma_f32 v5, -v5, v8, v9
	s_delay_alu instid0(VALU_DEP_2) | instskip(SKIP_1) | instid1(VALU_DEP_3)
	v_fmaak_f32 v19, s0, v10, 0x3c0881c4
	v_fmaak_f32 v20, s1, v10, 0xbab64f3b
	v_div_fmas_f32 v5, v5, v7, v8
	v_mul_f32_e32 v7, v2, v2
	s_delay_alu instid0(VALU_DEP_4) | instskip(NEXT) | instid1(VALU_DEP_4)
	v_fmaak_f32 v19, v10, v19, 0xbe2aaa9d
	v_fmaak_f32 v20, v10, v20, 0x3d2aabf7
	s_delay_alu instid0(VALU_DEP_4) | instskip(NEXT) | instid1(VALU_DEP_4)
	v_div_fixup_f32 v5, v5, v43, 0x40a00000
	v_fmaak_f32 v17, s0, v7, 0x3c0881c4
	v_fmaak_f32 v18, s1, v7, 0xbab64f3b
	v_cmp_gt_f32_e64 s0, 0xf800000, v43
	v_mul_f32_e32 v19, v10, v19
	v_dual_mul_f32 v9, v5, v5 :: v_dual_and_b32 v8, 1, v3
	v_lshlrev_b32_e32 v3, 30, v3
	v_and_b32_e32 v11, 1, v6
	s_delay_alu instid0(VALU_DEP_3)
	v_dual_fmaak_f32 v15, 0, v9, 0x42947983 :: v_dual_lshlrev_b32 v6, 30, v6
	v_fmaak_f32 v12, 0, v9, 0x3d513fd3
	v_fmaak_f32 v13, 0, v9, 0x3a15c4d9
	;; [unrolled: 1-line block ×6, first 2 shown]
	v_dual_fmaak_f32 v13, v9, v13, 0x3d8cfeeb :: v_dual_fmac_f32 v4, v4, v19
	s_delay_alu instid0(VALU_DEP_4) | instskip(SKIP_1) | instid1(VALU_DEP_4)
	v_dual_fmaak_f32 v14, v9, v14, 0x3d95ca45 :: v_dual_mul_f32 v17, v7, v17
	v_fmaak_f32 v15, v9, v15, 0x44840e5d
	v_fmaak_f32 v12, v9, v12, 0x4297a5cd
	s_delay_alu instid0(VALU_DEP_4) | instskip(NEXT) | instid1(VALU_DEP_4)
	v_fmaak_f32 v13, v9, v13, 0x3f8d754e
	v_fmaak_f32 v14, v9, v14, 0x3f9047f6
	s_delay_alu instid0(VALU_DEP_4) | instskip(NEXT) | instid1(VALU_DEP_4)
	v_dual_fmac_f32 v2, v2, v17 :: v_dual_fmaak_f32 v15, v9, v15, 0x459bd349
	v_fmaak_f32 v12, v9, v12, 0x43b763ca
	v_fmaak_f32 v18, v7, v18, 0xbf000004
	s_delay_alu instid0(VALU_DEP_4)
	v_fmaak_f32 v14, v9, v14, 0x40a39628
	v_fmaak_f32 v13, v9, v13, 0x40a25d18
	;; [unrolled: 1-line block ×9, first 2 shown]
	v_fma_f32 v7, v7, v18, 1.0
	v_fmaak_f32 v14, v9, v14, 0x40a6dd51
	v_fmaak_f32 v13, v9, v13, 0x40a6b6ea
	;; [unrolled: 1-line block ×4, first 2 shown]
	v_fma_f32 v10, v10, v20, 1.0
	v_fma_f32 v14, v9, v14, 1.0
	;; [unrolled: 1-line block ×3, first 2 shown]
	v_fmaak_f32 v15, v9, v15, 0x43a80bfb
	v_fmaak_f32 v9, v9, v12, 0x41c9a7fa
	v_cmp_eq_u32_e64 s2, 0, v8
	v_and_b32_e32 v3, 0x80000000, v3
	v_div_scale_f32 v12, null, v13, v13, v14
	s_delay_alu instid0(VALU_DEP_4) | instskip(SKIP_1) | instid1(VALU_DEP_3)
	v_div_scale_f32 v21, null, v15, v15, v9
	v_div_scale_f32 v27, vcc_lo, v14, v13, v14
	v_rcp_f32_e32 v22, v12
	s_delay_alu instid0(VALU_DEP_2) | instskip(SKIP_3) | instid1(VALU_DEP_3)
	v_rcp_f32_e32 v23, v21
	v_cndmask_b32_e64 v2, v7, v2, s2
	v_cmp_eq_u32_e64 s2, 0, v11
	v_and_b32_e32 v6, 0x80000000, v6
	v_xor3_b32 v1, v1, v3, v2
	s_delay_alu instid0(VALU_DEP_3) | instskip(NEXT) | instid1(TRANS32_DEP_2)
	v_cndmask_b32_e64 v4, -v4, v10, s2
	v_fma_f32 v25, -v12, v22, 1.0
	s_delay_alu instid0(TRANS32_DEP_1) | instskip(NEXT) | instid1(VALU_DEP_3)
	v_fma_f32 v26, -v21, v23, 1.0
	v_xor_b32_e32 v4, v6, v4
	s_delay_alu instid0(VALU_DEP_3) | instskip(SKIP_3) | instid1(VALU_DEP_4)
	v_fmac_f32_e32 v22, v25, v22
	v_mul_f32_e32 v16, 0x4f800000, v43
	v_div_scale_f32 v25, s1, v9, v15, v9
	v_fmac_f32_e32 v23, v26, v23
	v_mul_f32_e32 v17, v27, v22
	s_delay_alu instid0(VALU_DEP_4) | instskip(NEXT) | instid1(VALU_DEP_3)
	v_cndmask_b32_e64 v16, v43, v16, s0
	v_mul_f32_e32 v18, v25, v23
	s_delay_alu instid0(VALU_DEP_3) | instskip(NEXT) | instid1(VALU_DEP_3)
	v_fma_f32 v20, -v12, v17, v27
	v_sqrt_f32_e32 v24, v16
	s_delay_alu instid0(VALU_DEP_2) | instskip(NEXT) | instid1(VALU_DEP_2)
	v_fma_f32 v28, -v21, v18, v25
	v_fmac_f32_e32 v17, v20, v22
	s_delay_alu instid0(VALU_DEP_2) | instskip(NEXT) | instid1(VALU_DEP_2)
	v_fmac_f32_e32 v18, v28, v23
	v_fma_f32 v10, -v12, v17, v27
	s_waitcnt_depctr 0xfff
	v_add_nc_u32_e32 v19, -1, v24
	v_add_nc_u32_e32 v26, 1, v24
	v_fma_f32 v2, -v21, v18, v25
	v_div_fmas_f32 v3, v10, v22, v17
	s_delay_alu instid0(VALU_DEP_4)
	v_fma_f32 v7, -v19, v24, v16
	s_mov_b32 vcc_lo, s1
	v_fma_f32 v8, -v26, v24, v16
	v_div_fmas_f32 v2, v2, v23, v18
	v_div_fixup_f32 v3, v3, v13, v14
	v_cmp_ge_f32_e32 vcc_lo, 0, v7
	s_delay_alu instid0(VALU_DEP_4) | instskip(SKIP_3) | instid1(VALU_DEP_3)
	v_cmp_lt_f32_e64 s1, 0, v8
	v_cndmask_b32_e32 v6, v24, v19, vcc_lo
	v_cmp_class_f32_e64 vcc_lo, v0, 0x1f8
	v_div_fixup_f32 v0, v2, v15, v9
	v_cndmask_b32_e64 v2, v6, v26, s1
	v_cndmask_b32_e32 v4, 0x7fc00000, v4, vcc_lo
	s_delay_alu instid0(VALU_DEP_3) | instskip(SKIP_1) | instid1(VALU_DEP_2)
	v_dual_mul_f32 v0, v5, v0 :: v_dual_cndmask_b32 v1, 0x7fc00000, v1
	v_cmp_class_f32_e64 vcc_lo, v16, 0x260
	v_dual_mul_f32 v5, 0x37800000, v2 :: v_dual_mul_f32 v0, v0, v4
	s_delay_alu instid0(VALU_DEP_1) | instskip(NEXT) | instid1(VALU_DEP_1)
	v_cndmask_b32_e64 v2, v2, v5, s0
	v_dual_fmac_f32 v0, v3, v1 :: v_dual_cndmask_b32 v1, v2, v16
	s_delay_alu instid0(VALU_DEP_1) | instskip(NEXT) | instid1(VALU_DEP_1)
	v_mul_f32_e32 v0, 0x3f4c422a, v0
	v_div_scale_f32 v2, null, v1, v1, v0
	s_delay_alu instid0(VALU_DEP_1) | instskip(SKIP_2) | instid1(VALU_DEP_1)
	v_rcp_f32_e32 v3, v2
	s_waitcnt_depctr 0xfff
	v_fma_f32 v4, -v2, v3, 1.0
	v_fmac_f32_e32 v3, v4, v3
	v_div_scale_f32 v4, vcc_lo, v0, v1, v0
	s_delay_alu instid0(VALU_DEP_1) | instskip(NEXT) | instid1(VALU_DEP_1)
	v_mul_f32_e32 v5, v4, v3
	v_fma_f32 v6, -v2, v5, v4
	s_delay_alu instid0(VALU_DEP_1) | instskip(NEXT) | instid1(VALU_DEP_1)
	v_fmac_f32_e32 v5, v6, v3
	v_fma_f32 v2, -v2, v5, v4
	s_delay_alu instid0(VALU_DEP_1) | instskip(NEXT) | instid1(VALU_DEP_1)
	v_div_fmas_f32 v2, v2, v3, v5
	v_div_fixup_f32 v58, v2, v1, v0
.LBB15_48:
	s_or_b32 exec_lo, exec_lo, s3
	s_delay_alu instid0(SALU_CYCLE_1)
	s_mov_b32 s0, exec_lo
	v_cmpx_ge_f32_e32 0x40a00000, v44
	s_xor_b32 s35, exec_lo, s0
	s_cbranch_execz .LBB15_54
; %bb.49:
	v_mov_b32_e32 v59, 0xff800000
	s_mov_b32 s38, exec_lo
	v_cmpx_neq_f32_e32 0, v44
	s_cbranch_execz .LBB15_53
; %bb.50:
	v_mov_b32_e32 v59, 0x7fc00000
	s_mov_b32 s39, exec_lo
	v_cmpx_nge_f32_e32 0, v44
	s_cbranch_execz .LBB15_52
; %bb.51:
	v_mul_f32_e32 v0, v44, v44
	s_getpc_b64 s[0:1]
	s_add_u32 s0, s0, _Z17bessel_j1_forwardIfET_S0_@rel32@lo+4
	s_addc_u32 s1, s1, _Z17bessel_j1_forwardIfET_S0_@rel32@hi+12
	s_delay_alu instid0(VALU_DEP_1) | instskip(SKIP_1) | instid1(VALU_DEP_2)
	v_fmaak_f32 v1, 0, v0, 0x4414934d
	v_fmaak_f32 v2, 0, v0, 0x4e9695f3
	;; [unrolled: 1-line block ×3, first 2 shown]
	s_delay_alu instid0(VALU_DEP_2) | instskip(NEXT) | instid1(VALU_DEP_2)
	v_fmaak_f32 v2, v0, v2, 0xd316b96b
	v_fmaak_f32 v1, v0, v1, 0x4c8c277d
	s_delay_alu instid0(VALU_DEP_2) | instskip(NEXT) | instid1(VALU_DEP_2)
	v_fmaak_f32 v2, v0, v2, 0x56d04aa6
	v_fmaak_f32 v1, v0, v1, 0x508bc61d
	;; [unrolled: 3-line block ×5, first 2 shown]
	s_delay_alu instid0(VALU_DEP_1) | instskip(NEXT) | instid1(VALU_DEP_1)
	v_fmaak_f32 v0, v0, v1, 0x5e5c878d
	v_div_scale_f32 v1, null, v0, v0, v2
	v_div_scale_f32 v5, vcc_lo, v2, v0, v2
	s_delay_alu instid0(VALU_DEP_2) | instskip(SKIP_2) | instid1(VALU_DEP_1)
	v_rcp_f32_e32 v3, v1
	s_waitcnt_depctr 0xfff
	v_fma_f32 v4, -v1, v3, 1.0
	v_fmac_f32_e32 v3, v4, v3
	s_delay_alu instid0(VALU_DEP_1) | instskip(NEXT) | instid1(VALU_DEP_1)
	v_mul_f32_e32 v4, v5, v3
	v_fma_f32 v6, -v1, v4, v5
	s_delay_alu instid0(VALU_DEP_1) | instskip(NEXT) | instid1(VALU_DEP_1)
	v_fmac_f32_e32 v4, v6, v3
	v_fma_f32 v1, -v1, v4, v5
	s_delay_alu instid0(VALU_DEP_1) | instskip(NEXT) | instid1(VALU_DEP_1)
	v_div_fmas_f32 v1, v1, v3, v4
	v_div_fixup_f32 v41, v1, v0, v2
	v_mov_b32_e32 v0, v44
	s_swappc_b64 s[30:31], s[0:1]
	v_cmp_gt_f32_e32 vcc_lo, 0x800000, v44
	v_div_scale_f32 v1, null, v44, v44, -1.0
	v_div_scale_f32 v5, s0, -1.0, v44, -1.0
	v_cndmask_b32_e64 v2, 1.0, 0x4f800000, vcc_lo
	s_delay_alu instid0(VALU_DEP_3) | instskip(NEXT) | instid1(VALU_DEP_1)
	v_rcp_f32_e32 v3, v1
	v_mul_f32_e32 v2, v44, v2
	s_delay_alu instid0(VALU_DEP_1) | instskip(SKIP_2) | instid1(VALU_DEP_1)
	v_log_f32_e32 v2, v2
	s_waitcnt_depctr 0xfff
	v_fma_f32 v4, -v1, v3, 1.0
	v_dual_fmac_f32 v3, v4, v3 :: v_dual_mul_f32 v4, 0x3f317217, v2
	v_cmp_gt_f32_e64 s1, 0x7f800000, |v2|
	s_delay_alu instid0(VALU_DEP_2) | instskip(NEXT) | instid1(VALU_DEP_1)
	v_fma_f32 v7, 0x3f317217, v2, -v4
	v_dual_mul_f32 v6, v5, v3 :: v_dual_fmamk_f32 v7, v2, 0x3377d1cf, v7
	s_delay_alu instid0(VALU_DEP_1) | instskip(NEXT) | instid1(VALU_DEP_2)
	v_fma_f32 v8, -v1, v6, v5
	v_add_f32_e32 v4, v4, v7
	s_delay_alu instid0(VALU_DEP_1) | instskip(SKIP_2) | instid1(VALU_DEP_1)
	v_cndmask_b32_e64 v2, v2, v4, s1
	v_cndmask_b32_e64 v4, 0, 0x41b17218, vcc_lo
	s_mov_b32 vcc_lo, s0
	v_sub_f32_e32 v2, v2, v4
	v_fmac_f32_e32 v6, v8, v3
	s_delay_alu instid0(VALU_DEP_1) | instskip(NEXT) | instid1(VALU_DEP_1)
	v_fma_f32 v1, -v1, v6, v5
	v_div_fmas_f32 v1, v1, v3, v6
	s_delay_alu instid0(VALU_DEP_1) | instskip(NEXT) | instid1(VALU_DEP_1)
	v_div_fixup_f32 v1, v1, v44, -1.0
	v_fmac_f32_e32 v1, v2, v0
	s_delay_alu instid0(VALU_DEP_1) | instskip(NEXT) | instid1(VALU_DEP_1)
	v_mul_f32_e32 v59, 0x3f22f983, v1
	v_fmac_f32_e32 v59, v44, v41
.LBB15_52:
	s_or_b32 exec_lo, exec_lo, s39
.LBB15_53:
	s_delay_alu instid0(SALU_CYCLE_1)
	s_or_b32 exec_lo, exec_lo, s38
                                        ; implicit-def: $vgpr41_vgpr42_vgpr43_vgpr44
.LBB15_54:
	s_and_not1_saveexec_b32 s3, s35
	s_cbranch_execz .LBB15_64
; %bb.55:
	v_add_f32_e32 v0, 0xc016cbe4, v44
                                        ; implicit-def: $vgpr3
                                        ; implicit-def: $vgpr2
	s_delay_alu instid0(VALU_DEP_1) | instskip(SKIP_1) | instid1(VALU_DEP_2)
	v_and_b32_e32 v1, 0x7fffffff, v0
	v_cmp_ngt_f32_e64 s4, 0x48000000, |v0|
	v_lshrrev_b32_e32 v5, 23, v1
	s_delay_alu instid0(VALU_DEP_2) | instskip(NEXT) | instid1(SALU_CYCLE_1)
	s_and_saveexec_b32 s0, s4
	s_xor_b32 s5, exec_lo, s0
	s_cbranch_execz .LBB15_57
; %bb.56:
	s_mov_b32 s0, 0x7fffff
	v_mov_b32_e32 v4, 0
	v_and_or_b32 v13, v1, s0, 0x800000
	v_add_nc_u32_e32 v11, 0xffffff88, v5
	s_delay_alu instid0(VALU_DEP_2) | instskip(NEXT) | instid1(VALU_DEP_2)
	v_mad_u64_u32 v[2:3], null, 0xfe5163ab, v13, 0
	v_cmp_lt_u32_e32 vcc_lo, 63, v11
	v_cndmask_b32_e64 v12, 0, 0xffffffc0, vcc_lo
	s_delay_alu instid0(VALU_DEP_3) | instskip(NEXT) | instid1(VALU_DEP_1)
	v_mad_u64_u32 v[6:7], null, 0x3c439041, v13, v[3:4]
	v_dual_mov_b32 v3, v7 :: v_dual_add_nc_u32 v12, v12, v11
	s_delay_alu instid0(VALU_DEP_1) | instskip(NEXT) | instid1(VALU_DEP_2)
	v_cmp_lt_u32_e64 s0, 31, v12
	v_mad_u64_u32 v[7:8], null, 0xdb629599, v13, v[3:4]
	s_delay_alu instid0(VALU_DEP_2) | instskip(NEXT) | instid1(VALU_DEP_1)
	v_cndmask_b32_e64 v14, 0, 0xffffffe0, s0
	v_dual_mov_b32 v3, v8 :: v_dual_add_nc_u32 v14, v14, v12
	s_delay_alu instid0(VALU_DEP_3) | instskip(NEXT) | instid1(VALU_DEP_2)
	v_cndmask_b32_e32 v2, v7, v2, vcc_lo
	v_cmp_lt_u32_e64 s1, 31, v14
	s_delay_alu instid0(VALU_DEP_3) | instskip(NEXT) | instid1(VALU_DEP_1)
	v_mad_u64_u32 v[8:9], null, 0xf534ddc0, v13, v[3:4]
	v_dual_mov_b32 v3, v9 :: v_dual_cndmask_b32 v6, v8, v6
	s_delay_alu instid0(VALU_DEP_1) | instskip(NEXT) | instid1(VALU_DEP_2)
	v_mad_u64_u32 v[9:10], null, 0xfc2757d1, v13, v[3:4]
	v_cndmask_b32_e64 v2, v6, v2, s0
	s_delay_alu instid0(VALU_DEP_2) | instskip(NEXT) | instid1(VALU_DEP_1)
	v_mov_b32_e32 v3, v10
	v_mad_u64_u32 v[10:11], null, 0x4e441529, v13, v[3:4]
	s_delay_alu instid0(VALU_DEP_1) | instskip(NEXT) | instid1(VALU_DEP_1)
	v_mov_b32_e32 v3, v11
	v_mad_u64_u32 v[11:12], null, 0xa2f9836e, v13, v[3:4]
	v_cndmask_b32_e64 v3, 0, 0xffffffe0, s1
	s_delay_alu instid0(VALU_DEP_1) | instskip(NEXT) | instid1(VALU_DEP_3)
	v_dual_cndmask_b32 v4, v10, v8 :: v_dual_add_nc_u32 v3, v3, v14
	v_dual_cndmask_b32 v11, v11, v9 :: v_dual_cndmask_b32 v10, v12, v10
	v_cndmask_b32_e32 v9, v9, v7, vcc_lo
	s_delay_alu instid0(VALU_DEP_3) | instskip(NEXT) | instid1(VALU_DEP_3)
	v_cmp_eq_u32_e64 s2, 0, v3
	v_cndmask_b32_e64 v8, v11, v4, s0
	s_delay_alu instid0(VALU_DEP_4) | instskip(NEXT) | instid1(VALU_DEP_4)
	v_cndmask_b32_e64 v10, v10, v11, s0
	v_cndmask_b32_e64 v4, v4, v9, s0
	v_sub_nc_u32_e32 v11, 32, v3
	v_cndmask_b32_e64 v9, v9, v6, s0
	s_delay_alu instid0(VALU_DEP_4) | instskip(NEXT) | instid1(VALU_DEP_4)
	v_cndmask_b32_e64 v10, v10, v8, s1
	v_cndmask_b32_e64 v8, v8, v4, s1
	s_delay_alu instid0(VALU_DEP_3) | instskip(SKIP_1) | instid1(VALU_DEP_3)
	v_cndmask_b32_e64 v4, v4, v9, s1
	v_cndmask_b32_e64 v2, v9, v2, s1
	v_alignbit_b32 v12, v10, v8, v11
	s_delay_alu instid0(VALU_DEP_3) | instskip(NEXT) | instid1(VALU_DEP_3)
	v_alignbit_b32 v13, v8, v4, v11
	v_alignbit_b32 v11, v4, v2, v11
	s_delay_alu instid0(VALU_DEP_3) | instskip(NEXT) | instid1(VALU_DEP_3)
	v_cndmask_b32_e64 v3, v12, v10, s2
	v_cndmask_b32_e64 v7, v13, v8, s2
	s_delay_alu instid0(VALU_DEP_3) | instskip(NEXT) | instid1(VALU_DEP_3)
	v_cndmask_b32_e64 v4, v11, v4, s2
	v_bfe_u32 v8, v3, 29, 1
	s_delay_alu instid0(VALU_DEP_3) | instskip(NEXT) | instid1(VALU_DEP_3)
	v_alignbit_b32 v6, v3, v7, 30
	v_alignbit_b32 v7, v7, v4, 30
	;; [unrolled: 1-line block ×3, first 2 shown]
	s_delay_alu instid0(VALU_DEP_4) | instskip(NEXT) | instid1(VALU_DEP_1)
	v_sub_nc_u32_e32 v10, 0, v8
	v_xor_b32_e32 v9, v6, v10
	v_cmp_ne_u32_e32 vcc_lo, v6, v10
	v_xor_b32_e32 v4, v7, v10
	v_xor_b32_e32 v2, v2, v10
	s_delay_alu instid0(VALU_DEP_4) | instskip(NEXT) | instid1(VALU_DEP_1)
	v_clz_i32_u32_e32 v12, v9
	v_add_nc_u32_e32 v11, 1, v12
	s_delay_alu instid0(VALU_DEP_1) | instskip(NEXT) | instid1(VALU_DEP_1)
	v_cndmask_b32_e32 v6, 33, v11, vcc_lo
	v_sub_nc_u32_e32 v7, 32, v6
	s_delay_alu instid0(VALU_DEP_1) | instskip(SKIP_3) | instid1(VALU_DEP_3)
	v_alignbit_b32 v9, v9, v4, v7
	v_alignbit_b32 v2, v4, v2, v7
	v_lshrrev_b32_e32 v4, 29, v3
	v_lshrrev_b32_e32 v3, 30, v3
	v_alignbit_b32 v7, v9, v2, 9
	s_delay_alu instid0(VALU_DEP_3) | instskip(SKIP_1) | instid1(VALU_DEP_4)
	v_lshlrev_b32_e32 v4, 31, v4
	v_alignbit_b32 v9, v6, v9, 9
	v_add_nc_u32_e32 v3, v8, v3
	s_delay_alu instid0(VALU_DEP_4) | instskip(NEXT) | instid1(VALU_DEP_3)
	v_clz_i32_u32_e32 v10, v7
	v_or_b32_e32 v9, v9, v4
	v_or_b32_e32 v4, 0x33800000, v4
	s_delay_alu instid0(VALU_DEP_3) | instskip(NEXT) | instid1(VALU_DEP_3)
	v_min_u32_e32 v10, 32, v10
	v_xor_b32_e32 v9, 1.0, v9
	s_delay_alu instid0(VALU_DEP_2) | instskip(SKIP_1) | instid1(VALU_DEP_3)
	v_sub_nc_u32_e32 v11, 31, v10
	v_add_lshl_u32 v6, v10, v6, 23
	v_mul_f32_e32 v10, 0x3fc90fda, v9
	s_delay_alu instid0(VALU_DEP_3) | instskip(NEXT) | instid1(VALU_DEP_3)
	v_alignbit_b32 v2, v7, v2, v11
	v_sub_nc_u32_e32 v4, v4, v6
	s_delay_alu instid0(VALU_DEP_3) | instskip(NEXT) | instid1(VALU_DEP_3)
	v_fma_f32 v6, 0x3fc90fda, v9, -v10
	v_lshrrev_b32_e32 v2, 9, v2
	s_delay_alu instid0(VALU_DEP_2) | instskip(NEXT) | instid1(VALU_DEP_2)
	v_fmamk_f32 v6, v9, 0x33a22168, v6
	v_or_b32_e32 v2, v4, v2
	s_delay_alu instid0(VALU_DEP_1) | instskip(NEXT) | instid1(VALU_DEP_1)
	v_fmac_f32_e32 v6, 0x3fc90fda, v2
	v_add_f32_e32 v2, v10, v6
	s_or_saveexec_b32 s0, s5
	v_mul_f32_e64 v7, 0x3f22f983, |v0|
	s_xor_b32 exec_lo, exec_lo, s0
	s_branch .LBB15_58
.LBB15_57:
	s_or_saveexec_b32 s0, s5
	v_mul_f32_e64 v7, 0x3f22f983, |v0|
	s_xor_b32 exec_lo, exec_lo, s0
.LBB15_58:
	s_delay_alu instid0(VALU_DEP_1) | instskip(NEXT) | instid1(VALU_DEP_1)
	v_rndne_f32_e32 v3, v7
	v_fma_f32 v2, 0xbfc90fda, v3, |v0|
	s_delay_alu instid0(VALU_DEP_1) | instskip(NEXT) | instid1(VALU_DEP_1)
	v_fmamk_f32 v2, v3, 0xb3a22168, v2
	v_fmamk_f32 v2, v3, 0xa7c234c4, v2
	v_cvt_i32_f32_e32 v3, v3
; %bb.59:
	s_or_b32 exec_lo, exec_lo, s0
                                        ; implicit-def: $vgpr6
                                        ; implicit-def: $vgpr4
	s_and_saveexec_b32 s0, s4
	s_delay_alu instid0(SALU_CYCLE_1)
	s_xor_b32 s4, exec_lo, s0
	s_cbranch_execz .LBB15_61
; %bb.60:
	s_mov_b32 s0, 0x7fffff
	v_mov_b32_e32 v8, 0
	v_and_or_b32 v15, v1, s0, 0x800000
	s_delay_alu instid0(VALU_DEP_1) | instskip(NEXT) | instid1(VALU_DEP_1)
	v_mad_u64_u32 v[6:7], null, 0xfe5163ab, v15, 0
	v_mad_u64_u32 v[9:10], null, 0x3c439041, v15, v[7:8]
	s_delay_alu instid0(VALU_DEP_1) | instskip(NEXT) | instid1(VALU_DEP_1)
	v_mov_b32_e32 v7, v10
	v_mad_u64_u32 v[10:11], null, 0xdb629599, v15, v[7:8]
	s_delay_alu instid0(VALU_DEP_1) | instskip(NEXT) | instid1(VALU_DEP_1)
	v_mov_b32_e32 v7, v11
	v_mad_u64_u32 v[11:12], null, 0xf534ddc0, v15, v[7:8]
	s_delay_alu instid0(VALU_DEP_1) | instskip(NEXT) | instid1(VALU_DEP_1)
	v_dual_mov_b32 v7, v12 :: v_dual_add_nc_u32 v12, 0xffffff88, v5
	v_mad_u64_u32 v[4:5], null, 0xfc2757d1, v15, v[7:8]
	s_delay_alu instid0(VALU_DEP_2) | instskip(SKIP_1) | instid1(VALU_DEP_3)
	v_cmp_lt_u32_e32 vcc_lo, 63, v12
	v_cndmask_b32_e64 v13, 0, 0xffffffc0, vcc_lo
	v_dual_mov_b32 v7, v5 :: v_dual_cndmask_b32 v6, v10, v6
	s_delay_alu instid0(VALU_DEP_2) | instskip(NEXT) | instid1(VALU_DEP_2)
	v_add_nc_u32_e32 v5, v13, v12
	v_mad_u64_u32 v[12:13], null, 0x4e441529, v15, v[7:8]
	s_delay_alu instid0(VALU_DEP_2) | instskip(NEXT) | instid1(VALU_DEP_2)
	v_cmp_lt_u32_e64 s0, 31, v5
	v_mov_b32_e32 v7, v13
	s_delay_alu instid0(VALU_DEP_2) | instskip(NEXT) | instid1(VALU_DEP_1)
	v_cndmask_b32_e64 v14, 0, 0xffffffe0, s0
	v_add_nc_u32_e32 v5, v14, v5
	s_delay_alu instid0(VALU_DEP_3) | instskip(SKIP_1) | instid1(VALU_DEP_3)
	v_mad_u64_u32 v[13:14], null, 0xa2f9836e, v15, v[7:8]
	v_cndmask_b32_e32 v8, v12, v11, vcc_lo
	v_cmp_lt_u32_e64 s1, 31, v5
	s_delay_alu instid0(VALU_DEP_3) | instskip(NEXT) | instid1(VALU_DEP_2)
	v_cndmask_b32_e32 v13, v13, v4, vcc_lo
	v_cndmask_b32_e64 v7, 0, 0xffffffe0, s1
	v_cndmask_b32_e32 v12, v14, v12, vcc_lo
	s_delay_alu instid0(VALU_DEP_2) | instskip(SKIP_2) | instid1(VALU_DEP_4)
	v_dual_cndmask_b32 v4, v4, v10 :: v_dual_add_nc_u32 v5, v7, v5
	v_cndmask_b32_e32 v7, v11, v9, vcc_lo
	v_cndmask_b32_e64 v9, v13, v8, s0
	v_cndmask_b32_e64 v11, v12, v13, s0
	s_delay_alu instid0(VALU_DEP_4)
	v_cndmask_b32_e64 v8, v8, v4, s0
	v_sub_nc_u32_e32 v12, 32, v5
	v_cndmask_b32_e64 v4, v4, v7, s0
	v_cmp_eq_u32_e64 s2, 0, v5
	v_cndmask_b32_e64 v11, v11, v9, s1
	v_cndmask_b32_e64 v9, v9, v8, s1
	;; [unrolled: 1-line block ×4, first 2 shown]
	s_delay_alu instid0(VALU_DEP_3) | instskip(NEXT) | instid1(VALU_DEP_3)
	v_alignbit_b32 v13, v11, v9, v12
	v_cndmask_b32_e64 v4, v4, v6, s1
	s_delay_alu instid0(VALU_DEP_3) | instskip(NEXT) | instid1(VALU_DEP_3)
	v_alignbit_b32 v14, v9, v8, v12
	v_cndmask_b32_e64 v5, v13, v11, s2
	;; [unrolled: 3-line block ×3, first 2 shown]
	s_delay_alu instid0(VALU_DEP_3) | instskip(NEXT) | instid1(VALU_DEP_3)
	v_bfe_u32 v10, v5, 29, 1
	v_cndmask_b32_e64 v8, v12, v8, s2
	s_delay_alu instid0(VALU_DEP_3) | instskip(NEXT) | instid1(VALU_DEP_3)
	v_alignbit_b32 v7, v5, v9, 30
	v_sub_nc_u32_e32 v11, 0, v10
	s_delay_alu instid0(VALU_DEP_3) | instskip(SKIP_1) | instid1(VALU_DEP_3)
	v_alignbit_b32 v9, v9, v8, 30
	v_alignbit_b32 v4, v8, v4, 30
	v_xor_b32_e32 v6, v7, v11
	v_cmp_ne_u32_e32 vcc_lo, v7, v11
	s_delay_alu instid0(VALU_DEP_4) | instskip(NEXT) | instid1(VALU_DEP_4)
	v_xor_b32_e32 v8, v9, v11
	v_xor_b32_e32 v4, v4, v11
	s_delay_alu instid0(VALU_DEP_4) | instskip(NEXT) | instid1(VALU_DEP_1)
	v_clz_i32_u32_e32 v13, v6
	v_add_nc_u32_e32 v12, 1, v13
	s_delay_alu instid0(VALU_DEP_1) | instskip(NEXT) | instid1(VALU_DEP_1)
	v_cndmask_b32_e32 v7, 33, v12, vcc_lo
	v_sub_nc_u32_e32 v9, 32, v7
	s_delay_alu instid0(VALU_DEP_1) | instskip(SKIP_3) | instid1(VALU_DEP_3)
	v_alignbit_b32 v6, v6, v8, v9
	v_alignbit_b32 v4, v8, v4, v9
	v_lshrrev_b32_e32 v8, 29, v5
	v_lshrrev_b32_e32 v5, 30, v5
	v_alignbit_b32 v9, v6, v4, 9
	s_delay_alu instid0(VALU_DEP_3) | instskip(SKIP_1) | instid1(VALU_DEP_3)
	v_lshlrev_b32_e32 v8, 31, v8
	v_alignbit_b32 v6, v7, v6, 9
	v_clz_i32_u32_e32 v11, v9
	s_delay_alu instid0(VALU_DEP_2) | instskip(SKIP_1) | instid1(VALU_DEP_3)
	v_or_b32_e32 v6, v6, v8
	v_or_b32_e32 v8, 0x33800000, v8
	v_min_u32_e32 v11, 32, v11
	s_delay_alu instid0(VALU_DEP_3) | instskip(NEXT) | instid1(VALU_DEP_2)
	v_xor_b32_e32 v6, 1.0, v6
	v_sub_nc_u32_e32 v12, 31, v11
	v_add_lshl_u32 v7, v11, v7, 23
	s_delay_alu instid0(VALU_DEP_3) | instskip(NEXT) | instid1(VALU_DEP_3)
	v_mul_f32_e32 v11, 0x3fc90fda, v6
	v_alignbit_b32 v4, v9, v4, v12
	s_delay_alu instid0(VALU_DEP_3) | instskip(NEXT) | instid1(VALU_DEP_3)
	v_sub_nc_u32_e32 v7, v8, v7
	v_fma_f32 v8, 0x3fc90fda, v6, -v11
	s_delay_alu instid0(VALU_DEP_3) | instskip(NEXT) | instid1(VALU_DEP_2)
	v_lshrrev_b32_e32 v4, 9, v4
	v_fmamk_f32 v6, v6, 0x33a22168, v8
	s_delay_alu instid0(VALU_DEP_2) | instskip(NEXT) | instid1(VALU_DEP_1)
	v_or_b32_e32 v4, v7, v4
                                        ; implicit-def: $vgpr7
	v_fmac_f32_e32 v6, 0x3fc90fda, v4
	s_delay_alu instid0(VALU_DEP_1)
	v_add_f32_e32 v4, v11, v6
	v_add_nc_u32_e32 v6, v10, v5
	s_and_not1_saveexec_b32 s0, s4
	s_cbranch_execnz .LBB15_62
	s_branch .LBB15_63
.LBB15_61:
	s_and_not1_saveexec_b32 s0, s4
.LBB15_62:
	v_rndne_f32_e32 v5, v7
	s_delay_alu instid0(VALU_DEP_1) | instskip(SKIP_1) | instid1(VALU_DEP_2)
	v_fma_f32 v4, 0xbfc90fda, v5, |v0|
	v_cvt_i32_f32_e32 v6, v5
	v_fmamk_f32 v4, v5, 0xb3a22168, v4
	s_delay_alu instid0(VALU_DEP_1)
	v_fmamk_f32 v4, v5, 0xa7c234c4, v4
.LBB15_63:
	s_or_b32 exec_lo, exec_lo, s0
	v_div_scale_f32 v5, null, v44, v44, 0x40a00000
	v_div_scale_f32 v9, vcc_lo, 0x40a00000, v44, 0x40a00000
	s_mov_b32 s0, 0xb94c1982
	s_delay_alu instid0(VALU_DEP_2) | instskip(SKIP_4) | instid1(VALU_DEP_1)
	v_rcp_f32_e32 v7, v5
	s_mov_b32 s1, 0x37d75334
	v_xor_b32_e32 v1, v1, v0
	s_waitcnt_depctr 0xfff
	v_fma_f32 v8, -v5, v7, 1.0
	v_fmac_f32_e32 v7, v8, v7
	s_delay_alu instid0(VALU_DEP_1) | instskip(NEXT) | instid1(VALU_DEP_1)
	v_mul_f32_e32 v8, v9, v7
	v_fma_f32 v10, -v5, v8, v9
	s_delay_alu instid0(VALU_DEP_1) | instskip(SKIP_1) | instid1(VALU_DEP_2)
	v_fmac_f32_e32 v8, v10, v7
	v_mul_f32_e32 v10, v4, v4
	v_fma_f32 v5, -v5, v8, v9
	s_delay_alu instid0(VALU_DEP_2) | instskip(SKIP_1) | instid1(VALU_DEP_3)
	v_fmaak_f32 v19, s0, v10, 0x3c0881c4
	v_fmaak_f32 v20, s1, v10, 0xbab64f3b
	v_div_fmas_f32 v5, v5, v7, v8
	v_mul_f32_e32 v7, v2, v2
	s_delay_alu instid0(VALU_DEP_4)
	v_fmaak_f32 v19, v10, v19, 0xbe2aaa9d
	v_mul_f32_e32 v16, 0x4f800000, v44
	v_fmaak_f32 v20, v10, v20, 0x3d2aabf7
	v_div_fixup_f32 v5, v5, v44, 0x40a00000
	v_fmaak_f32 v17, s0, v7, 0x3c0881c4
	v_cmp_gt_f32_e64 s0, 0xf800000, v44
	v_fmaak_f32 v18, s1, v7, 0xbab64f3b
	v_mul_f32_e32 v19, v10, v19
	v_dual_mul_f32 v9, v5, v5 :: v_dual_and_b32 v8, 1, v3
	v_lshlrev_b32_e32 v3, 30, v3
	v_and_b32_e32 v11, 1, v6
	v_cndmask_b32_e64 v16, v44, v16, s0
	s_delay_alu instid0(VALU_DEP_4) | instskip(SKIP_3) | instid1(VALU_DEP_4)
	v_fmaak_f32 v14, 0, v9, 0x3a47c962
	v_fmaak_f32 v13, 0, v9, 0x3a15c4d9
	;; [unrolled: 1-line block ×3, first 2 shown]
	v_dual_fmaak_f32 v15, 0, v9, 0x42947983 :: v_dual_lshlrev_b32 v6, 30, v6
	v_fmaak_f32 v14, v9, v14, 0x3d95ca45
	s_delay_alu instid0(VALU_DEP_4) | instskip(SKIP_2) | instid1(VALU_DEP_3)
	v_dual_fmaak_f32 v13, v9, v13, 0x3d8cfeeb :: v_dual_fmac_f32 v4, v4, v19
	v_sqrt_f32_e32 v24, v16
	v_fmaak_f32 v17, v7, v17, 0xbe2aaa9d
	v_fmaak_f32 v14, v9, v14, 0x3f9047f6
	s_delay_alu instid0(VALU_DEP_3)
	v_fmaak_f32 v13, v9, v13, 0x3f8d754e
	v_fmaak_f32 v12, v9, v12, 0x409f6dae
	;; [unrolled: 1-line block ×3, first 2 shown]
	v_mul_f32_e32 v17, v7, v17
	v_fmaak_f32 v15, v9, v15, 0x44840e5d
	v_fmaak_f32 v20, v10, v20, 0xbf000004
	v_cmp_eq_u32_e64 s2, 0, v8
	v_fmaak_f32 v18, v7, v18, 0xbf000004
	v_fmac_f32_e32 v2, v2, v17
	v_fmaak_f32 v13, v9, v13, 0x40a25d18
	v_fmaak_f32 v15, v9, v15, 0x459bd349
	v_fma_f32 v10, v10, v20, 1.0
	v_fma_f32 v7, v7, v18, 1.0
	v_and_b32_e32 v3, 0x80000000, v3
	v_dual_fmaak_f32 v14, v9, v14, 0x40a39628 :: v_dual_add_nc_u32 v19, -1, v24
	v_fmaak_f32 v13, v9, v13, 0x410665cf
	v_fmaak_f32 v15, v9, v15, 0x46156947
	v_cndmask_b32_e64 v2, v7, v2, s2
	v_cmp_eq_u32_e64 s2, 0, v11
	v_fmaak_f32 v14, v9, v14, 0x4106c8e4
	v_fmaak_f32 v13, v9, v13, 0x40a6b6ea
	;; [unrolled: 1-line block ×3, first 2 shown]
	v_fma_f32 v7, -v19, v24, v16
	v_cndmask_b32_e64 v4, -v4, v10, s2
	v_fmaak_f32 v14, v9, v14, 0x40a6dd51
	v_fma_f32 v13, v9, v13, 1.0
	v_fmaak_f32 v15, v9, v15, 0x4530a316
	v_xor3_b32 v1, v1, v3, v2
	v_and_b32_e32 v6, 0x80000000, v6
	v_fma_f32 v14, v9, v14, 1.0
	s_delay_alu instid0(VALU_DEP_4) | instskip(NEXT) | instid1(VALU_DEP_3)
	v_fmaak_f32 v15, v9, v15, 0x43a80bfb
	v_xor_b32_e32 v4, v6, v4
	s_delay_alu instid0(VALU_DEP_3) | instskip(SKIP_1) | instid1(VALU_DEP_1)
	v_div_scale_f32 v27, vcc_lo, v14, v13, v14
	v_fmaak_f32 v12, v9, v12, 0x4297a5cd
	v_fmaak_f32 v12, v9, v12, 0x43b763ca
	s_delay_alu instid0(VALU_DEP_1) | instskip(NEXT) | instid1(VALU_DEP_1)
	v_fmaak_f32 v12, v9, v12, 0x4431b6ce
	v_fmaak_f32 v12, v9, v12, 0x44155f56
	s_delay_alu instid0(VALU_DEP_1) | instskip(NEXT) | instid1(VALU_DEP_1)
	v_fmaak_f32 v12, v9, v12, 0x4353b052
	v_fmaak_f32 v9, v9, v12, 0x41c9a7fa
	v_div_scale_f32 v12, null, v13, v13, v14
	s_delay_alu instid0(VALU_DEP_2) | instskip(NEXT) | instid1(VALU_DEP_2)
	v_div_scale_f32 v21, null, v15, v15, v9
	v_rcp_f32_e32 v22, v12
	s_delay_alu instid0(VALU_DEP_1) | instskip(SKIP_3) | instid1(VALU_DEP_2)
	v_rcp_f32_e32 v23, v21
	s_waitcnt_depctr 0xfff
	v_fma_f32 v25, -v12, v22, 1.0
	v_fma_f32 v26, -v21, v23, 1.0
	v_fmac_f32_e32 v22, v25, v22
	v_div_scale_f32 v25, s1, v9, v15, v9
	s_delay_alu instid0(VALU_DEP_3) | instskip(NEXT) | instid1(VALU_DEP_1)
	v_dual_fmac_f32 v23, v26, v23 :: v_dual_add_nc_u32 v26, 1, v24
	v_dual_mul_f32 v17, v27, v22 :: v_dual_mul_f32 v18, v25, v23
	s_delay_alu instid0(VALU_DEP_2) | instskip(NEXT) | instid1(VALU_DEP_2)
	v_fma_f32 v8, -v26, v24, v16
	v_fma_f32 v20, -v12, v17, v27
	s_delay_alu instid0(VALU_DEP_3) | instskip(NEXT) | instid1(VALU_DEP_2)
	v_fma_f32 v28, -v21, v18, v25
	v_fmac_f32_e32 v17, v20, v22
	s_delay_alu instid0(VALU_DEP_2) | instskip(NEXT) | instid1(VALU_DEP_2)
	v_fmac_f32_e32 v18, v28, v23
	v_fma_f32 v10, -v12, v17, v27
	s_delay_alu instid0(VALU_DEP_2) | instskip(NEXT) | instid1(VALU_DEP_2)
	v_fma_f32 v2, -v21, v18, v25
	v_div_fmas_f32 v3, v10, v22, v17
	s_mov_b32 vcc_lo, s1
	v_cmp_lt_f32_e64 s1, 0, v8
	s_delay_alu instid0(VALU_DEP_3)
	v_div_fmas_f32 v2, v2, v23, v18
	v_cmp_ge_f32_e32 vcc_lo, 0, v7
	v_div_fixup_f32 v3, v3, v13, v14
	v_cndmask_b32_e32 v6, v24, v19, vcc_lo
	v_cmp_class_f32_e64 vcc_lo, v0, 0x1f8
	v_div_fixup_f32 v0, v2, v15, v9
	s_delay_alu instid0(VALU_DEP_3) | instskip(SKIP_1) | instid1(VALU_DEP_3)
	v_cndmask_b32_e64 v2, v6, v26, s1
	v_cndmask_b32_e32 v4, 0x7fc00000, v4, vcc_lo
	v_dual_mul_f32 v0, v5, v0 :: v_dual_cndmask_b32 v1, 0x7fc00000, v1
	v_cmp_class_f32_e64 vcc_lo, v16, 0x260
	s_delay_alu instid0(VALU_DEP_2) | instskip(NEXT) | instid1(VALU_DEP_1)
	v_dual_mul_f32 v5, 0x37800000, v2 :: v_dual_mul_f32 v0, v0, v4
	v_cndmask_b32_e64 v2, v2, v5, s0
	s_delay_alu instid0(VALU_DEP_1) | instskip(NEXT) | instid1(VALU_DEP_1)
	v_dual_fmac_f32 v0, v3, v1 :: v_dual_cndmask_b32 v1, v2, v16
	v_mul_f32_e32 v0, 0x3f4c422a, v0
	s_delay_alu instid0(VALU_DEP_1) | instskip(NEXT) | instid1(VALU_DEP_1)
	v_div_scale_f32 v2, null, v1, v1, v0
	v_rcp_f32_e32 v3, v2
	s_waitcnt_depctr 0xfff
	v_fma_f32 v4, -v2, v3, 1.0
	s_delay_alu instid0(VALU_DEP_1) | instskip(SKIP_1) | instid1(VALU_DEP_1)
	v_fmac_f32_e32 v3, v4, v3
	v_div_scale_f32 v4, vcc_lo, v0, v1, v0
	v_mul_f32_e32 v5, v4, v3
	s_delay_alu instid0(VALU_DEP_1) | instskip(NEXT) | instid1(VALU_DEP_1)
	v_fma_f32 v6, -v2, v5, v4
	v_fmac_f32_e32 v5, v6, v3
	s_delay_alu instid0(VALU_DEP_1) | instskip(NEXT) | instid1(VALU_DEP_1)
	v_fma_f32 v2, -v2, v5, v4
	v_div_fmas_f32 v2, v2, v3, v5
	s_delay_alu instid0(VALU_DEP_1)
	v_div_fixup_f32 v59, v2, v1, v0
.LBB15_64:
	s_or_b32 exec_lo, exec_lo, s3
	v_add_co_u32 v0, vcc_lo, v46, s36
	v_add_co_ci_u32_e32 v1, vcc_lo, s37, v45, vcc_lo
	v_readlane_b32 s30, v60, 6
	s_delay_alu instid0(VALU_DEP_3) | instskip(NEXT) | instid1(VALU_DEP_3)
	v_add_co_u32 v0, vcc_lo, v0, v47
	v_add_co_ci_u32_e32 v1, vcc_lo, 0, v1, vcc_lo
	v_readlane_b32 s31, v60, 7
	v_readlane_b32 s39, v60, 5
	;; [unrolled: 1-line block ×3, first 2 shown]
	flat_store_b128 v[0:1], v[56:59]
	s_clause 0xb
	scratch_load_b32 v59, off, s33
	scratch_load_b32 v58, off, s33 offset:4
	scratch_load_b32 v57, off, s33 offset:8
	;; [unrolled: 1-line block ×11, first 2 shown]
	v_readlane_b32 s37, v60, 3
	v_readlane_b32 s36, v60, 2
	;; [unrolled: 1-line block ×5, first 2 shown]
	s_or_saveexec_b32 s1, -1
	scratch_load_b32 v60, off, s33 offset:48 ; 4-byte Folded Reload
	s_mov_b32 exec_lo, s1
	s_addk_i32 s32, 0xffc0
	s_mov_b32 s33, s0
	s_waitcnt vmcnt(0) lgkmcnt(0)
	s_setpc_b64 s[30:31]
.Lfunc_end15:
	.size	_ZN2at6native25elementwise_kernel_helperILb0EZZZNS0_12_GLOBAL__N_121bessel_y1_kernel_cudaERNS_18TensorIteratorBaseEENKUlvE_clEvENKUlvE0_clEvEUlfE_NS0_6memory8policies10vectorizedILi4ESt5arrayIPcLm2EELi4EEEEEvT0_T1_, .Lfunc_end15-_ZN2at6native25elementwise_kernel_helperILb0EZZZNS0_12_GLOBAL__N_121bessel_y1_kernel_cudaERNS_18TensorIteratorBaseEENKUlvE_clEvENKUlvE0_clEvEUlfE_NS0_6memory8policies10vectorizedILi4ESt5arrayIPcLm2EELi4EEEEEvT0_T1_
                                        ; -- End function
	.section	.AMDGPU.csdata,"",@progbits
; Function info:
; codeLenInByte = 13428
; NumSgprs: 42
; NumVgprs: 61
; ScratchSize: 80
; MemoryBound: 0
	.section	.text._ZN2at6native29vectorized_elementwise_kernelILi16EZZZNS0_12_GLOBAL__N_121bessel_y1_kernel_cudaERNS_18TensorIteratorBaseEENKUlvE_clEvENKUlvE0_clEvEUlfE_St5arrayIPcLm2EEEEviT0_T1_,"axG",@progbits,_ZN2at6native29vectorized_elementwise_kernelILi16EZZZNS0_12_GLOBAL__N_121bessel_y1_kernel_cudaERNS_18TensorIteratorBaseEENKUlvE_clEvENKUlvE0_clEvEUlfE_St5arrayIPcLm2EEEEviT0_T1_,comdat
	.globl	_ZN2at6native29vectorized_elementwise_kernelILi16EZZZNS0_12_GLOBAL__N_121bessel_y1_kernel_cudaERNS_18TensorIteratorBaseEENKUlvE_clEvENKUlvE0_clEvEUlfE_St5arrayIPcLm2EEEEviT0_T1_ ; -- Begin function _ZN2at6native29vectorized_elementwise_kernelILi16EZZZNS0_12_GLOBAL__N_121bessel_y1_kernel_cudaERNS_18TensorIteratorBaseEENKUlvE_clEvENKUlvE0_clEvEUlfE_St5arrayIPcLm2EEEEviT0_T1_
	.p2align	8
	.type	_ZN2at6native29vectorized_elementwise_kernelILi16EZZZNS0_12_GLOBAL__N_121bessel_y1_kernel_cudaERNS_18TensorIteratorBaseEENKUlvE_clEvENKUlvE0_clEvEUlfE_St5arrayIPcLm2EEEEviT0_T1_,@function
_ZN2at6native29vectorized_elementwise_kernelILi16EZZZNS0_12_GLOBAL__N_121bessel_y1_kernel_cudaERNS_18TensorIteratorBaseEENKUlvE_clEvENKUlvE0_clEvEUlfE_St5arrayIPcLm2EEEEviT0_T1_: ; @_ZN2at6native29vectorized_elementwise_kernelILi16EZZZNS0_12_GLOBAL__N_121bessel_y1_kernel_cudaERNS_18TensorIteratorBaseEENKUlvE_clEvENKUlvE0_clEvEUlfE_St5arrayIPcLm2EEEEviT0_T1_
; %bb.0:
	s_clause 0x1
	s_load_b32 s2, s[0:1], 0x0
	s_load_b128 s[44:47], s[0:1], 0x8
	s_lshl_b32 s0, s15, 10
	v_mov_b32_e32 v40, v0
	s_mov_b32 s40, s15
	s_mov_b32 s32, 0
	s_waitcnt lgkmcnt(0)
	s_sub_i32 s41, s2, s0
	s_mov_b32 s0, -1
	s_cmpk_gt_i32 s41, 0x3ff
	s_cbranch_scc1 .LBB16_3
; %bb.1:
	s_and_not1_b32 vcc_lo, exec_lo, s0
	s_cbranch_vccz .LBB16_4
.LBB16_2:
	s_endpgm
.LBB16_3:
	v_dual_mov_b32 v31, v40 :: v_dual_mov_b32 v0, s44
	v_dual_mov_b32 v1, s45 :: v_dual_mov_b32 v2, s46
	v_mov_b32_e32 v3, s47
	s_mov_b32 s12, s40
	s_getpc_b64 s[0:1]
	s_add_u32 s0, s0, _ZN2at6native25elementwise_kernel_helperILb0EZZZNS0_12_GLOBAL__N_121bessel_y1_kernel_cudaERNS_18TensorIteratorBaseEENKUlvE_clEvENKUlvE0_clEvEUlfE_NS0_6memory8policies10vectorizedILi4ESt5arrayIPcLm2EELi4EEEEEvT0_T1_@rel32@lo+4
	s_addc_u32 s1, s1, _ZN2at6native25elementwise_kernel_helperILb0EZZZNS0_12_GLOBAL__N_121bessel_y1_kernel_cudaERNS_18TensorIteratorBaseEENKUlvE_clEvENKUlvE0_clEvEUlfE_NS0_6memory8policies10vectorizedILi4ESt5arrayIPcLm2EELi4EEEEEvT0_T1_@rel32@hi+12
	s_delay_alu instid0(SALU_CYCLE_1)
	s_swappc_b64 s[30:31], s[0:1]
	s_cbranch_execnz .LBB16_2
.LBB16_4:
	v_dual_mov_b32 v31, v40 :: v_dual_mov_b32 v0, s44
	v_dual_mov_b32 v1, s45 :: v_dual_mov_b32 v2, s46
	;; [unrolled: 1-line block ×3, first 2 shown]
	s_mov_b32 s12, s40
	s_getpc_b64 s[0:1]
	s_add_u32 s0, s0, _ZN2at6native25elementwise_kernel_helperILb0EZZZNS0_12_GLOBAL__N_121bessel_y1_kernel_cudaERNS_18TensorIteratorBaseEENKUlvE_clEvENKUlvE0_clEvEUlfE_NS0_6memory8policies11unroll_baseILi256ESt5arrayIPcLm2EE23TrivialOffsetCalculatorILi1EjESF_NS8_15LoadWithoutCastENS8_16StoreWithoutCastELi4ELi1EEEEEvT0_T1_@rel32@lo+4
	s_addc_u32 s1, s1, _ZN2at6native25elementwise_kernel_helperILb0EZZZNS0_12_GLOBAL__N_121bessel_y1_kernel_cudaERNS_18TensorIteratorBaseEENKUlvE_clEvENKUlvE0_clEvEUlfE_NS0_6memory8policies11unroll_baseILi256ESt5arrayIPcLm2EE23TrivialOffsetCalculatorILi1EjESF_NS8_15LoadWithoutCastENS8_16StoreWithoutCastELi4ELi1EEEEEvT0_T1_@rel32@hi+12
	s_delay_alu instid0(SALU_CYCLE_1)
	s_swappc_b64 s[30:31], s[0:1]
	s_endpgm
	.section	.rodata,"a",@progbits
	.p2align	6, 0x0
	.amdhsa_kernel _ZN2at6native29vectorized_elementwise_kernelILi16EZZZNS0_12_GLOBAL__N_121bessel_y1_kernel_cudaERNS_18TensorIteratorBaseEENKUlvE_clEvENKUlvE0_clEvEUlfE_St5arrayIPcLm2EEEEviT0_T1_
		.amdhsa_group_segment_fixed_size 0
		.amdhsa_private_segment_fixed_size 80
		.amdhsa_kernarg_size 24
		.amdhsa_user_sgpr_count 15
		.amdhsa_user_sgpr_dispatch_ptr 0
		.amdhsa_user_sgpr_queue_ptr 0
		.amdhsa_user_sgpr_kernarg_segment_ptr 1
		.amdhsa_user_sgpr_dispatch_id 0
		.amdhsa_user_sgpr_private_segment_size 0
		.amdhsa_wavefront_size32 1
		.amdhsa_uses_dynamic_stack 1
		.amdhsa_enable_private_segment 1
		.amdhsa_system_sgpr_workgroup_id_x 1
		.amdhsa_system_sgpr_workgroup_id_y 0
		.amdhsa_system_sgpr_workgroup_id_z 0
		.amdhsa_system_sgpr_workgroup_info 0
		.amdhsa_system_vgpr_workitem_id 0
		.amdhsa_next_free_vgpr 63
		.amdhsa_next_free_sgpr 48
		.amdhsa_reserve_vcc 1
		.amdhsa_float_round_mode_32 0
		.amdhsa_float_round_mode_16_64 0
		.amdhsa_float_denorm_mode_32 3
		.amdhsa_float_denorm_mode_16_64 3
		.amdhsa_dx10_clamp 1
		.amdhsa_ieee_mode 1
		.amdhsa_fp16_overflow 0
		.amdhsa_workgroup_processor_mode 1
		.amdhsa_memory_ordered 1
		.amdhsa_forward_progress 0
		.amdhsa_shared_vgpr_count 0
		.amdhsa_exception_fp_ieee_invalid_op 0
		.amdhsa_exception_fp_denorm_src 0
		.amdhsa_exception_fp_ieee_div_zero 0
		.amdhsa_exception_fp_ieee_overflow 0
		.amdhsa_exception_fp_ieee_underflow 0
		.amdhsa_exception_fp_ieee_inexact 0
		.amdhsa_exception_int_div_zero 0
	.end_amdhsa_kernel
	.section	.text._ZN2at6native29vectorized_elementwise_kernelILi16EZZZNS0_12_GLOBAL__N_121bessel_y1_kernel_cudaERNS_18TensorIteratorBaseEENKUlvE_clEvENKUlvE0_clEvEUlfE_St5arrayIPcLm2EEEEviT0_T1_,"axG",@progbits,_ZN2at6native29vectorized_elementwise_kernelILi16EZZZNS0_12_GLOBAL__N_121bessel_y1_kernel_cudaERNS_18TensorIteratorBaseEENKUlvE_clEvENKUlvE0_clEvEUlfE_St5arrayIPcLm2EEEEviT0_T1_,comdat
.Lfunc_end16:
	.size	_ZN2at6native29vectorized_elementwise_kernelILi16EZZZNS0_12_GLOBAL__N_121bessel_y1_kernel_cudaERNS_18TensorIteratorBaseEENKUlvE_clEvENKUlvE0_clEvEUlfE_St5arrayIPcLm2EEEEviT0_T1_, .Lfunc_end16-_ZN2at6native29vectorized_elementwise_kernelILi16EZZZNS0_12_GLOBAL__N_121bessel_y1_kernel_cudaERNS_18TensorIteratorBaseEENKUlvE_clEvENKUlvE0_clEvEUlfE_St5arrayIPcLm2EEEEviT0_T1_
                                        ; -- End function
	.section	.AMDGPU.csdata,"",@progbits
; Kernel info:
; codeLenInByte = 184
; NumSgprs: 50
; NumVgprs: 63
; ScratchSize: 80
; MemoryBound: 0
; FloatMode: 240
; IeeeMode: 1
; LDSByteSize: 0 bytes/workgroup (compile time only)
; SGPRBlocks: 6
; VGPRBlocks: 7
; NumSGPRsForWavesPerEU: 50
; NumVGPRsForWavesPerEU: 63
; Occupancy: 16
; WaveLimiterHint : 0
; COMPUTE_PGM_RSRC2:SCRATCH_EN: 1
; COMPUTE_PGM_RSRC2:USER_SGPR: 15
; COMPUTE_PGM_RSRC2:TRAP_HANDLER: 0
; COMPUTE_PGM_RSRC2:TGID_X_EN: 1
; COMPUTE_PGM_RSRC2:TGID_Y_EN: 0
; COMPUTE_PGM_RSRC2:TGID_Z_EN: 0
; COMPUTE_PGM_RSRC2:TIDIG_COMP_CNT: 0
	.section	.text._ZN2at6native29vectorized_elementwise_kernelILi8EZZZNS0_12_GLOBAL__N_121bessel_y1_kernel_cudaERNS_18TensorIteratorBaseEENKUlvE_clEvENKUlvE0_clEvEUlfE_St5arrayIPcLm2EEEEviT0_T1_,"axG",@progbits,_ZN2at6native29vectorized_elementwise_kernelILi8EZZZNS0_12_GLOBAL__N_121bessel_y1_kernel_cudaERNS_18TensorIteratorBaseEENKUlvE_clEvENKUlvE0_clEvEUlfE_St5arrayIPcLm2EEEEviT0_T1_,comdat
	.globl	_ZN2at6native29vectorized_elementwise_kernelILi8EZZZNS0_12_GLOBAL__N_121bessel_y1_kernel_cudaERNS_18TensorIteratorBaseEENKUlvE_clEvENKUlvE0_clEvEUlfE_St5arrayIPcLm2EEEEviT0_T1_ ; -- Begin function _ZN2at6native29vectorized_elementwise_kernelILi8EZZZNS0_12_GLOBAL__N_121bessel_y1_kernel_cudaERNS_18TensorIteratorBaseEENKUlvE_clEvENKUlvE0_clEvEUlfE_St5arrayIPcLm2EEEEviT0_T1_
	.p2align	8
	.type	_ZN2at6native29vectorized_elementwise_kernelILi8EZZZNS0_12_GLOBAL__N_121bessel_y1_kernel_cudaERNS_18TensorIteratorBaseEENKUlvE_clEvENKUlvE0_clEvEUlfE_St5arrayIPcLm2EEEEviT0_T1_,@function
_ZN2at6native29vectorized_elementwise_kernelILi8EZZZNS0_12_GLOBAL__N_121bessel_y1_kernel_cudaERNS_18TensorIteratorBaseEENKUlvE_clEvENKUlvE0_clEvEUlfE_St5arrayIPcLm2EEEEviT0_T1_: ; @_ZN2at6native29vectorized_elementwise_kernelILi8EZZZNS0_12_GLOBAL__N_121bessel_y1_kernel_cudaERNS_18TensorIteratorBaseEENKUlvE_clEvENKUlvE0_clEvEUlfE_St5arrayIPcLm2EEEEviT0_T1_
; %bb.0:
	s_clause 0x1
	s_load_b32 s2, s[0:1], 0x0
	s_load_b128 s[44:47], s[0:1], 0x8
	s_lshl_b32 s0, s15, 10
	v_mov_b32_e32 v40, v0
	s_mov_b32 s40, s15
	s_mov_b32 s32, 0
	s_waitcnt lgkmcnt(0)
	s_sub_i32 s41, s2, s0
	s_mov_b32 s0, -1
	s_cmpk_gt_i32 s41, 0x3ff
	s_cbranch_scc1 .LBB17_3
; %bb.1:
	s_and_not1_b32 vcc_lo, exec_lo, s0
	s_cbranch_vccz .LBB17_4
.LBB17_2:
	s_endpgm
.LBB17_3:
	v_dual_mov_b32 v31, v40 :: v_dual_mov_b32 v0, s44
	v_dual_mov_b32 v1, s45 :: v_dual_mov_b32 v2, s46
	v_mov_b32_e32 v3, s47
	s_mov_b32 s12, s40
	s_getpc_b64 s[0:1]
	s_add_u32 s0, s0, _ZN2at6native25elementwise_kernel_helperILb0EZZZNS0_12_GLOBAL__N_121bessel_y1_kernel_cudaERNS_18TensorIteratorBaseEENKUlvE_clEvENKUlvE0_clEvEUlfE_NS0_6memory8policies10vectorizedILi4ESt5arrayIPcLm2EELi4EEEEEvT0_T1_@rel32@lo+4
	s_addc_u32 s1, s1, _ZN2at6native25elementwise_kernel_helperILb0EZZZNS0_12_GLOBAL__N_121bessel_y1_kernel_cudaERNS_18TensorIteratorBaseEENKUlvE_clEvENKUlvE0_clEvEUlfE_NS0_6memory8policies10vectorizedILi4ESt5arrayIPcLm2EELi4EEEEEvT0_T1_@rel32@hi+12
	s_delay_alu instid0(SALU_CYCLE_1)
	s_swappc_b64 s[30:31], s[0:1]
	s_cbranch_execnz .LBB17_2
.LBB17_4:
	v_dual_mov_b32 v31, v40 :: v_dual_mov_b32 v0, s44
	v_dual_mov_b32 v1, s45 :: v_dual_mov_b32 v2, s46
	;; [unrolled: 1-line block ×3, first 2 shown]
	s_mov_b32 s12, s40
	s_getpc_b64 s[0:1]
	s_add_u32 s0, s0, _ZN2at6native25elementwise_kernel_helperILb0EZZZNS0_12_GLOBAL__N_121bessel_y1_kernel_cudaERNS_18TensorIteratorBaseEENKUlvE_clEvENKUlvE0_clEvEUlfE_NS0_6memory8policies11unroll_baseILi256ESt5arrayIPcLm2EE23TrivialOffsetCalculatorILi1EjESF_NS8_15LoadWithoutCastENS8_16StoreWithoutCastELi4ELi1EEEEEvT0_T1_@rel32@lo+4
	s_addc_u32 s1, s1, _ZN2at6native25elementwise_kernel_helperILb0EZZZNS0_12_GLOBAL__N_121bessel_y1_kernel_cudaERNS_18TensorIteratorBaseEENKUlvE_clEvENKUlvE0_clEvEUlfE_NS0_6memory8policies11unroll_baseILi256ESt5arrayIPcLm2EE23TrivialOffsetCalculatorILi1EjESF_NS8_15LoadWithoutCastENS8_16StoreWithoutCastELi4ELi1EEEEEvT0_T1_@rel32@hi+12
	s_delay_alu instid0(SALU_CYCLE_1)
	s_swappc_b64 s[30:31], s[0:1]
	s_endpgm
	.section	.rodata,"a",@progbits
	.p2align	6, 0x0
	.amdhsa_kernel _ZN2at6native29vectorized_elementwise_kernelILi8EZZZNS0_12_GLOBAL__N_121bessel_y1_kernel_cudaERNS_18TensorIteratorBaseEENKUlvE_clEvENKUlvE0_clEvEUlfE_St5arrayIPcLm2EEEEviT0_T1_
		.amdhsa_group_segment_fixed_size 0
		.amdhsa_private_segment_fixed_size 80
		.amdhsa_kernarg_size 24
		.amdhsa_user_sgpr_count 15
		.amdhsa_user_sgpr_dispatch_ptr 0
		.amdhsa_user_sgpr_queue_ptr 0
		.amdhsa_user_sgpr_kernarg_segment_ptr 1
		.amdhsa_user_sgpr_dispatch_id 0
		.amdhsa_user_sgpr_private_segment_size 0
		.amdhsa_wavefront_size32 1
		.amdhsa_uses_dynamic_stack 1
		.amdhsa_enable_private_segment 1
		.amdhsa_system_sgpr_workgroup_id_x 1
		.amdhsa_system_sgpr_workgroup_id_y 0
		.amdhsa_system_sgpr_workgroup_id_z 0
		.amdhsa_system_sgpr_workgroup_info 0
		.amdhsa_system_vgpr_workitem_id 0
		.amdhsa_next_free_vgpr 63
		.amdhsa_next_free_sgpr 48
		.amdhsa_reserve_vcc 1
		.amdhsa_float_round_mode_32 0
		.amdhsa_float_round_mode_16_64 0
		.amdhsa_float_denorm_mode_32 3
		.amdhsa_float_denorm_mode_16_64 3
		.amdhsa_dx10_clamp 1
		.amdhsa_ieee_mode 1
		.amdhsa_fp16_overflow 0
		.amdhsa_workgroup_processor_mode 1
		.amdhsa_memory_ordered 1
		.amdhsa_forward_progress 0
		.amdhsa_shared_vgpr_count 0
		.amdhsa_exception_fp_ieee_invalid_op 0
		.amdhsa_exception_fp_denorm_src 0
		.amdhsa_exception_fp_ieee_div_zero 0
		.amdhsa_exception_fp_ieee_overflow 0
		.amdhsa_exception_fp_ieee_underflow 0
		.amdhsa_exception_fp_ieee_inexact 0
		.amdhsa_exception_int_div_zero 0
	.end_amdhsa_kernel
	.section	.text._ZN2at6native29vectorized_elementwise_kernelILi8EZZZNS0_12_GLOBAL__N_121bessel_y1_kernel_cudaERNS_18TensorIteratorBaseEENKUlvE_clEvENKUlvE0_clEvEUlfE_St5arrayIPcLm2EEEEviT0_T1_,"axG",@progbits,_ZN2at6native29vectorized_elementwise_kernelILi8EZZZNS0_12_GLOBAL__N_121bessel_y1_kernel_cudaERNS_18TensorIteratorBaseEENKUlvE_clEvENKUlvE0_clEvEUlfE_St5arrayIPcLm2EEEEviT0_T1_,comdat
.Lfunc_end17:
	.size	_ZN2at6native29vectorized_elementwise_kernelILi8EZZZNS0_12_GLOBAL__N_121bessel_y1_kernel_cudaERNS_18TensorIteratorBaseEENKUlvE_clEvENKUlvE0_clEvEUlfE_St5arrayIPcLm2EEEEviT0_T1_, .Lfunc_end17-_ZN2at6native29vectorized_elementwise_kernelILi8EZZZNS0_12_GLOBAL__N_121bessel_y1_kernel_cudaERNS_18TensorIteratorBaseEENKUlvE_clEvENKUlvE0_clEvEUlfE_St5arrayIPcLm2EEEEviT0_T1_
                                        ; -- End function
	.section	.AMDGPU.csdata,"",@progbits
; Kernel info:
; codeLenInByte = 184
; NumSgprs: 50
; NumVgprs: 63
; ScratchSize: 80
; MemoryBound: 0
; FloatMode: 240
; IeeeMode: 1
; LDSByteSize: 0 bytes/workgroup (compile time only)
; SGPRBlocks: 6
; VGPRBlocks: 7
; NumSGPRsForWavesPerEU: 50
; NumVGPRsForWavesPerEU: 63
; Occupancy: 16
; WaveLimiterHint : 0
; COMPUTE_PGM_RSRC2:SCRATCH_EN: 1
; COMPUTE_PGM_RSRC2:USER_SGPR: 15
; COMPUTE_PGM_RSRC2:TRAP_HANDLER: 0
; COMPUTE_PGM_RSRC2:TGID_X_EN: 1
; COMPUTE_PGM_RSRC2:TGID_Y_EN: 0
; COMPUTE_PGM_RSRC2:TGID_Z_EN: 0
; COMPUTE_PGM_RSRC2:TIDIG_COMP_CNT: 0
	.section	.text._ZN2at6native29vectorized_elementwise_kernelILi4EZZZNS0_12_GLOBAL__N_121bessel_y1_kernel_cudaERNS_18TensorIteratorBaseEENKUlvE_clEvENKUlvE0_clEvEUlfE_St5arrayIPcLm2EEEEviT0_T1_,"axG",@progbits,_ZN2at6native29vectorized_elementwise_kernelILi4EZZZNS0_12_GLOBAL__N_121bessel_y1_kernel_cudaERNS_18TensorIteratorBaseEENKUlvE_clEvENKUlvE0_clEvEUlfE_St5arrayIPcLm2EEEEviT0_T1_,comdat
	.globl	_ZN2at6native29vectorized_elementwise_kernelILi4EZZZNS0_12_GLOBAL__N_121bessel_y1_kernel_cudaERNS_18TensorIteratorBaseEENKUlvE_clEvENKUlvE0_clEvEUlfE_St5arrayIPcLm2EEEEviT0_T1_ ; -- Begin function _ZN2at6native29vectorized_elementwise_kernelILi4EZZZNS0_12_GLOBAL__N_121bessel_y1_kernel_cudaERNS_18TensorIteratorBaseEENKUlvE_clEvENKUlvE0_clEvEUlfE_St5arrayIPcLm2EEEEviT0_T1_
	.p2align	8
	.type	_ZN2at6native29vectorized_elementwise_kernelILi4EZZZNS0_12_GLOBAL__N_121bessel_y1_kernel_cudaERNS_18TensorIteratorBaseEENKUlvE_clEvENKUlvE0_clEvEUlfE_St5arrayIPcLm2EEEEviT0_T1_,@function
_ZN2at6native29vectorized_elementwise_kernelILi4EZZZNS0_12_GLOBAL__N_121bessel_y1_kernel_cudaERNS_18TensorIteratorBaseEENKUlvE_clEvENKUlvE0_clEvEUlfE_St5arrayIPcLm2EEEEviT0_T1_: ; @_ZN2at6native29vectorized_elementwise_kernelILi4EZZZNS0_12_GLOBAL__N_121bessel_y1_kernel_cudaERNS_18TensorIteratorBaseEENKUlvE_clEvENKUlvE0_clEvEUlfE_St5arrayIPcLm2EEEEviT0_T1_
; %bb.0:
	s_clause 0x1
	s_load_b32 s2, s[0:1], 0x0
	s_load_b128 s[44:47], s[0:1], 0x8
	s_lshl_b32 s0, s15, 10
	v_mov_b32_e32 v40, v0
	s_mov_b32 s40, s15
	s_mov_b32 s32, 0
	s_waitcnt lgkmcnt(0)
	s_sub_i32 s41, s2, s0
	s_mov_b32 s0, -1
	s_cmpk_gt_i32 s41, 0x3ff
	s_cbranch_scc1 .LBB18_3
; %bb.1:
	s_and_not1_b32 vcc_lo, exec_lo, s0
	s_cbranch_vccz .LBB18_4
.LBB18_2:
	s_endpgm
.LBB18_3:
	v_dual_mov_b32 v31, v40 :: v_dual_mov_b32 v0, s44
	v_dual_mov_b32 v1, s45 :: v_dual_mov_b32 v2, s46
	v_mov_b32_e32 v3, s47
	s_mov_b32 s12, s40
	s_getpc_b64 s[0:1]
	s_add_u32 s0, s0, _ZN2at6native25elementwise_kernel_helperILb0EZZZNS0_12_GLOBAL__N_121bessel_y1_kernel_cudaERNS_18TensorIteratorBaseEENKUlvE_clEvENKUlvE0_clEvEUlfE_NS0_6memory8policies10vectorizedILi4ESt5arrayIPcLm2EELi4EEEEEvT0_T1_@rel32@lo+4
	s_addc_u32 s1, s1, _ZN2at6native25elementwise_kernel_helperILb0EZZZNS0_12_GLOBAL__N_121bessel_y1_kernel_cudaERNS_18TensorIteratorBaseEENKUlvE_clEvENKUlvE0_clEvEUlfE_NS0_6memory8policies10vectorizedILi4ESt5arrayIPcLm2EELi4EEEEEvT0_T1_@rel32@hi+12
	s_delay_alu instid0(SALU_CYCLE_1)
	s_swappc_b64 s[30:31], s[0:1]
	s_cbranch_execnz .LBB18_2
.LBB18_4:
	v_dual_mov_b32 v31, v40 :: v_dual_mov_b32 v0, s44
	v_dual_mov_b32 v1, s45 :: v_dual_mov_b32 v2, s46
	;; [unrolled: 1-line block ×3, first 2 shown]
	s_mov_b32 s12, s40
	s_getpc_b64 s[0:1]
	s_add_u32 s0, s0, _ZN2at6native25elementwise_kernel_helperILb0EZZZNS0_12_GLOBAL__N_121bessel_y1_kernel_cudaERNS_18TensorIteratorBaseEENKUlvE_clEvENKUlvE0_clEvEUlfE_NS0_6memory8policies11unroll_baseILi256ESt5arrayIPcLm2EE23TrivialOffsetCalculatorILi1EjESF_NS8_15LoadWithoutCastENS8_16StoreWithoutCastELi4ELi1EEEEEvT0_T1_@rel32@lo+4
	s_addc_u32 s1, s1, _ZN2at6native25elementwise_kernel_helperILb0EZZZNS0_12_GLOBAL__N_121bessel_y1_kernel_cudaERNS_18TensorIteratorBaseEENKUlvE_clEvENKUlvE0_clEvEUlfE_NS0_6memory8policies11unroll_baseILi256ESt5arrayIPcLm2EE23TrivialOffsetCalculatorILi1EjESF_NS8_15LoadWithoutCastENS8_16StoreWithoutCastELi4ELi1EEEEEvT0_T1_@rel32@hi+12
	s_delay_alu instid0(SALU_CYCLE_1)
	s_swappc_b64 s[30:31], s[0:1]
	s_endpgm
	.section	.rodata,"a",@progbits
	.p2align	6, 0x0
	.amdhsa_kernel _ZN2at6native29vectorized_elementwise_kernelILi4EZZZNS0_12_GLOBAL__N_121bessel_y1_kernel_cudaERNS_18TensorIteratorBaseEENKUlvE_clEvENKUlvE0_clEvEUlfE_St5arrayIPcLm2EEEEviT0_T1_
		.amdhsa_group_segment_fixed_size 0
		.amdhsa_private_segment_fixed_size 80
		.amdhsa_kernarg_size 24
		.amdhsa_user_sgpr_count 15
		.amdhsa_user_sgpr_dispatch_ptr 0
		.amdhsa_user_sgpr_queue_ptr 0
		.amdhsa_user_sgpr_kernarg_segment_ptr 1
		.amdhsa_user_sgpr_dispatch_id 0
		.amdhsa_user_sgpr_private_segment_size 0
		.amdhsa_wavefront_size32 1
		.amdhsa_uses_dynamic_stack 1
		.amdhsa_enable_private_segment 1
		.amdhsa_system_sgpr_workgroup_id_x 1
		.amdhsa_system_sgpr_workgroup_id_y 0
		.amdhsa_system_sgpr_workgroup_id_z 0
		.amdhsa_system_sgpr_workgroup_info 0
		.amdhsa_system_vgpr_workitem_id 0
		.amdhsa_next_free_vgpr 63
		.amdhsa_next_free_sgpr 48
		.amdhsa_reserve_vcc 1
		.amdhsa_float_round_mode_32 0
		.amdhsa_float_round_mode_16_64 0
		.amdhsa_float_denorm_mode_32 3
		.amdhsa_float_denorm_mode_16_64 3
		.amdhsa_dx10_clamp 1
		.amdhsa_ieee_mode 1
		.amdhsa_fp16_overflow 0
		.amdhsa_workgroup_processor_mode 1
		.amdhsa_memory_ordered 1
		.amdhsa_forward_progress 0
		.amdhsa_shared_vgpr_count 0
		.amdhsa_exception_fp_ieee_invalid_op 0
		.amdhsa_exception_fp_denorm_src 0
		.amdhsa_exception_fp_ieee_div_zero 0
		.amdhsa_exception_fp_ieee_overflow 0
		.amdhsa_exception_fp_ieee_underflow 0
		.amdhsa_exception_fp_ieee_inexact 0
		.amdhsa_exception_int_div_zero 0
	.end_amdhsa_kernel
	.section	.text._ZN2at6native29vectorized_elementwise_kernelILi4EZZZNS0_12_GLOBAL__N_121bessel_y1_kernel_cudaERNS_18TensorIteratorBaseEENKUlvE_clEvENKUlvE0_clEvEUlfE_St5arrayIPcLm2EEEEviT0_T1_,"axG",@progbits,_ZN2at6native29vectorized_elementwise_kernelILi4EZZZNS0_12_GLOBAL__N_121bessel_y1_kernel_cudaERNS_18TensorIteratorBaseEENKUlvE_clEvENKUlvE0_clEvEUlfE_St5arrayIPcLm2EEEEviT0_T1_,comdat
.Lfunc_end18:
	.size	_ZN2at6native29vectorized_elementwise_kernelILi4EZZZNS0_12_GLOBAL__N_121bessel_y1_kernel_cudaERNS_18TensorIteratorBaseEENKUlvE_clEvENKUlvE0_clEvEUlfE_St5arrayIPcLm2EEEEviT0_T1_, .Lfunc_end18-_ZN2at6native29vectorized_elementwise_kernelILi4EZZZNS0_12_GLOBAL__N_121bessel_y1_kernel_cudaERNS_18TensorIteratorBaseEENKUlvE_clEvENKUlvE0_clEvEUlfE_St5arrayIPcLm2EEEEviT0_T1_
                                        ; -- End function
	.section	.AMDGPU.csdata,"",@progbits
; Kernel info:
; codeLenInByte = 184
; NumSgprs: 50
; NumVgprs: 63
; ScratchSize: 80
; MemoryBound: 0
; FloatMode: 240
; IeeeMode: 1
; LDSByteSize: 0 bytes/workgroup (compile time only)
; SGPRBlocks: 6
; VGPRBlocks: 7
; NumSGPRsForWavesPerEU: 50
; NumVGPRsForWavesPerEU: 63
; Occupancy: 16
; WaveLimiterHint : 0
; COMPUTE_PGM_RSRC2:SCRATCH_EN: 1
; COMPUTE_PGM_RSRC2:USER_SGPR: 15
; COMPUTE_PGM_RSRC2:TRAP_HANDLER: 0
; COMPUTE_PGM_RSRC2:TGID_X_EN: 1
; COMPUTE_PGM_RSRC2:TGID_Y_EN: 0
; COMPUTE_PGM_RSRC2:TGID_Z_EN: 0
; COMPUTE_PGM_RSRC2:TIDIG_COMP_CNT: 0
	.section	.text._ZN2at6native29vectorized_elementwise_kernelILi2EZZZNS0_12_GLOBAL__N_121bessel_y1_kernel_cudaERNS_18TensorIteratorBaseEENKUlvE_clEvENKUlvE0_clEvEUlfE_St5arrayIPcLm2EEEEviT0_T1_,"axG",@progbits,_ZN2at6native29vectorized_elementwise_kernelILi2EZZZNS0_12_GLOBAL__N_121bessel_y1_kernel_cudaERNS_18TensorIteratorBaseEENKUlvE_clEvENKUlvE0_clEvEUlfE_St5arrayIPcLm2EEEEviT0_T1_,comdat
	.globl	_ZN2at6native29vectorized_elementwise_kernelILi2EZZZNS0_12_GLOBAL__N_121bessel_y1_kernel_cudaERNS_18TensorIteratorBaseEENKUlvE_clEvENKUlvE0_clEvEUlfE_St5arrayIPcLm2EEEEviT0_T1_ ; -- Begin function _ZN2at6native29vectorized_elementwise_kernelILi2EZZZNS0_12_GLOBAL__N_121bessel_y1_kernel_cudaERNS_18TensorIteratorBaseEENKUlvE_clEvENKUlvE0_clEvEUlfE_St5arrayIPcLm2EEEEviT0_T1_
	.p2align	8
	.type	_ZN2at6native29vectorized_elementwise_kernelILi2EZZZNS0_12_GLOBAL__N_121bessel_y1_kernel_cudaERNS_18TensorIteratorBaseEENKUlvE_clEvENKUlvE0_clEvEUlfE_St5arrayIPcLm2EEEEviT0_T1_,@function
_ZN2at6native29vectorized_elementwise_kernelILi2EZZZNS0_12_GLOBAL__N_121bessel_y1_kernel_cudaERNS_18TensorIteratorBaseEENKUlvE_clEvENKUlvE0_clEvEUlfE_St5arrayIPcLm2EEEEviT0_T1_: ; @_ZN2at6native29vectorized_elementwise_kernelILi2EZZZNS0_12_GLOBAL__N_121bessel_y1_kernel_cudaERNS_18TensorIteratorBaseEENKUlvE_clEvENKUlvE0_clEvEUlfE_St5arrayIPcLm2EEEEviT0_T1_
; %bb.0:
	s_clause 0x1
	s_load_b32 s2, s[0:1], 0x0
	s_load_b128 s[36:39], s[0:1], 0x8
	s_lshl_b32 s0, s15, 10
	s_mov_b32 s1, -1
	s_mov_b32 s32, 0
	s_waitcnt lgkmcnt(0)
	s_sub_i32 s35, s2, s0
	s_delay_alu instid0(SALU_CYCLE_1)
	s_cmpk_gt_i32 s35, 0x3ff
	s_cbranch_scc0 .LBB19_10
; %bb.1:
	s_ashr_i32 s1, s0, 31
	v_lshlrev_b32_e32 v47, 3, v0
	s_lshl_b64 s[40:41], s[0:1], 2
                                        ; implicit-def: $vgpr45
	s_delay_alu instid0(SALU_CYCLE_1)
	s_add_u32 s0, s38, s40
	s_addc_u32 s1, s39, s41
	s_clause 0x1
	global_load_b64 v[43:44], v47, s[0:1]
	global_load_b64 v[41:42], v47, s[0:1] offset:2048
	s_mov_b32 s0, exec_lo
	s_waitcnt vmcnt(1)
	v_cmpx_ge_f32_e32 0x40a00000, v43
	s_xor_b32 s42, exec_lo, s0
	s_cbranch_execz .LBB19_7
; %bb.2:
	v_mov_b32_e32 v45, 0xff800000
	s_mov_b32 s43, exec_lo
	v_cmpx_neq_f32_e32 0, v43
	s_cbranch_execz .LBB19_6
; %bb.3:
	v_mov_b32_e32 v45, 0x7fc00000
	s_mov_b32 s44, exec_lo
	v_cmpx_nge_f32_e32 0, v43
	s_cbranch_execz .LBB19_5
; %bb.4:
	v_mul_f32_e32 v1, v43, v43
	s_getpc_b64 s[0:1]
	s_add_u32 s0, s0, _Z17bessel_j1_forwardIfET_S0_@rel32@lo+4
	s_addc_u32 s1, s1, _Z17bessel_j1_forwardIfET_S0_@rel32@hi+12
	s_mov_b32 s45, s15
	v_dual_mov_b32 v45, v0 :: v_dual_mov_b32 v0, v43
	v_fmaak_f32 v2, 0, v1, 0x4414934d
	v_fmaak_f32 v3, 0, v1, 0x4e9695f3
	s_delay_alu instid0(VALU_DEP_2) | instskip(NEXT) | instid1(VALU_DEP_2)
	v_fmaak_f32 v2, v1, v2, 0x48660b06
	v_fmaak_f32 v3, v1, v3, 0xd316b96b
	s_delay_alu instid0(VALU_DEP_2) | instskip(NEXT) | instid1(VALU_DEP_2)
	;; [unrolled: 3-line block ×5, first 2 shown]
	v_fmaak_f32 v2, v1, v2, 0x580d1937
	v_fmaak_f32 v3, v1, v3, 0xdd2cf20b
	s_delay_alu instid0(VALU_DEP_2) | instskip(NEXT) | instid1(VALU_DEP_1)
	v_fmaak_f32 v2, v1, v2, 0x5b741f1e
	v_fmaak_f32 v1, v1, v2, 0x5e5c878d
	s_delay_alu instid0(VALU_DEP_1) | instskip(SKIP_1) | instid1(VALU_DEP_2)
	v_div_scale_f32 v2, null, v1, v1, v3
	v_div_scale_f32 v6, vcc_lo, v3, v1, v3
	v_rcp_f32_e32 v4, v2
	s_waitcnt_depctr 0xfff
	v_fma_f32 v5, -v2, v4, 1.0
	s_delay_alu instid0(VALU_DEP_1) | instskip(NEXT) | instid1(VALU_DEP_1)
	v_fmac_f32_e32 v4, v5, v4
	v_mul_f32_e32 v5, v6, v4
	s_delay_alu instid0(VALU_DEP_1) | instskip(NEXT) | instid1(VALU_DEP_1)
	v_fma_f32 v7, -v2, v5, v6
	v_fmac_f32_e32 v5, v7, v4
	s_delay_alu instid0(VALU_DEP_1) | instskip(NEXT) | instid1(VALU_DEP_1)
	v_fma_f32 v2, -v2, v5, v6
	v_div_fmas_f32 v2, v2, v4, v5
	s_delay_alu instid0(VALU_DEP_1) | instskip(SKIP_4) | instid1(VALU_DEP_3)
	v_div_fixup_f32 v46, v2, v1, v3
	s_swappc_b64 s[30:31], s[0:1]
	v_div_scale_f32 v2, null, v43, v43, -1.0
	v_cmp_gt_f32_e32 vcc_lo, 0x800000, v43
	v_dual_mov_b32 v1, v0 :: v_dual_mov_b32 v0, v45
	v_rcp_f32_e32 v4, v2
	v_div_scale_f32 v6, s0, -1.0, v43, -1.0
	v_cndmask_b32_e64 v3, 1.0, 0x4f800000, vcc_lo
	s_mov_b32 s15, s45
	s_waitcnt_depctr 0xfff
	v_fma_f32 v5, -v2, v4, 1.0
	s_delay_alu instid0(VALU_DEP_1) | instskip(NEXT) | instid1(VALU_DEP_1)
	v_dual_mul_f32 v3, v43, v3 :: v_dual_fmac_f32 v4, v5, v4
	v_log_f32_e32 v3, v3
	s_waitcnt_depctr 0xfff
	v_mul_f32_e32 v5, 0x3f317217, v3
	v_cmp_gt_f32_e64 s1, 0x7f800000, |v3|
	s_delay_alu instid0(VALU_DEP_2) | instskip(NEXT) | instid1(VALU_DEP_1)
	v_fma_f32 v8, 0x3f317217, v3, -v5
	v_dual_mul_f32 v7, v6, v4 :: v_dual_fmamk_f32 v8, v3, 0x3377d1cf, v8
	s_delay_alu instid0(VALU_DEP_1) | instskip(NEXT) | instid1(VALU_DEP_2)
	v_fma_f32 v9, -v2, v7, v6
	v_add_f32_e32 v5, v5, v8
	s_delay_alu instid0(VALU_DEP_2) | instskip(NEXT) | instid1(VALU_DEP_2)
	v_fmac_f32_e32 v7, v9, v4
	v_cndmask_b32_e64 v3, v3, v5, s1
	s_delay_alu instid0(VALU_DEP_2) | instskip(SKIP_2) | instid1(VALU_DEP_2)
	v_fma_f32 v2, -v2, v7, v6
	v_cndmask_b32_e64 v5, 0, 0x41b17218, vcc_lo
	s_mov_b32 vcc_lo, s0
	v_div_fmas_f32 v2, v2, v4, v7
	s_delay_alu instid0(VALU_DEP_2) | instskip(NEXT) | instid1(VALU_DEP_2)
	v_sub_f32_e32 v3, v3, v5
	v_div_fixup_f32 v2, v2, v43, -1.0
	s_delay_alu instid0(VALU_DEP_1) | instskip(NEXT) | instid1(VALU_DEP_1)
	v_fmac_f32_e32 v2, v3, v1
	v_mul_f32_e32 v45, 0x3f22f983, v2
	s_delay_alu instid0(VALU_DEP_1)
	v_fmac_f32_e32 v45, v43, v46
.LBB19_5:
	s_or_b32 exec_lo, exec_lo, s44
.LBB19_6:
	s_delay_alu instid0(SALU_CYCLE_1)
	s_or_b32 exec_lo, exec_lo, s43
.LBB19_7:
	s_and_not1_saveexec_b32 s3, s42
	s_cbranch_execz .LBB19_19
; %bb.8:
	v_add_f32_e32 v1, 0xc016cbe4, v43
                                        ; implicit-def: $vgpr4
                                        ; implicit-def: $vgpr3
	s_delay_alu instid0(VALU_DEP_1) | instskip(SKIP_1) | instid1(VALU_DEP_2)
	v_and_b32_e32 v2, 0x7fffffff, v1
	v_cmp_ngt_f32_e64 s4, 0x48000000, |v1|
	v_lshrrev_b32_e32 v6, 23, v2
	s_delay_alu instid0(VALU_DEP_2) | instskip(NEXT) | instid1(SALU_CYCLE_1)
	s_and_saveexec_b32 s0, s4
	s_xor_b32 s5, exec_lo, s0
	s_cbranch_execz .LBB19_12
; %bb.9:
	s_mov_b32 s0, 0x7fffff
	v_mov_b32_e32 v5, 0
	v_and_or_b32 v14, v2, s0, 0x800000
	v_add_nc_u32_e32 v12, 0xffffff88, v6
	s_delay_alu instid0(VALU_DEP_2) | instskip(NEXT) | instid1(VALU_DEP_2)
	v_mad_u64_u32 v[3:4], null, 0xfe5163ab, v14, 0
	v_cmp_lt_u32_e32 vcc_lo, 63, v12
	v_cndmask_b32_e64 v13, 0, 0xffffffc0, vcc_lo
	s_delay_alu instid0(VALU_DEP_3) | instskip(NEXT) | instid1(VALU_DEP_1)
	v_mad_u64_u32 v[7:8], null, 0x3c439041, v14, v[4:5]
	v_dual_mov_b32 v4, v8 :: v_dual_add_nc_u32 v13, v13, v12
	s_delay_alu instid0(VALU_DEP_1) | instskip(NEXT) | instid1(VALU_DEP_2)
	v_cmp_lt_u32_e64 s0, 31, v13
	v_mad_u64_u32 v[8:9], null, 0xdb629599, v14, v[4:5]
	s_delay_alu instid0(VALU_DEP_2) | instskip(NEXT) | instid1(VALU_DEP_1)
	v_cndmask_b32_e64 v15, 0, 0xffffffe0, s0
	v_dual_mov_b32 v4, v9 :: v_dual_add_nc_u32 v15, v15, v13
	s_delay_alu instid0(VALU_DEP_3) | instskip(NEXT) | instid1(VALU_DEP_2)
	v_cndmask_b32_e32 v3, v8, v3, vcc_lo
	v_cmp_lt_u32_e64 s1, 31, v15
	s_delay_alu instid0(VALU_DEP_3) | instskip(NEXT) | instid1(VALU_DEP_1)
	v_mad_u64_u32 v[9:10], null, 0xf534ddc0, v14, v[4:5]
	v_dual_mov_b32 v4, v10 :: v_dual_cndmask_b32 v7, v9, v7
	s_delay_alu instid0(VALU_DEP_1) | instskip(NEXT) | instid1(VALU_DEP_2)
	v_mad_u64_u32 v[10:11], null, 0xfc2757d1, v14, v[4:5]
	v_cndmask_b32_e64 v3, v7, v3, s0
	s_delay_alu instid0(VALU_DEP_2) | instskip(NEXT) | instid1(VALU_DEP_1)
	v_mov_b32_e32 v4, v11
	v_mad_u64_u32 v[11:12], null, 0x4e441529, v14, v[4:5]
	s_delay_alu instid0(VALU_DEP_1) | instskip(NEXT) | instid1(VALU_DEP_1)
	v_mov_b32_e32 v4, v12
	v_mad_u64_u32 v[12:13], null, 0xa2f9836e, v14, v[4:5]
	v_cndmask_b32_e64 v4, 0, 0xffffffe0, s1
	s_delay_alu instid0(VALU_DEP_1) | instskip(NEXT) | instid1(VALU_DEP_3)
	v_dual_cndmask_b32 v5, v11, v9 :: v_dual_add_nc_u32 v4, v4, v15
	v_dual_cndmask_b32 v12, v12, v10 :: v_dual_cndmask_b32 v11, v13, v11
	v_cndmask_b32_e32 v10, v10, v8, vcc_lo
	s_delay_alu instid0(VALU_DEP_3) | instskip(NEXT) | instid1(VALU_DEP_3)
	v_cmp_eq_u32_e64 s2, 0, v4
	v_cndmask_b32_e64 v9, v12, v5, s0
	s_delay_alu instid0(VALU_DEP_4) | instskip(NEXT) | instid1(VALU_DEP_4)
	v_cndmask_b32_e64 v11, v11, v12, s0
	v_cndmask_b32_e64 v5, v5, v10, s0
	v_sub_nc_u32_e32 v12, 32, v4
	v_cndmask_b32_e64 v10, v10, v7, s0
	s_delay_alu instid0(VALU_DEP_4) | instskip(NEXT) | instid1(VALU_DEP_4)
	v_cndmask_b32_e64 v11, v11, v9, s1
	v_cndmask_b32_e64 v9, v9, v5, s1
	s_delay_alu instid0(VALU_DEP_3) | instskip(SKIP_1) | instid1(VALU_DEP_3)
	v_cndmask_b32_e64 v5, v5, v10, s1
	v_cndmask_b32_e64 v3, v10, v3, s1
	v_alignbit_b32 v13, v11, v9, v12
	s_delay_alu instid0(VALU_DEP_3) | instskip(NEXT) | instid1(VALU_DEP_3)
	v_alignbit_b32 v14, v9, v5, v12
	v_alignbit_b32 v12, v5, v3, v12
	s_delay_alu instid0(VALU_DEP_3) | instskip(NEXT) | instid1(VALU_DEP_3)
	v_cndmask_b32_e64 v4, v13, v11, s2
	v_cndmask_b32_e64 v8, v14, v9, s2
	s_delay_alu instid0(VALU_DEP_3) | instskip(NEXT) | instid1(VALU_DEP_3)
	v_cndmask_b32_e64 v5, v12, v5, s2
	v_bfe_u32 v9, v4, 29, 1
	s_delay_alu instid0(VALU_DEP_3) | instskip(NEXT) | instid1(VALU_DEP_3)
	v_alignbit_b32 v7, v4, v8, 30
	v_alignbit_b32 v8, v8, v5, 30
	;; [unrolled: 1-line block ×3, first 2 shown]
	s_delay_alu instid0(VALU_DEP_4) | instskip(NEXT) | instid1(VALU_DEP_1)
	v_sub_nc_u32_e32 v11, 0, v9
	v_xor_b32_e32 v10, v7, v11
	v_cmp_ne_u32_e32 vcc_lo, v7, v11
	v_xor_b32_e32 v5, v8, v11
	v_xor_b32_e32 v3, v3, v11
	s_delay_alu instid0(VALU_DEP_4) | instskip(NEXT) | instid1(VALU_DEP_1)
	v_clz_i32_u32_e32 v13, v10
	v_add_nc_u32_e32 v12, 1, v13
	s_delay_alu instid0(VALU_DEP_1) | instskip(NEXT) | instid1(VALU_DEP_1)
	v_cndmask_b32_e32 v7, 33, v12, vcc_lo
	v_sub_nc_u32_e32 v8, 32, v7
	s_delay_alu instid0(VALU_DEP_1) | instskip(SKIP_3) | instid1(VALU_DEP_3)
	v_alignbit_b32 v10, v10, v5, v8
	v_alignbit_b32 v3, v5, v3, v8
	v_lshrrev_b32_e32 v5, 29, v4
	v_lshrrev_b32_e32 v4, 30, v4
	v_alignbit_b32 v8, v10, v3, 9
	s_delay_alu instid0(VALU_DEP_3) | instskip(SKIP_1) | instid1(VALU_DEP_4)
	v_lshlrev_b32_e32 v5, 31, v5
	v_alignbit_b32 v10, v7, v10, 9
	v_add_nc_u32_e32 v4, v9, v4
	s_delay_alu instid0(VALU_DEP_4) | instskip(NEXT) | instid1(VALU_DEP_3)
	v_clz_i32_u32_e32 v11, v8
	v_or_b32_e32 v10, v10, v5
	v_or_b32_e32 v5, 0x33800000, v5
	s_delay_alu instid0(VALU_DEP_3) | instskip(NEXT) | instid1(VALU_DEP_3)
	v_min_u32_e32 v11, 32, v11
	v_xor_b32_e32 v10, 1.0, v10
	s_delay_alu instid0(VALU_DEP_2) | instskip(SKIP_1) | instid1(VALU_DEP_3)
	v_sub_nc_u32_e32 v12, 31, v11
	v_add_lshl_u32 v7, v11, v7, 23
	v_mul_f32_e32 v11, 0x3fc90fda, v10
	s_delay_alu instid0(VALU_DEP_3) | instskip(NEXT) | instid1(VALU_DEP_3)
	v_alignbit_b32 v3, v8, v3, v12
	v_sub_nc_u32_e32 v5, v5, v7
	s_delay_alu instid0(VALU_DEP_3) | instskip(NEXT) | instid1(VALU_DEP_3)
	v_fma_f32 v7, 0x3fc90fda, v10, -v11
	v_lshrrev_b32_e32 v3, 9, v3
	s_delay_alu instid0(VALU_DEP_2) | instskip(NEXT) | instid1(VALU_DEP_2)
	v_fmamk_f32 v7, v10, 0x33a22168, v7
	v_or_b32_e32 v3, v5, v3
	s_delay_alu instid0(VALU_DEP_1) | instskip(NEXT) | instid1(VALU_DEP_1)
	v_fmac_f32_e32 v7, 0x3fc90fda, v3
	v_add_f32_e32 v3, v11, v7
	s_or_saveexec_b32 s0, s5
	v_mul_f32_e64 v8, 0x3f22f983, |v1|
	s_xor_b32 exec_lo, exec_lo, s0
	s_branch .LBB19_13
.LBB19_10:
	s_and_b32 vcc_lo, exec_lo, s1
	s_cbranch_vccz .LBB19_68
; %bb.11:
	v_dual_mov_b32 v31, v0 :: v_dual_mov_b32 v0, s36
	v_dual_mov_b32 v1, s37 :: v_dual_mov_b32 v2, s38
	;; [unrolled: 1-line block ×3, first 2 shown]
	s_mov_b32 s12, s15
	s_getpc_b64 s[0:1]
	s_add_u32 s0, s0, _ZN2at6native25elementwise_kernel_helperILb0EZZZNS0_12_GLOBAL__N_121bessel_y1_kernel_cudaERNS_18TensorIteratorBaseEENKUlvE_clEvENKUlvE0_clEvEUlfE_NS0_6memory8policies11unroll_baseILi256ESt5arrayIPcLm2EE23TrivialOffsetCalculatorILi1EjESF_NS8_15LoadWithoutCastENS8_16StoreWithoutCastELi4ELi1EEEEEvT0_T1_@rel32@lo+4
	s_addc_u32 s1, s1, _ZN2at6native25elementwise_kernel_helperILb0EZZZNS0_12_GLOBAL__N_121bessel_y1_kernel_cudaERNS_18TensorIteratorBaseEENKUlvE_clEvENKUlvE0_clEvEUlfE_NS0_6memory8policies11unroll_baseILi256ESt5arrayIPcLm2EE23TrivialOffsetCalculatorILi1EjESF_NS8_15LoadWithoutCastENS8_16StoreWithoutCastELi4ELi1EEEEEvT0_T1_@rel32@hi+12
	s_delay_alu instid0(SALU_CYCLE_1)
	s_swappc_b64 s[30:31], s[0:1]
	s_endpgm
.LBB19_12:
	s_or_saveexec_b32 s0, s5
	v_mul_f32_e64 v8, 0x3f22f983, |v1|
	s_xor_b32 exec_lo, exec_lo, s0
.LBB19_13:
	s_delay_alu instid0(VALU_DEP_1) | instskip(NEXT) | instid1(VALU_DEP_1)
	v_rndne_f32_e32 v4, v8
	v_fma_f32 v3, 0xbfc90fda, v4, |v1|
	s_delay_alu instid0(VALU_DEP_1) | instskip(NEXT) | instid1(VALU_DEP_1)
	v_fmamk_f32 v3, v4, 0xb3a22168, v3
	v_fmamk_f32 v3, v4, 0xa7c234c4, v3
	v_cvt_i32_f32_e32 v4, v4
; %bb.14:
	s_or_b32 exec_lo, exec_lo, s0
                                        ; implicit-def: $vgpr7
                                        ; implicit-def: $vgpr5
	s_and_saveexec_b32 s0, s4
	s_delay_alu instid0(SALU_CYCLE_1)
	s_xor_b32 s4, exec_lo, s0
	s_cbranch_execz .LBB19_16
; %bb.15:
	s_mov_b32 s0, 0x7fffff
	v_mov_b32_e32 v9, 0
	v_and_or_b32 v16, v2, s0, 0x800000
	s_delay_alu instid0(VALU_DEP_1) | instskip(NEXT) | instid1(VALU_DEP_1)
	v_mad_u64_u32 v[7:8], null, 0xfe5163ab, v16, 0
	v_mad_u64_u32 v[10:11], null, 0x3c439041, v16, v[8:9]
	s_delay_alu instid0(VALU_DEP_1) | instskip(NEXT) | instid1(VALU_DEP_1)
	v_mov_b32_e32 v8, v11
	v_mad_u64_u32 v[11:12], null, 0xdb629599, v16, v[8:9]
	s_delay_alu instid0(VALU_DEP_1) | instskip(NEXT) | instid1(VALU_DEP_1)
	v_mov_b32_e32 v8, v12
	v_mad_u64_u32 v[12:13], null, 0xf534ddc0, v16, v[8:9]
	s_delay_alu instid0(VALU_DEP_1) | instskip(NEXT) | instid1(VALU_DEP_1)
	v_dual_mov_b32 v8, v13 :: v_dual_add_nc_u32 v13, 0xffffff88, v6
	v_mad_u64_u32 v[5:6], null, 0xfc2757d1, v16, v[8:9]
	s_delay_alu instid0(VALU_DEP_2) | instskip(SKIP_1) | instid1(VALU_DEP_3)
	v_cmp_lt_u32_e32 vcc_lo, 63, v13
	v_cndmask_b32_e64 v14, 0, 0xffffffc0, vcc_lo
	v_dual_mov_b32 v8, v6 :: v_dual_cndmask_b32 v7, v11, v7
	s_delay_alu instid0(VALU_DEP_2) | instskip(NEXT) | instid1(VALU_DEP_2)
	v_add_nc_u32_e32 v6, v14, v13
	v_mad_u64_u32 v[13:14], null, 0x4e441529, v16, v[8:9]
	s_delay_alu instid0(VALU_DEP_2) | instskip(NEXT) | instid1(VALU_DEP_2)
	v_cmp_lt_u32_e64 s0, 31, v6
	v_mov_b32_e32 v8, v14
	s_delay_alu instid0(VALU_DEP_2) | instskip(NEXT) | instid1(VALU_DEP_1)
	v_cndmask_b32_e64 v15, 0, 0xffffffe0, s0
	v_add_nc_u32_e32 v6, v15, v6
	s_delay_alu instid0(VALU_DEP_3) | instskip(SKIP_1) | instid1(VALU_DEP_3)
	v_mad_u64_u32 v[14:15], null, 0xa2f9836e, v16, v[8:9]
	v_cndmask_b32_e32 v9, v13, v12, vcc_lo
	v_cmp_lt_u32_e64 s1, 31, v6
	s_delay_alu instid0(VALU_DEP_3) | instskip(NEXT) | instid1(VALU_DEP_2)
	v_cndmask_b32_e32 v14, v14, v5, vcc_lo
	v_cndmask_b32_e64 v8, 0, 0xffffffe0, s1
	v_cndmask_b32_e32 v13, v15, v13, vcc_lo
	s_delay_alu instid0(VALU_DEP_2) | instskip(SKIP_2) | instid1(VALU_DEP_4)
	v_dual_cndmask_b32 v5, v5, v11 :: v_dual_add_nc_u32 v6, v8, v6
	v_cndmask_b32_e32 v8, v12, v10, vcc_lo
	v_cndmask_b32_e64 v10, v14, v9, s0
	v_cndmask_b32_e64 v12, v13, v14, s0
	s_delay_alu instid0(VALU_DEP_4)
	v_cndmask_b32_e64 v9, v9, v5, s0
	v_sub_nc_u32_e32 v13, 32, v6
	v_cndmask_b32_e64 v5, v5, v8, s0
	v_cmp_eq_u32_e64 s2, 0, v6
	v_cndmask_b32_e64 v12, v12, v10, s1
	v_cndmask_b32_e64 v10, v10, v9, s1
	;; [unrolled: 1-line block ×4, first 2 shown]
	s_delay_alu instid0(VALU_DEP_3) | instskip(NEXT) | instid1(VALU_DEP_3)
	v_alignbit_b32 v14, v12, v10, v13
	v_cndmask_b32_e64 v5, v5, v7, s1
	s_delay_alu instid0(VALU_DEP_3) | instskip(NEXT) | instid1(VALU_DEP_3)
	v_alignbit_b32 v15, v10, v9, v13
	v_cndmask_b32_e64 v6, v14, v12, s2
	;; [unrolled: 3-line block ×3, first 2 shown]
	s_delay_alu instid0(VALU_DEP_3) | instskip(NEXT) | instid1(VALU_DEP_3)
	v_bfe_u32 v11, v6, 29, 1
	v_cndmask_b32_e64 v9, v13, v9, s2
	s_delay_alu instid0(VALU_DEP_3) | instskip(NEXT) | instid1(VALU_DEP_3)
	v_alignbit_b32 v8, v6, v10, 30
	v_sub_nc_u32_e32 v12, 0, v11
	s_delay_alu instid0(VALU_DEP_3) | instskip(SKIP_1) | instid1(VALU_DEP_3)
	v_alignbit_b32 v10, v10, v9, 30
	v_alignbit_b32 v5, v9, v5, 30
	v_xor_b32_e32 v7, v8, v12
	v_cmp_ne_u32_e32 vcc_lo, v8, v12
	s_delay_alu instid0(VALU_DEP_4) | instskip(NEXT) | instid1(VALU_DEP_4)
	v_xor_b32_e32 v9, v10, v12
	v_xor_b32_e32 v5, v5, v12
	s_delay_alu instid0(VALU_DEP_4) | instskip(NEXT) | instid1(VALU_DEP_1)
	v_clz_i32_u32_e32 v14, v7
	v_add_nc_u32_e32 v13, 1, v14
	s_delay_alu instid0(VALU_DEP_1) | instskip(NEXT) | instid1(VALU_DEP_1)
	v_cndmask_b32_e32 v8, 33, v13, vcc_lo
	v_sub_nc_u32_e32 v10, 32, v8
	s_delay_alu instid0(VALU_DEP_1) | instskip(SKIP_3) | instid1(VALU_DEP_3)
	v_alignbit_b32 v7, v7, v9, v10
	v_alignbit_b32 v5, v9, v5, v10
	v_lshrrev_b32_e32 v9, 29, v6
	v_lshrrev_b32_e32 v6, 30, v6
	v_alignbit_b32 v10, v7, v5, 9
	s_delay_alu instid0(VALU_DEP_3) | instskip(SKIP_1) | instid1(VALU_DEP_3)
	v_lshlrev_b32_e32 v9, 31, v9
	v_alignbit_b32 v7, v8, v7, 9
	v_clz_i32_u32_e32 v12, v10
	s_delay_alu instid0(VALU_DEP_2) | instskip(SKIP_1) | instid1(VALU_DEP_3)
	v_or_b32_e32 v7, v7, v9
	v_or_b32_e32 v9, 0x33800000, v9
	v_min_u32_e32 v12, 32, v12
	s_delay_alu instid0(VALU_DEP_3) | instskip(NEXT) | instid1(VALU_DEP_2)
	v_xor_b32_e32 v7, 1.0, v7
	v_sub_nc_u32_e32 v13, 31, v12
	v_add_lshl_u32 v8, v12, v8, 23
	s_delay_alu instid0(VALU_DEP_3) | instskip(NEXT) | instid1(VALU_DEP_3)
	v_mul_f32_e32 v12, 0x3fc90fda, v7
	v_alignbit_b32 v5, v10, v5, v13
	s_delay_alu instid0(VALU_DEP_3) | instskip(NEXT) | instid1(VALU_DEP_3)
	v_sub_nc_u32_e32 v8, v9, v8
	v_fma_f32 v9, 0x3fc90fda, v7, -v12
	s_delay_alu instid0(VALU_DEP_3) | instskip(NEXT) | instid1(VALU_DEP_2)
	v_lshrrev_b32_e32 v5, 9, v5
	v_fmamk_f32 v7, v7, 0x33a22168, v9
	s_delay_alu instid0(VALU_DEP_2) | instskip(NEXT) | instid1(VALU_DEP_1)
	v_or_b32_e32 v5, v8, v5
                                        ; implicit-def: $vgpr8
	v_fmac_f32_e32 v7, 0x3fc90fda, v5
	s_delay_alu instid0(VALU_DEP_1)
	v_add_f32_e32 v5, v12, v7
	v_add_nc_u32_e32 v7, v11, v6
	s_and_not1_saveexec_b32 s0, s4
	s_cbranch_execnz .LBB19_17
	s_branch .LBB19_18
.LBB19_16:
	s_and_not1_saveexec_b32 s0, s4
.LBB19_17:
	v_rndne_f32_e32 v6, v8
	s_delay_alu instid0(VALU_DEP_1) | instskip(SKIP_1) | instid1(VALU_DEP_2)
	v_fma_f32 v5, 0xbfc90fda, v6, |v1|
	v_cvt_i32_f32_e32 v7, v6
	v_fmamk_f32 v5, v6, 0xb3a22168, v5
	s_delay_alu instid0(VALU_DEP_1)
	v_fmamk_f32 v5, v6, 0xa7c234c4, v5
.LBB19_18:
	s_or_b32 exec_lo, exec_lo, s0
	v_div_scale_f32 v6, null, v43, v43, 0x40a00000
	v_div_scale_f32 v10, vcc_lo, 0x40a00000, v43, 0x40a00000
	s_mov_b32 s0, 0xb94c1982
	s_delay_alu instid0(VALU_DEP_2) | instskip(SKIP_4) | instid1(VALU_DEP_1)
	v_rcp_f32_e32 v8, v6
	s_mov_b32 s1, 0x37d75334
	v_xor_b32_e32 v2, v2, v1
	s_waitcnt_depctr 0xfff
	v_fma_f32 v9, -v6, v8, 1.0
	v_fmac_f32_e32 v8, v9, v8
	s_delay_alu instid0(VALU_DEP_1) | instskip(NEXT) | instid1(VALU_DEP_1)
	v_mul_f32_e32 v9, v10, v8
	v_fma_f32 v11, -v6, v9, v10
	s_delay_alu instid0(VALU_DEP_1) | instskip(SKIP_1) | instid1(VALU_DEP_2)
	v_fmac_f32_e32 v9, v11, v8
	v_mul_f32_e32 v11, v5, v5
	v_fma_f32 v6, -v6, v9, v10
	s_delay_alu instid0(VALU_DEP_2) | instskip(SKIP_1) | instid1(VALU_DEP_3)
	v_fmaak_f32 v20, s0, v11, 0x3c0881c4
	v_fmaak_f32 v21, s1, v11, 0xbab64f3b
	v_div_fmas_f32 v6, v6, v8, v9
	v_mul_f32_e32 v8, v3, v3
	s_delay_alu instid0(VALU_DEP_4)
	v_fmaak_f32 v20, v11, v20, 0xbe2aaa9d
	v_mul_f32_e32 v17, 0x4f800000, v43
	v_fmaak_f32 v21, v11, v21, 0x3d2aabf7
	v_div_fixup_f32 v6, v6, v43, 0x40a00000
	v_fmaak_f32 v18, s0, v8, 0x3c0881c4
	v_cmp_gt_f32_e64 s0, 0xf800000, v43
	v_fmaak_f32 v19, s1, v8, 0xbab64f3b
	v_mul_f32_e32 v20, v11, v20
	v_dual_mul_f32 v10, v6, v6 :: v_dual_and_b32 v9, 1, v4
	v_lshlrev_b32_e32 v4, 30, v4
	v_and_b32_e32 v12, 1, v7
	v_cndmask_b32_e64 v17, v43, v17, s0
	s_delay_alu instid0(VALU_DEP_4) | instskip(SKIP_3) | instid1(VALU_DEP_4)
	v_fmaak_f32 v15, 0, v10, 0x3a47c962
	v_fmaak_f32 v14, 0, v10, 0x3a15c4d9
	;; [unrolled: 1-line block ×3, first 2 shown]
	v_dual_fmaak_f32 v16, 0, v10, 0x42947983 :: v_dual_lshlrev_b32 v7, 30, v7
	v_fmaak_f32 v15, v10, v15, 0x3d95ca45
	s_delay_alu instid0(VALU_DEP_4) | instskip(SKIP_2) | instid1(VALU_DEP_3)
	v_dual_fmaak_f32 v14, v10, v14, 0x3d8cfeeb :: v_dual_fmac_f32 v5, v5, v20
	v_sqrt_f32_e32 v25, v17
	v_fmaak_f32 v18, v8, v18, 0xbe2aaa9d
	v_fmaak_f32 v15, v10, v15, 0x3f9047f6
	s_delay_alu instid0(VALU_DEP_3)
	v_fmaak_f32 v14, v10, v14, 0x3f8d754e
	v_fmaak_f32 v13, v10, v13, 0x409f6dae
	;; [unrolled: 1-line block ×3, first 2 shown]
	v_mul_f32_e32 v18, v8, v18
	v_fmaak_f32 v16, v10, v16, 0x44840e5d
	v_fmaak_f32 v21, v11, v21, 0xbf000004
	v_cmp_eq_u32_e64 s2, 0, v9
	v_fmaak_f32 v19, v8, v19, 0xbf000004
	v_fmac_f32_e32 v3, v3, v18
	v_fmaak_f32 v14, v10, v14, 0x40a25d18
	v_fmaak_f32 v16, v10, v16, 0x459bd349
	v_fma_f32 v11, v11, v21, 1.0
	v_fma_f32 v8, v8, v19, 1.0
	v_and_b32_e32 v4, 0x80000000, v4
	v_dual_fmaak_f32 v15, v10, v15, 0x40a39628 :: v_dual_add_nc_u32 v20, -1, v25
	v_fmaak_f32 v14, v10, v14, 0x410665cf
	v_fmaak_f32 v16, v10, v16, 0x46156947
	v_cndmask_b32_e64 v3, v8, v3, s2
	v_cmp_eq_u32_e64 s2, 0, v12
	v_fmaak_f32 v15, v10, v15, 0x4106c8e4
	v_fmaak_f32 v14, v10, v14, 0x40a6b6ea
	;; [unrolled: 1-line block ×3, first 2 shown]
	v_fma_f32 v8, -v20, v25, v17
	v_cndmask_b32_e64 v5, -v5, v11, s2
	v_fmaak_f32 v15, v10, v15, 0x40a6dd51
	v_fma_f32 v14, v10, v14, 1.0
	v_fmaak_f32 v16, v10, v16, 0x4530a316
	v_xor3_b32 v2, v2, v4, v3
	v_and_b32_e32 v7, 0x80000000, v7
	v_fma_f32 v15, v10, v15, 1.0
	s_delay_alu instid0(VALU_DEP_4) | instskip(NEXT) | instid1(VALU_DEP_3)
	v_fmaak_f32 v16, v10, v16, 0x43a80bfb
	v_xor_b32_e32 v5, v7, v5
	s_delay_alu instid0(VALU_DEP_3) | instskip(SKIP_1) | instid1(VALU_DEP_1)
	v_div_scale_f32 v28, vcc_lo, v15, v14, v15
	v_fmaak_f32 v13, v10, v13, 0x4297a5cd
	v_fmaak_f32 v13, v10, v13, 0x43b763ca
	s_delay_alu instid0(VALU_DEP_1) | instskip(NEXT) | instid1(VALU_DEP_1)
	v_fmaak_f32 v13, v10, v13, 0x4431b6ce
	v_fmaak_f32 v13, v10, v13, 0x44155f56
	s_delay_alu instid0(VALU_DEP_1) | instskip(NEXT) | instid1(VALU_DEP_1)
	v_fmaak_f32 v13, v10, v13, 0x4353b052
	v_fmaak_f32 v10, v10, v13, 0x41c9a7fa
	v_div_scale_f32 v13, null, v14, v14, v15
	s_delay_alu instid0(VALU_DEP_2) | instskip(NEXT) | instid1(VALU_DEP_2)
	v_div_scale_f32 v22, null, v16, v16, v10
	v_rcp_f32_e32 v23, v13
	s_delay_alu instid0(VALU_DEP_1) | instskip(SKIP_3) | instid1(VALU_DEP_2)
	v_rcp_f32_e32 v24, v22
	s_waitcnt_depctr 0xfff
	v_fma_f32 v26, -v13, v23, 1.0
	v_fma_f32 v27, -v22, v24, 1.0
	v_fmac_f32_e32 v23, v26, v23
	v_div_scale_f32 v26, s1, v10, v16, v10
	s_delay_alu instid0(VALU_DEP_3) | instskip(NEXT) | instid1(VALU_DEP_1)
	v_dual_fmac_f32 v24, v27, v24 :: v_dual_add_nc_u32 v27, 1, v25
	v_dual_mul_f32 v18, v28, v23 :: v_dual_mul_f32 v19, v26, v24
	s_delay_alu instid0(VALU_DEP_2) | instskip(NEXT) | instid1(VALU_DEP_2)
	v_fma_f32 v9, -v27, v25, v17
	v_fma_f32 v21, -v13, v18, v28
	s_delay_alu instid0(VALU_DEP_3) | instskip(NEXT) | instid1(VALU_DEP_2)
	v_fma_f32 v29, -v22, v19, v26
	v_fmac_f32_e32 v18, v21, v23
	s_delay_alu instid0(VALU_DEP_2) | instskip(NEXT) | instid1(VALU_DEP_2)
	v_fmac_f32_e32 v19, v29, v24
	v_fma_f32 v11, -v13, v18, v28
	s_delay_alu instid0(VALU_DEP_2) | instskip(NEXT) | instid1(VALU_DEP_2)
	v_fma_f32 v3, -v22, v19, v26
	v_div_fmas_f32 v4, v11, v23, v18
	s_mov_b32 vcc_lo, s1
	v_cmp_lt_f32_e64 s1, 0, v9
	s_delay_alu instid0(VALU_DEP_3)
	v_div_fmas_f32 v3, v3, v24, v19
	v_cmp_ge_f32_e32 vcc_lo, 0, v8
	v_div_fixup_f32 v4, v4, v14, v15
	v_cndmask_b32_e32 v7, v25, v20, vcc_lo
	v_cmp_class_f32_e64 vcc_lo, v1, 0x1f8
	v_div_fixup_f32 v1, v3, v16, v10
	s_delay_alu instid0(VALU_DEP_3) | instskip(SKIP_1) | instid1(VALU_DEP_3)
	v_cndmask_b32_e64 v3, v7, v27, s1
	v_cndmask_b32_e32 v5, 0x7fc00000, v5, vcc_lo
	v_dual_mul_f32 v1, v6, v1 :: v_dual_cndmask_b32 v2, 0x7fc00000, v2
	v_cmp_class_f32_e64 vcc_lo, v17, 0x260
	s_delay_alu instid0(VALU_DEP_2) | instskip(NEXT) | instid1(VALU_DEP_1)
	v_dual_mul_f32 v6, 0x37800000, v3 :: v_dual_mul_f32 v1, v1, v5
	v_cndmask_b32_e64 v3, v3, v6, s0
	s_delay_alu instid0(VALU_DEP_1) | instskip(NEXT) | instid1(VALU_DEP_1)
	v_dual_fmac_f32 v1, v4, v2 :: v_dual_cndmask_b32 v2, v3, v17
	v_mul_f32_e32 v1, 0x3f4c422a, v1
	s_delay_alu instid0(VALU_DEP_1) | instskip(NEXT) | instid1(VALU_DEP_1)
	v_div_scale_f32 v3, null, v2, v2, v1
	v_rcp_f32_e32 v4, v3
	s_waitcnt_depctr 0xfff
	v_fma_f32 v5, -v3, v4, 1.0
	s_delay_alu instid0(VALU_DEP_1) | instskip(SKIP_1) | instid1(VALU_DEP_1)
	v_fmac_f32_e32 v4, v5, v4
	v_div_scale_f32 v5, vcc_lo, v1, v2, v1
	v_mul_f32_e32 v6, v5, v4
	s_delay_alu instid0(VALU_DEP_1) | instskip(NEXT) | instid1(VALU_DEP_1)
	v_fma_f32 v7, -v3, v6, v5
	v_fmac_f32_e32 v6, v7, v4
	s_delay_alu instid0(VALU_DEP_1) | instskip(NEXT) | instid1(VALU_DEP_1)
	v_fma_f32 v3, -v3, v6, v5
	v_div_fmas_f32 v3, v3, v4, v6
	s_delay_alu instid0(VALU_DEP_1)
	v_div_fixup_f32 v45, v3, v2, v1
.LBB19_19:
	s_or_b32 exec_lo, exec_lo, s3
	s_delay_alu instid0(SALU_CYCLE_1)
	s_mov_b32 s0, exec_lo
	v_cmpx_ge_f32_e32 0x40a00000, v44
	s_xor_b32 s42, exec_lo, s0
	s_cbranch_execz .LBB19_25
; %bb.20:
	v_mov_b32_e32 v46, 0xff800000
	s_mov_b32 s43, exec_lo
	v_cmpx_neq_f32_e32 0, v44
	s_cbranch_execz .LBB19_24
; %bb.21:
	v_mov_b32_e32 v46, 0x7fc00000
	s_mov_b32 s44, exec_lo
	v_cmpx_nge_f32_e32 0, v44
	s_cbranch_execz .LBB19_23
; %bb.22:
	v_mul_f32_e32 v1, v44, v44
	s_getpc_b64 s[0:1]
	s_add_u32 s0, s0, _Z17bessel_j1_forwardIfET_S0_@rel32@lo+4
	s_addc_u32 s1, s1, _Z17bessel_j1_forwardIfET_S0_@rel32@hi+12
	s_mov_b32 s45, s15
	v_mov_b32_e32 v43, v0
	v_mov_b32_e32 v0, v44
	v_fmaak_f32 v2, 0, v1, 0x4414934d
	v_fmaak_f32 v3, 0, v1, 0x4e9695f3
	s_delay_alu instid0(VALU_DEP_2) | instskip(NEXT) | instid1(VALU_DEP_2)
	v_fmaak_f32 v2, v1, v2, 0x48660b06
	v_fmaak_f32 v3, v1, v3, 0xd316b96b
	s_delay_alu instid0(VALU_DEP_2) | instskip(NEXT) | instid1(VALU_DEP_2)
	;; [unrolled: 3-line block ×5, first 2 shown]
	v_fmaak_f32 v2, v1, v2, 0x580d1937
	v_fmaak_f32 v3, v1, v3, 0xdd2cf20b
	s_delay_alu instid0(VALU_DEP_2) | instskip(NEXT) | instid1(VALU_DEP_1)
	v_fmaak_f32 v2, v1, v2, 0x5b741f1e
	v_fmaak_f32 v1, v1, v2, 0x5e5c878d
	s_delay_alu instid0(VALU_DEP_1) | instskip(SKIP_1) | instid1(VALU_DEP_2)
	v_div_scale_f32 v2, null, v1, v1, v3
	v_div_scale_f32 v6, vcc_lo, v3, v1, v3
	v_rcp_f32_e32 v4, v2
	s_waitcnt_depctr 0xfff
	v_fma_f32 v5, -v2, v4, 1.0
	s_delay_alu instid0(VALU_DEP_1) | instskip(NEXT) | instid1(VALU_DEP_1)
	v_fmac_f32_e32 v4, v5, v4
	v_mul_f32_e32 v5, v6, v4
	s_delay_alu instid0(VALU_DEP_1) | instskip(NEXT) | instid1(VALU_DEP_1)
	v_fma_f32 v7, -v2, v5, v6
	v_fmac_f32_e32 v5, v7, v4
	s_delay_alu instid0(VALU_DEP_1) | instskip(NEXT) | instid1(VALU_DEP_1)
	v_fma_f32 v2, -v2, v5, v6
	v_div_fmas_f32 v2, v2, v4, v5
	s_delay_alu instid0(VALU_DEP_1) | instskip(SKIP_4) | instid1(VALU_DEP_3)
	v_div_fixup_f32 v56, v2, v1, v3
	s_swappc_b64 s[30:31], s[0:1]
	v_div_scale_f32 v2, null, v44, v44, -1.0
	v_cmp_gt_f32_e32 vcc_lo, 0x800000, v44
	v_dual_mov_b32 v1, v0 :: v_dual_mov_b32 v0, v43
	v_rcp_f32_e32 v4, v2
	v_div_scale_f32 v6, s0, -1.0, v44, -1.0
	v_cndmask_b32_e64 v3, 1.0, 0x4f800000, vcc_lo
	s_mov_b32 s15, s45
	s_waitcnt_depctr 0xfff
	v_fma_f32 v5, -v2, v4, 1.0
	s_delay_alu instid0(VALU_DEP_1) | instskip(NEXT) | instid1(VALU_DEP_1)
	v_dual_mul_f32 v3, v44, v3 :: v_dual_fmac_f32 v4, v5, v4
	v_log_f32_e32 v3, v3
	s_waitcnt_depctr 0xfff
	v_mul_f32_e32 v5, 0x3f317217, v3
	v_cmp_gt_f32_e64 s1, 0x7f800000, |v3|
	s_delay_alu instid0(VALU_DEP_2) | instskip(NEXT) | instid1(VALU_DEP_1)
	v_fma_f32 v8, 0x3f317217, v3, -v5
	v_dual_mul_f32 v7, v6, v4 :: v_dual_fmamk_f32 v8, v3, 0x3377d1cf, v8
	s_delay_alu instid0(VALU_DEP_1) | instskip(NEXT) | instid1(VALU_DEP_2)
	v_fma_f32 v9, -v2, v7, v6
	v_add_f32_e32 v5, v5, v8
	s_delay_alu instid0(VALU_DEP_2) | instskip(NEXT) | instid1(VALU_DEP_2)
	v_fmac_f32_e32 v7, v9, v4
	v_cndmask_b32_e64 v3, v3, v5, s1
	s_delay_alu instid0(VALU_DEP_2) | instskip(SKIP_2) | instid1(VALU_DEP_2)
	v_fma_f32 v2, -v2, v7, v6
	v_cndmask_b32_e64 v5, 0, 0x41b17218, vcc_lo
	s_mov_b32 vcc_lo, s0
	v_div_fmas_f32 v2, v2, v4, v7
	s_delay_alu instid0(VALU_DEP_2) | instskip(NEXT) | instid1(VALU_DEP_2)
	v_sub_f32_e32 v3, v3, v5
	v_div_fixup_f32 v2, v2, v44, -1.0
	s_delay_alu instid0(VALU_DEP_1) | instskip(NEXT) | instid1(VALU_DEP_1)
	v_fmac_f32_e32 v2, v3, v1
	v_mul_f32_e32 v46, 0x3f22f983, v2
	s_delay_alu instid0(VALU_DEP_1)
	v_fmac_f32_e32 v46, v44, v56
.LBB19_23:
	s_or_b32 exec_lo, exec_lo, s44
.LBB19_24:
	s_delay_alu instid0(SALU_CYCLE_1)
	s_or_b32 exec_lo, exec_lo, s43
                                        ; implicit-def: $vgpr43_vgpr44
.LBB19_25:
	s_and_not1_saveexec_b32 s3, s42
	s_cbranch_execz .LBB19_35
; %bb.26:
	v_add_f32_e32 v1, 0xc016cbe4, v44
                                        ; implicit-def: $vgpr4
                                        ; implicit-def: $vgpr3
	s_delay_alu instid0(VALU_DEP_1) | instskip(SKIP_1) | instid1(VALU_DEP_2)
	v_and_b32_e32 v2, 0x7fffffff, v1
	v_cmp_ngt_f32_e64 s4, 0x48000000, |v1|
	v_lshrrev_b32_e32 v6, 23, v2
	s_delay_alu instid0(VALU_DEP_2) | instskip(NEXT) | instid1(SALU_CYCLE_1)
	s_and_saveexec_b32 s0, s4
	s_xor_b32 s5, exec_lo, s0
	s_cbranch_execz .LBB19_28
; %bb.27:
	s_mov_b32 s0, 0x7fffff
	v_mov_b32_e32 v5, 0
	v_and_or_b32 v14, v2, s0, 0x800000
	v_add_nc_u32_e32 v12, 0xffffff88, v6
	s_delay_alu instid0(VALU_DEP_2) | instskip(NEXT) | instid1(VALU_DEP_2)
	v_mad_u64_u32 v[3:4], null, 0xfe5163ab, v14, 0
	v_cmp_lt_u32_e32 vcc_lo, 63, v12
	v_cndmask_b32_e64 v13, 0, 0xffffffc0, vcc_lo
	s_delay_alu instid0(VALU_DEP_3) | instskip(NEXT) | instid1(VALU_DEP_1)
	v_mad_u64_u32 v[7:8], null, 0x3c439041, v14, v[4:5]
	v_dual_mov_b32 v4, v8 :: v_dual_add_nc_u32 v13, v13, v12
	s_delay_alu instid0(VALU_DEP_1) | instskip(NEXT) | instid1(VALU_DEP_2)
	v_cmp_lt_u32_e64 s0, 31, v13
	v_mad_u64_u32 v[8:9], null, 0xdb629599, v14, v[4:5]
	s_delay_alu instid0(VALU_DEP_2) | instskip(NEXT) | instid1(VALU_DEP_1)
	v_cndmask_b32_e64 v15, 0, 0xffffffe0, s0
	v_dual_mov_b32 v4, v9 :: v_dual_add_nc_u32 v15, v15, v13
	s_delay_alu instid0(VALU_DEP_3) | instskip(NEXT) | instid1(VALU_DEP_2)
	v_cndmask_b32_e32 v3, v8, v3, vcc_lo
	v_cmp_lt_u32_e64 s1, 31, v15
	s_delay_alu instid0(VALU_DEP_3) | instskip(NEXT) | instid1(VALU_DEP_1)
	v_mad_u64_u32 v[9:10], null, 0xf534ddc0, v14, v[4:5]
	v_dual_mov_b32 v4, v10 :: v_dual_cndmask_b32 v7, v9, v7
	s_delay_alu instid0(VALU_DEP_1) | instskip(NEXT) | instid1(VALU_DEP_2)
	v_mad_u64_u32 v[10:11], null, 0xfc2757d1, v14, v[4:5]
	v_cndmask_b32_e64 v3, v7, v3, s0
	s_delay_alu instid0(VALU_DEP_2) | instskip(NEXT) | instid1(VALU_DEP_1)
	v_mov_b32_e32 v4, v11
	v_mad_u64_u32 v[11:12], null, 0x4e441529, v14, v[4:5]
	s_delay_alu instid0(VALU_DEP_1) | instskip(NEXT) | instid1(VALU_DEP_1)
	v_mov_b32_e32 v4, v12
	v_mad_u64_u32 v[12:13], null, 0xa2f9836e, v14, v[4:5]
	v_cndmask_b32_e64 v4, 0, 0xffffffe0, s1
	s_delay_alu instid0(VALU_DEP_1) | instskip(NEXT) | instid1(VALU_DEP_3)
	v_dual_cndmask_b32 v5, v11, v9 :: v_dual_add_nc_u32 v4, v4, v15
	v_dual_cndmask_b32 v12, v12, v10 :: v_dual_cndmask_b32 v11, v13, v11
	v_cndmask_b32_e32 v10, v10, v8, vcc_lo
	s_delay_alu instid0(VALU_DEP_3) | instskip(NEXT) | instid1(VALU_DEP_3)
	v_cmp_eq_u32_e64 s2, 0, v4
	v_cndmask_b32_e64 v9, v12, v5, s0
	s_delay_alu instid0(VALU_DEP_4) | instskip(NEXT) | instid1(VALU_DEP_4)
	v_cndmask_b32_e64 v11, v11, v12, s0
	v_cndmask_b32_e64 v5, v5, v10, s0
	v_sub_nc_u32_e32 v12, 32, v4
	v_cndmask_b32_e64 v10, v10, v7, s0
	s_delay_alu instid0(VALU_DEP_4) | instskip(NEXT) | instid1(VALU_DEP_4)
	v_cndmask_b32_e64 v11, v11, v9, s1
	v_cndmask_b32_e64 v9, v9, v5, s1
	s_delay_alu instid0(VALU_DEP_3) | instskip(SKIP_1) | instid1(VALU_DEP_3)
	v_cndmask_b32_e64 v5, v5, v10, s1
	v_cndmask_b32_e64 v3, v10, v3, s1
	v_alignbit_b32 v13, v11, v9, v12
	s_delay_alu instid0(VALU_DEP_3) | instskip(NEXT) | instid1(VALU_DEP_3)
	v_alignbit_b32 v14, v9, v5, v12
	v_alignbit_b32 v12, v5, v3, v12
	s_delay_alu instid0(VALU_DEP_3) | instskip(NEXT) | instid1(VALU_DEP_3)
	v_cndmask_b32_e64 v4, v13, v11, s2
	v_cndmask_b32_e64 v8, v14, v9, s2
	s_delay_alu instid0(VALU_DEP_3) | instskip(NEXT) | instid1(VALU_DEP_3)
	v_cndmask_b32_e64 v5, v12, v5, s2
	v_bfe_u32 v9, v4, 29, 1
	s_delay_alu instid0(VALU_DEP_3) | instskip(NEXT) | instid1(VALU_DEP_3)
	v_alignbit_b32 v7, v4, v8, 30
	v_alignbit_b32 v8, v8, v5, 30
	;; [unrolled: 1-line block ×3, first 2 shown]
	s_delay_alu instid0(VALU_DEP_4) | instskip(NEXT) | instid1(VALU_DEP_1)
	v_sub_nc_u32_e32 v11, 0, v9
	v_xor_b32_e32 v10, v7, v11
	v_cmp_ne_u32_e32 vcc_lo, v7, v11
	v_xor_b32_e32 v5, v8, v11
	v_xor_b32_e32 v3, v3, v11
	s_delay_alu instid0(VALU_DEP_4) | instskip(NEXT) | instid1(VALU_DEP_1)
	v_clz_i32_u32_e32 v13, v10
	v_add_nc_u32_e32 v12, 1, v13
	s_delay_alu instid0(VALU_DEP_1) | instskip(NEXT) | instid1(VALU_DEP_1)
	v_cndmask_b32_e32 v7, 33, v12, vcc_lo
	v_sub_nc_u32_e32 v8, 32, v7
	s_delay_alu instid0(VALU_DEP_1) | instskip(SKIP_3) | instid1(VALU_DEP_3)
	v_alignbit_b32 v10, v10, v5, v8
	v_alignbit_b32 v3, v5, v3, v8
	v_lshrrev_b32_e32 v5, 29, v4
	v_lshrrev_b32_e32 v4, 30, v4
	v_alignbit_b32 v8, v10, v3, 9
	s_delay_alu instid0(VALU_DEP_3) | instskip(SKIP_1) | instid1(VALU_DEP_4)
	v_lshlrev_b32_e32 v5, 31, v5
	v_alignbit_b32 v10, v7, v10, 9
	v_add_nc_u32_e32 v4, v9, v4
	s_delay_alu instid0(VALU_DEP_4) | instskip(NEXT) | instid1(VALU_DEP_3)
	v_clz_i32_u32_e32 v11, v8
	v_or_b32_e32 v10, v10, v5
	v_or_b32_e32 v5, 0x33800000, v5
	s_delay_alu instid0(VALU_DEP_3) | instskip(NEXT) | instid1(VALU_DEP_3)
	v_min_u32_e32 v11, 32, v11
	v_xor_b32_e32 v10, 1.0, v10
	s_delay_alu instid0(VALU_DEP_2) | instskip(SKIP_1) | instid1(VALU_DEP_3)
	v_sub_nc_u32_e32 v12, 31, v11
	v_add_lshl_u32 v7, v11, v7, 23
	v_mul_f32_e32 v11, 0x3fc90fda, v10
	s_delay_alu instid0(VALU_DEP_3) | instskip(NEXT) | instid1(VALU_DEP_3)
	v_alignbit_b32 v3, v8, v3, v12
	v_sub_nc_u32_e32 v5, v5, v7
	s_delay_alu instid0(VALU_DEP_3) | instskip(NEXT) | instid1(VALU_DEP_3)
	v_fma_f32 v7, 0x3fc90fda, v10, -v11
	v_lshrrev_b32_e32 v3, 9, v3
	s_delay_alu instid0(VALU_DEP_2) | instskip(NEXT) | instid1(VALU_DEP_2)
	v_fmamk_f32 v7, v10, 0x33a22168, v7
	v_or_b32_e32 v3, v5, v3
	s_delay_alu instid0(VALU_DEP_1) | instskip(NEXT) | instid1(VALU_DEP_1)
	v_fmac_f32_e32 v7, 0x3fc90fda, v3
	v_add_f32_e32 v3, v11, v7
	s_or_saveexec_b32 s0, s5
	v_mul_f32_e64 v8, 0x3f22f983, |v1|
	s_xor_b32 exec_lo, exec_lo, s0
	s_branch .LBB19_29
.LBB19_28:
	s_or_saveexec_b32 s0, s5
	v_mul_f32_e64 v8, 0x3f22f983, |v1|
	s_xor_b32 exec_lo, exec_lo, s0
.LBB19_29:
	s_delay_alu instid0(VALU_DEP_1) | instskip(NEXT) | instid1(VALU_DEP_1)
	v_rndne_f32_e32 v4, v8
	v_fma_f32 v3, 0xbfc90fda, v4, |v1|
	s_delay_alu instid0(VALU_DEP_1) | instskip(NEXT) | instid1(VALU_DEP_1)
	v_fmamk_f32 v3, v4, 0xb3a22168, v3
	v_fmamk_f32 v3, v4, 0xa7c234c4, v3
	v_cvt_i32_f32_e32 v4, v4
; %bb.30:
	s_or_b32 exec_lo, exec_lo, s0
                                        ; implicit-def: $vgpr7
                                        ; implicit-def: $vgpr5
	s_and_saveexec_b32 s0, s4
	s_delay_alu instid0(SALU_CYCLE_1)
	s_xor_b32 s4, exec_lo, s0
	s_cbranch_execz .LBB19_32
; %bb.31:
	s_mov_b32 s0, 0x7fffff
	v_mov_b32_e32 v9, 0
	v_and_or_b32 v16, v2, s0, 0x800000
	s_delay_alu instid0(VALU_DEP_1) | instskip(NEXT) | instid1(VALU_DEP_1)
	v_mad_u64_u32 v[7:8], null, 0xfe5163ab, v16, 0
	v_mad_u64_u32 v[10:11], null, 0x3c439041, v16, v[8:9]
	s_delay_alu instid0(VALU_DEP_1) | instskip(NEXT) | instid1(VALU_DEP_1)
	v_mov_b32_e32 v8, v11
	v_mad_u64_u32 v[11:12], null, 0xdb629599, v16, v[8:9]
	s_delay_alu instid0(VALU_DEP_1) | instskip(NEXT) | instid1(VALU_DEP_1)
	v_mov_b32_e32 v8, v12
	v_mad_u64_u32 v[12:13], null, 0xf534ddc0, v16, v[8:9]
	s_delay_alu instid0(VALU_DEP_1) | instskip(NEXT) | instid1(VALU_DEP_1)
	v_dual_mov_b32 v8, v13 :: v_dual_add_nc_u32 v13, 0xffffff88, v6
	v_mad_u64_u32 v[5:6], null, 0xfc2757d1, v16, v[8:9]
	s_delay_alu instid0(VALU_DEP_2) | instskip(SKIP_1) | instid1(VALU_DEP_3)
	v_cmp_lt_u32_e32 vcc_lo, 63, v13
	v_cndmask_b32_e64 v14, 0, 0xffffffc0, vcc_lo
	v_dual_mov_b32 v8, v6 :: v_dual_cndmask_b32 v7, v11, v7
	s_delay_alu instid0(VALU_DEP_2) | instskip(NEXT) | instid1(VALU_DEP_2)
	v_add_nc_u32_e32 v6, v14, v13
	v_mad_u64_u32 v[13:14], null, 0x4e441529, v16, v[8:9]
	s_delay_alu instid0(VALU_DEP_2) | instskip(NEXT) | instid1(VALU_DEP_2)
	v_cmp_lt_u32_e64 s0, 31, v6
	v_mov_b32_e32 v8, v14
	s_delay_alu instid0(VALU_DEP_2) | instskip(NEXT) | instid1(VALU_DEP_1)
	v_cndmask_b32_e64 v15, 0, 0xffffffe0, s0
	v_add_nc_u32_e32 v6, v15, v6
	s_delay_alu instid0(VALU_DEP_3) | instskip(SKIP_1) | instid1(VALU_DEP_3)
	v_mad_u64_u32 v[14:15], null, 0xa2f9836e, v16, v[8:9]
	v_cndmask_b32_e32 v9, v13, v12, vcc_lo
	v_cmp_lt_u32_e64 s1, 31, v6
	s_delay_alu instid0(VALU_DEP_3) | instskip(NEXT) | instid1(VALU_DEP_2)
	v_cndmask_b32_e32 v14, v14, v5, vcc_lo
	v_cndmask_b32_e64 v8, 0, 0xffffffe0, s1
	v_cndmask_b32_e32 v13, v15, v13, vcc_lo
	s_delay_alu instid0(VALU_DEP_2) | instskip(SKIP_2) | instid1(VALU_DEP_4)
	v_dual_cndmask_b32 v5, v5, v11 :: v_dual_add_nc_u32 v6, v8, v6
	v_cndmask_b32_e32 v8, v12, v10, vcc_lo
	v_cndmask_b32_e64 v10, v14, v9, s0
	v_cndmask_b32_e64 v12, v13, v14, s0
	s_delay_alu instid0(VALU_DEP_4)
	v_cndmask_b32_e64 v9, v9, v5, s0
	v_sub_nc_u32_e32 v13, 32, v6
	v_cndmask_b32_e64 v5, v5, v8, s0
	v_cmp_eq_u32_e64 s2, 0, v6
	v_cndmask_b32_e64 v12, v12, v10, s1
	v_cndmask_b32_e64 v10, v10, v9, s1
	;; [unrolled: 1-line block ×4, first 2 shown]
	s_delay_alu instid0(VALU_DEP_3) | instskip(NEXT) | instid1(VALU_DEP_3)
	v_alignbit_b32 v14, v12, v10, v13
	v_cndmask_b32_e64 v5, v5, v7, s1
	s_delay_alu instid0(VALU_DEP_3) | instskip(NEXT) | instid1(VALU_DEP_3)
	v_alignbit_b32 v15, v10, v9, v13
	v_cndmask_b32_e64 v6, v14, v12, s2
	;; [unrolled: 3-line block ×3, first 2 shown]
	s_delay_alu instid0(VALU_DEP_3) | instskip(NEXT) | instid1(VALU_DEP_3)
	v_bfe_u32 v11, v6, 29, 1
	v_cndmask_b32_e64 v9, v13, v9, s2
	s_delay_alu instid0(VALU_DEP_3) | instskip(NEXT) | instid1(VALU_DEP_3)
	v_alignbit_b32 v8, v6, v10, 30
	v_sub_nc_u32_e32 v12, 0, v11
	s_delay_alu instid0(VALU_DEP_3) | instskip(SKIP_1) | instid1(VALU_DEP_3)
	v_alignbit_b32 v10, v10, v9, 30
	v_alignbit_b32 v5, v9, v5, 30
	v_xor_b32_e32 v7, v8, v12
	v_cmp_ne_u32_e32 vcc_lo, v8, v12
	s_delay_alu instid0(VALU_DEP_4) | instskip(NEXT) | instid1(VALU_DEP_4)
	v_xor_b32_e32 v9, v10, v12
	v_xor_b32_e32 v5, v5, v12
	s_delay_alu instid0(VALU_DEP_4) | instskip(NEXT) | instid1(VALU_DEP_1)
	v_clz_i32_u32_e32 v14, v7
	v_add_nc_u32_e32 v13, 1, v14
	s_delay_alu instid0(VALU_DEP_1) | instskip(NEXT) | instid1(VALU_DEP_1)
	v_cndmask_b32_e32 v8, 33, v13, vcc_lo
	v_sub_nc_u32_e32 v10, 32, v8
	s_delay_alu instid0(VALU_DEP_1) | instskip(SKIP_3) | instid1(VALU_DEP_3)
	v_alignbit_b32 v7, v7, v9, v10
	v_alignbit_b32 v5, v9, v5, v10
	v_lshrrev_b32_e32 v9, 29, v6
	v_lshrrev_b32_e32 v6, 30, v6
	v_alignbit_b32 v10, v7, v5, 9
	s_delay_alu instid0(VALU_DEP_3) | instskip(SKIP_1) | instid1(VALU_DEP_3)
	v_lshlrev_b32_e32 v9, 31, v9
	v_alignbit_b32 v7, v8, v7, 9
	v_clz_i32_u32_e32 v12, v10
	s_delay_alu instid0(VALU_DEP_2) | instskip(SKIP_1) | instid1(VALU_DEP_3)
	v_or_b32_e32 v7, v7, v9
	v_or_b32_e32 v9, 0x33800000, v9
	v_min_u32_e32 v12, 32, v12
	s_delay_alu instid0(VALU_DEP_3) | instskip(NEXT) | instid1(VALU_DEP_2)
	v_xor_b32_e32 v7, 1.0, v7
	v_sub_nc_u32_e32 v13, 31, v12
	v_add_lshl_u32 v8, v12, v8, 23
	s_delay_alu instid0(VALU_DEP_3) | instskip(NEXT) | instid1(VALU_DEP_3)
	v_mul_f32_e32 v12, 0x3fc90fda, v7
	v_alignbit_b32 v5, v10, v5, v13
	s_delay_alu instid0(VALU_DEP_3) | instskip(NEXT) | instid1(VALU_DEP_3)
	v_sub_nc_u32_e32 v8, v9, v8
	v_fma_f32 v9, 0x3fc90fda, v7, -v12
	s_delay_alu instid0(VALU_DEP_3) | instskip(NEXT) | instid1(VALU_DEP_2)
	v_lshrrev_b32_e32 v5, 9, v5
	v_fmamk_f32 v7, v7, 0x33a22168, v9
	s_delay_alu instid0(VALU_DEP_2) | instskip(NEXT) | instid1(VALU_DEP_1)
	v_or_b32_e32 v5, v8, v5
                                        ; implicit-def: $vgpr8
	v_fmac_f32_e32 v7, 0x3fc90fda, v5
	s_delay_alu instid0(VALU_DEP_1)
	v_add_f32_e32 v5, v12, v7
	v_add_nc_u32_e32 v7, v11, v6
	s_and_not1_saveexec_b32 s0, s4
	s_cbranch_execnz .LBB19_33
	s_branch .LBB19_34
.LBB19_32:
	s_and_not1_saveexec_b32 s0, s4
.LBB19_33:
	v_rndne_f32_e32 v6, v8
	s_delay_alu instid0(VALU_DEP_1) | instskip(SKIP_1) | instid1(VALU_DEP_2)
	v_fma_f32 v5, 0xbfc90fda, v6, |v1|
	v_cvt_i32_f32_e32 v7, v6
	v_fmamk_f32 v5, v6, 0xb3a22168, v5
	s_delay_alu instid0(VALU_DEP_1)
	v_fmamk_f32 v5, v6, 0xa7c234c4, v5
.LBB19_34:
	s_or_b32 exec_lo, exec_lo, s0
	v_div_scale_f32 v6, null, v44, v44, 0x40a00000
	v_div_scale_f32 v10, vcc_lo, 0x40a00000, v44, 0x40a00000
	s_mov_b32 s0, 0xb94c1982
	s_delay_alu instid0(VALU_DEP_2) | instskip(SKIP_4) | instid1(VALU_DEP_1)
	v_rcp_f32_e32 v8, v6
	s_mov_b32 s1, 0x37d75334
	v_xor_b32_e32 v2, v2, v1
	s_waitcnt_depctr 0xfff
	v_fma_f32 v9, -v6, v8, 1.0
	v_fmac_f32_e32 v8, v9, v8
	s_delay_alu instid0(VALU_DEP_1) | instskip(NEXT) | instid1(VALU_DEP_1)
	v_mul_f32_e32 v9, v10, v8
	v_fma_f32 v11, -v6, v9, v10
	s_delay_alu instid0(VALU_DEP_1) | instskip(SKIP_1) | instid1(VALU_DEP_2)
	v_fmac_f32_e32 v9, v11, v8
	v_mul_f32_e32 v11, v5, v5
	v_fma_f32 v6, -v6, v9, v10
	s_delay_alu instid0(VALU_DEP_2) | instskip(SKIP_1) | instid1(VALU_DEP_3)
	v_fmaak_f32 v20, s0, v11, 0x3c0881c4
	v_fmaak_f32 v21, s1, v11, 0xbab64f3b
	v_div_fmas_f32 v6, v6, v8, v9
	v_mul_f32_e32 v8, v3, v3
	s_delay_alu instid0(VALU_DEP_4) | instskip(NEXT) | instid1(VALU_DEP_4)
	v_fmaak_f32 v20, v11, v20, 0xbe2aaa9d
	v_fmaak_f32 v21, v11, v21, 0x3d2aabf7
	s_delay_alu instid0(VALU_DEP_4) | instskip(NEXT) | instid1(VALU_DEP_4)
	v_div_fixup_f32 v6, v6, v44, 0x40a00000
	v_fmaak_f32 v18, s0, v8, 0x3c0881c4
	v_fmaak_f32 v19, s1, v8, 0xbab64f3b
	v_cmp_gt_f32_e64 s0, 0xf800000, v44
	v_mul_f32_e32 v20, v11, v20
	v_dual_mul_f32 v10, v6, v6 :: v_dual_and_b32 v9, 1, v4
	v_lshlrev_b32_e32 v4, 30, v4
	v_and_b32_e32 v12, 1, v7
	s_delay_alu instid0(VALU_DEP_3)
	v_dual_fmaak_f32 v16, 0, v10, 0x42947983 :: v_dual_lshlrev_b32 v7, 30, v7
	v_fmaak_f32 v13, 0, v10, 0x3d513fd3
	v_fmaak_f32 v14, 0, v10, 0x3a15c4d9
	;; [unrolled: 1-line block ×6, first 2 shown]
	v_dual_fmaak_f32 v14, v10, v14, 0x3d8cfeeb :: v_dual_fmac_f32 v5, v5, v20
	s_delay_alu instid0(VALU_DEP_4) | instskip(SKIP_1) | instid1(VALU_DEP_4)
	v_dual_fmaak_f32 v15, v10, v15, 0x3d95ca45 :: v_dual_mul_f32 v18, v8, v18
	v_fmaak_f32 v16, v10, v16, 0x44840e5d
	v_fmaak_f32 v13, v10, v13, 0x4297a5cd
	s_delay_alu instid0(VALU_DEP_4) | instskip(NEXT) | instid1(VALU_DEP_4)
	v_fmaak_f32 v14, v10, v14, 0x3f8d754e
	v_fmaak_f32 v15, v10, v15, 0x3f9047f6
	s_delay_alu instid0(VALU_DEP_4) | instskip(NEXT) | instid1(VALU_DEP_4)
	v_dual_fmac_f32 v3, v3, v18 :: v_dual_fmaak_f32 v16, v10, v16, 0x459bd349
	v_fmaak_f32 v13, v10, v13, 0x43b763ca
	v_fmaak_f32 v19, v8, v19, 0xbf000004
	s_delay_alu instid0(VALU_DEP_4)
	v_fmaak_f32 v15, v10, v15, 0x40a39628
	v_fmaak_f32 v14, v10, v14, 0x40a25d18
	;; [unrolled: 1-line block ×9, first 2 shown]
	v_fma_f32 v8, v8, v19, 1.0
	v_fmaak_f32 v15, v10, v15, 0x40a6dd51
	v_fmaak_f32 v14, v10, v14, 0x40a6b6ea
	;; [unrolled: 1-line block ×4, first 2 shown]
	v_fma_f32 v11, v11, v21, 1.0
	v_fma_f32 v15, v10, v15, 1.0
	;; [unrolled: 1-line block ×3, first 2 shown]
	v_fmaak_f32 v16, v10, v16, 0x43a80bfb
	v_fmaak_f32 v10, v10, v13, 0x41c9a7fa
	v_cmp_eq_u32_e64 s2, 0, v9
	v_and_b32_e32 v4, 0x80000000, v4
	v_div_scale_f32 v13, null, v14, v14, v15
	s_delay_alu instid0(VALU_DEP_4) | instskip(SKIP_1) | instid1(VALU_DEP_3)
	v_div_scale_f32 v22, null, v16, v16, v10
	v_div_scale_f32 v28, vcc_lo, v15, v14, v15
	v_rcp_f32_e32 v23, v13
	s_delay_alu instid0(VALU_DEP_2) | instskip(SKIP_3) | instid1(VALU_DEP_3)
	v_rcp_f32_e32 v24, v22
	v_cndmask_b32_e64 v3, v8, v3, s2
	v_cmp_eq_u32_e64 s2, 0, v12
	v_and_b32_e32 v7, 0x80000000, v7
	v_xor3_b32 v2, v2, v4, v3
	s_delay_alu instid0(VALU_DEP_3) | instskip(NEXT) | instid1(TRANS32_DEP_2)
	v_cndmask_b32_e64 v5, -v5, v11, s2
	v_fma_f32 v26, -v13, v23, 1.0
	s_delay_alu instid0(TRANS32_DEP_1) | instskip(NEXT) | instid1(VALU_DEP_3)
	v_fma_f32 v27, -v22, v24, 1.0
	v_xor_b32_e32 v5, v7, v5
	s_delay_alu instid0(VALU_DEP_3) | instskip(SKIP_3) | instid1(VALU_DEP_4)
	v_fmac_f32_e32 v23, v26, v23
	v_mul_f32_e32 v17, 0x4f800000, v44
	v_div_scale_f32 v26, s1, v10, v16, v10
	v_fmac_f32_e32 v24, v27, v24
	v_mul_f32_e32 v18, v28, v23
	s_delay_alu instid0(VALU_DEP_4) | instskip(NEXT) | instid1(VALU_DEP_3)
	v_cndmask_b32_e64 v17, v44, v17, s0
	v_mul_f32_e32 v19, v26, v24
	s_delay_alu instid0(VALU_DEP_3) | instskip(NEXT) | instid1(VALU_DEP_3)
	v_fma_f32 v21, -v13, v18, v28
	v_sqrt_f32_e32 v25, v17
	s_delay_alu instid0(VALU_DEP_2) | instskip(NEXT) | instid1(VALU_DEP_2)
	v_fma_f32 v29, -v22, v19, v26
	v_fmac_f32_e32 v18, v21, v23
	s_delay_alu instid0(VALU_DEP_2) | instskip(NEXT) | instid1(VALU_DEP_2)
	v_fmac_f32_e32 v19, v29, v24
	v_fma_f32 v11, -v13, v18, v28
	s_waitcnt_depctr 0xfff
	v_add_nc_u32_e32 v20, -1, v25
	v_add_nc_u32_e32 v27, 1, v25
	v_fma_f32 v3, -v22, v19, v26
	v_div_fmas_f32 v4, v11, v23, v18
	s_delay_alu instid0(VALU_DEP_4)
	v_fma_f32 v8, -v20, v25, v17
	s_mov_b32 vcc_lo, s1
	v_fma_f32 v9, -v27, v25, v17
	v_div_fmas_f32 v3, v3, v24, v19
	v_div_fixup_f32 v4, v4, v14, v15
	v_cmp_ge_f32_e32 vcc_lo, 0, v8
	s_delay_alu instid0(VALU_DEP_4) | instskip(SKIP_3) | instid1(VALU_DEP_3)
	v_cmp_lt_f32_e64 s1, 0, v9
	v_cndmask_b32_e32 v7, v25, v20, vcc_lo
	v_cmp_class_f32_e64 vcc_lo, v1, 0x1f8
	v_div_fixup_f32 v1, v3, v16, v10
	v_cndmask_b32_e64 v3, v7, v27, s1
	v_cndmask_b32_e32 v5, 0x7fc00000, v5, vcc_lo
	s_delay_alu instid0(VALU_DEP_3) | instskip(SKIP_1) | instid1(VALU_DEP_2)
	v_dual_mul_f32 v1, v6, v1 :: v_dual_cndmask_b32 v2, 0x7fc00000, v2
	v_cmp_class_f32_e64 vcc_lo, v17, 0x260
	v_dual_mul_f32 v6, 0x37800000, v3 :: v_dual_mul_f32 v1, v1, v5
	s_delay_alu instid0(VALU_DEP_1) | instskip(NEXT) | instid1(VALU_DEP_1)
	v_cndmask_b32_e64 v3, v3, v6, s0
	v_dual_fmac_f32 v1, v4, v2 :: v_dual_cndmask_b32 v2, v3, v17
	s_delay_alu instid0(VALU_DEP_1) | instskip(NEXT) | instid1(VALU_DEP_1)
	v_mul_f32_e32 v1, 0x3f4c422a, v1
	v_div_scale_f32 v3, null, v2, v2, v1
	s_delay_alu instid0(VALU_DEP_1) | instskip(SKIP_2) | instid1(VALU_DEP_1)
	v_rcp_f32_e32 v4, v3
	s_waitcnt_depctr 0xfff
	v_fma_f32 v5, -v3, v4, 1.0
	v_fmac_f32_e32 v4, v5, v4
	v_div_scale_f32 v5, vcc_lo, v1, v2, v1
	s_delay_alu instid0(VALU_DEP_1) | instskip(NEXT) | instid1(VALU_DEP_1)
	v_mul_f32_e32 v6, v5, v4
	v_fma_f32 v7, -v3, v6, v5
	s_delay_alu instid0(VALU_DEP_1) | instskip(NEXT) | instid1(VALU_DEP_1)
	v_fmac_f32_e32 v6, v7, v4
	v_fma_f32 v3, -v3, v6, v5
	s_delay_alu instid0(VALU_DEP_1) | instskip(NEXT) | instid1(VALU_DEP_1)
	v_div_fmas_f32 v3, v3, v4, v6
	v_div_fixup_f32 v46, v3, v2, v1
.LBB19_35:
	s_or_b32 exec_lo, exec_lo, s3
                                        ; implicit-def: $vgpr43
	s_delay_alu instid0(SALU_CYCLE_1)
	s_mov_b32 s0, exec_lo
	s_waitcnt vmcnt(0)
	v_cmpx_ge_f32_e32 0x40a00000, v41
	s_xor_b32 s42, exec_lo, s0
	s_cbranch_execz .LBB19_41
; %bb.36:
	v_mov_b32_e32 v43, 0xff800000
	s_mov_b32 s43, exec_lo
	v_cmpx_neq_f32_e32 0, v41
	s_cbranch_execz .LBB19_40
; %bb.37:
	v_mov_b32_e32 v43, 0x7fc00000
	s_mov_b32 s44, exec_lo
	v_cmpx_nge_f32_e32 0, v41
	s_cbranch_execz .LBB19_39
; %bb.38:
	v_mul_f32_e32 v1, v41, v41
	s_getpc_b64 s[0:1]
	s_add_u32 s0, s0, _Z17bessel_j1_forwardIfET_S0_@rel32@lo+4
	s_addc_u32 s1, s1, _Z17bessel_j1_forwardIfET_S0_@rel32@hi+12
	s_mov_b32 s45, s15
	v_dual_mov_b32 v43, v0 :: v_dual_mov_b32 v0, v41
	v_fmaak_f32 v2, 0, v1, 0x4414934d
	v_fmaak_f32 v3, 0, v1, 0x4e9695f3
	s_delay_alu instid0(VALU_DEP_2) | instskip(NEXT) | instid1(VALU_DEP_2)
	v_fmaak_f32 v2, v1, v2, 0x48660b06
	v_fmaak_f32 v3, v1, v3, 0xd316b96b
	s_delay_alu instid0(VALU_DEP_2) | instskip(NEXT) | instid1(VALU_DEP_2)
	;; [unrolled: 3-line block ×5, first 2 shown]
	v_fmaak_f32 v2, v1, v2, 0x580d1937
	v_fmaak_f32 v3, v1, v3, 0xdd2cf20b
	s_delay_alu instid0(VALU_DEP_2) | instskip(NEXT) | instid1(VALU_DEP_1)
	v_fmaak_f32 v2, v1, v2, 0x5b741f1e
	v_fmaak_f32 v1, v1, v2, 0x5e5c878d
	s_delay_alu instid0(VALU_DEP_1) | instskip(SKIP_1) | instid1(VALU_DEP_2)
	v_div_scale_f32 v2, null, v1, v1, v3
	v_div_scale_f32 v6, vcc_lo, v3, v1, v3
	v_rcp_f32_e32 v4, v2
	s_waitcnt_depctr 0xfff
	v_fma_f32 v5, -v2, v4, 1.0
	s_delay_alu instid0(VALU_DEP_1) | instskip(NEXT) | instid1(VALU_DEP_1)
	v_fmac_f32_e32 v4, v5, v4
	v_mul_f32_e32 v5, v6, v4
	s_delay_alu instid0(VALU_DEP_1) | instskip(NEXT) | instid1(VALU_DEP_1)
	v_fma_f32 v7, -v2, v5, v6
	v_fmac_f32_e32 v5, v7, v4
	s_delay_alu instid0(VALU_DEP_1) | instskip(NEXT) | instid1(VALU_DEP_1)
	v_fma_f32 v2, -v2, v5, v6
	v_div_fmas_f32 v2, v2, v4, v5
	s_delay_alu instid0(VALU_DEP_1)
	v_div_fixup_f32 v44, v2, v1, v3
	s_swappc_b64 s[30:31], s[0:1]
	v_cmp_gt_f32_e32 vcc_lo, 0x800000, v41
	v_div_scale_f32 v2, null, v41, v41, -1.0
	v_div_scale_f32 v6, s0, -1.0, v41, -1.0
	v_cndmask_b32_e64 v3, 1.0, 0x4f800000, vcc_lo
	s_delay_alu instid0(VALU_DEP_3) | instskip(SKIP_2) | instid1(VALU_DEP_2)
	v_rcp_f32_e32 v4, v2
	v_dual_mov_b32 v1, v0 :: v_dual_mov_b32 v0, v43
	s_mov_b32 s15, s45
	v_mul_f32_e32 v3, v41, v3
	s_delay_alu instid0(VALU_DEP_1) | instskip(SKIP_2) | instid1(VALU_DEP_1)
	v_log_f32_e32 v3, v3
	s_waitcnt_depctr 0xfff
	v_fma_f32 v5, -v2, v4, 1.0
	v_dual_fmac_f32 v4, v5, v4 :: v_dual_mul_f32 v5, 0x3f317217, v3
	v_cmp_gt_f32_e64 s1, 0x7f800000, |v3|
	s_delay_alu instid0(VALU_DEP_2) | instskip(NEXT) | instid1(VALU_DEP_1)
	v_fma_f32 v8, 0x3f317217, v3, -v5
	v_dual_mul_f32 v7, v6, v4 :: v_dual_fmamk_f32 v8, v3, 0x3377d1cf, v8
	s_delay_alu instid0(VALU_DEP_1) | instskip(NEXT) | instid1(VALU_DEP_2)
	v_fma_f32 v9, -v2, v7, v6
	v_add_f32_e32 v5, v5, v8
	s_delay_alu instid0(VALU_DEP_1) | instskip(SKIP_2) | instid1(VALU_DEP_1)
	v_cndmask_b32_e64 v3, v3, v5, s1
	v_cndmask_b32_e64 v5, 0, 0x41b17218, vcc_lo
	s_mov_b32 vcc_lo, s0
	v_sub_f32_e32 v3, v3, v5
	v_fmac_f32_e32 v7, v9, v4
	s_delay_alu instid0(VALU_DEP_1) | instskip(NEXT) | instid1(VALU_DEP_1)
	v_fma_f32 v2, -v2, v7, v6
	v_div_fmas_f32 v2, v2, v4, v7
	s_delay_alu instid0(VALU_DEP_1) | instskip(NEXT) | instid1(VALU_DEP_1)
	v_div_fixup_f32 v2, v2, v41, -1.0
	v_fmac_f32_e32 v2, v3, v1
	s_delay_alu instid0(VALU_DEP_1) | instskip(NEXT) | instid1(VALU_DEP_1)
	v_mul_f32_e32 v43, 0x3f22f983, v2
	v_fmac_f32_e32 v43, v41, v44
.LBB19_39:
	s_or_b32 exec_lo, exec_lo, s44
.LBB19_40:
	s_delay_alu instid0(SALU_CYCLE_1)
	s_or_b32 exec_lo, exec_lo, s43
.LBB19_41:
	s_and_not1_saveexec_b32 s3, s42
	s_cbranch_execz .LBB19_51
; %bb.42:
	v_add_f32_e32 v1, 0xc016cbe4, v41
                                        ; implicit-def: $vgpr4
                                        ; implicit-def: $vgpr3
	s_delay_alu instid0(VALU_DEP_1) | instskip(SKIP_1) | instid1(VALU_DEP_2)
	v_and_b32_e32 v2, 0x7fffffff, v1
	v_cmp_ngt_f32_e64 s4, 0x48000000, |v1|
	v_lshrrev_b32_e32 v6, 23, v2
	s_delay_alu instid0(VALU_DEP_2) | instskip(NEXT) | instid1(SALU_CYCLE_1)
	s_and_saveexec_b32 s0, s4
	s_xor_b32 s5, exec_lo, s0
	s_cbranch_execz .LBB19_44
; %bb.43:
	s_mov_b32 s0, 0x7fffff
	v_mov_b32_e32 v5, 0
	v_and_or_b32 v14, v2, s0, 0x800000
	v_add_nc_u32_e32 v12, 0xffffff88, v6
	s_delay_alu instid0(VALU_DEP_2) | instskip(NEXT) | instid1(VALU_DEP_2)
	v_mad_u64_u32 v[3:4], null, 0xfe5163ab, v14, 0
	v_cmp_lt_u32_e32 vcc_lo, 63, v12
	v_cndmask_b32_e64 v13, 0, 0xffffffc0, vcc_lo
	s_delay_alu instid0(VALU_DEP_3) | instskip(NEXT) | instid1(VALU_DEP_1)
	v_mad_u64_u32 v[7:8], null, 0x3c439041, v14, v[4:5]
	v_dual_mov_b32 v4, v8 :: v_dual_add_nc_u32 v13, v13, v12
	s_delay_alu instid0(VALU_DEP_1) | instskip(NEXT) | instid1(VALU_DEP_2)
	v_cmp_lt_u32_e64 s0, 31, v13
	v_mad_u64_u32 v[8:9], null, 0xdb629599, v14, v[4:5]
	s_delay_alu instid0(VALU_DEP_2) | instskip(NEXT) | instid1(VALU_DEP_1)
	v_cndmask_b32_e64 v15, 0, 0xffffffe0, s0
	v_dual_mov_b32 v4, v9 :: v_dual_add_nc_u32 v15, v15, v13
	s_delay_alu instid0(VALU_DEP_3) | instskip(NEXT) | instid1(VALU_DEP_2)
	v_cndmask_b32_e32 v3, v8, v3, vcc_lo
	v_cmp_lt_u32_e64 s1, 31, v15
	s_delay_alu instid0(VALU_DEP_3) | instskip(NEXT) | instid1(VALU_DEP_1)
	v_mad_u64_u32 v[9:10], null, 0xf534ddc0, v14, v[4:5]
	v_dual_mov_b32 v4, v10 :: v_dual_cndmask_b32 v7, v9, v7
	s_delay_alu instid0(VALU_DEP_1) | instskip(NEXT) | instid1(VALU_DEP_2)
	v_mad_u64_u32 v[10:11], null, 0xfc2757d1, v14, v[4:5]
	v_cndmask_b32_e64 v3, v7, v3, s0
	s_delay_alu instid0(VALU_DEP_2) | instskip(NEXT) | instid1(VALU_DEP_1)
	v_mov_b32_e32 v4, v11
	v_mad_u64_u32 v[11:12], null, 0x4e441529, v14, v[4:5]
	s_delay_alu instid0(VALU_DEP_1) | instskip(NEXT) | instid1(VALU_DEP_1)
	v_mov_b32_e32 v4, v12
	v_mad_u64_u32 v[12:13], null, 0xa2f9836e, v14, v[4:5]
	v_cndmask_b32_e64 v4, 0, 0xffffffe0, s1
	s_delay_alu instid0(VALU_DEP_1) | instskip(NEXT) | instid1(VALU_DEP_3)
	v_dual_cndmask_b32 v5, v11, v9 :: v_dual_add_nc_u32 v4, v4, v15
	v_dual_cndmask_b32 v12, v12, v10 :: v_dual_cndmask_b32 v11, v13, v11
	v_cndmask_b32_e32 v10, v10, v8, vcc_lo
	s_delay_alu instid0(VALU_DEP_3) | instskip(NEXT) | instid1(VALU_DEP_3)
	v_cmp_eq_u32_e64 s2, 0, v4
	v_cndmask_b32_e64 v9, v12, v5, s0
	s_delay_alu instid0(VALU_DEP_4) | instskip(NEXT) | instid1(VALU_DEP_4)
	v_cndmask_b32_e64 v11, v11, v12, s0
	v_cndmask_b32_e64 v5, v5, v10, s0
	v_sub_nc_u32_e32 v12, 32, v4
	v_cndmask_b32_e64 v10, v10, v7, s0
	s_delay_alu instid0(VALU_DEP_4) | instskip(NEXT) | instid1(VALU_DEP_4)
	v_cndmask_b32_e64 v11, v11, v9, s1
	v_cndmask_b32_e64 v9, v9, v5, s1
	s_delay_alu instid0(VALU_DEP_3) | instskip(SKIP_1) | instid1(VALU_DEP_3)
	v_cndmask_b32_e64 v5, v5, v10, s1
	v_cndmask_b32_e64 v3, v10, v3, s1
	v_alignbit_b32 v13, v11, v9, v12
	s_delay_alu instid0(VALU_DEP_3) | instskip(NEXT) | instid1(VALU_DEP_3)
	v_alignbit_b32 v14, v9, v5, v12
	v_alignbit_b32 v12, v5, v3, v12
	s_delay_alu instid0(VALU_DEP_3) | instskip(NEXT) | instid1(VALU_DEP_3)
	v_cndmask_b32_e64 v4, v13, v11, s2
	v_cndmask_b32_e64 v8, v14, v9, s2
	s_delay_alu instid0(VALU_DEP_3) | instskip(NEXT) | instid1(VALU_DEP_3)
	v_cndmask_b32_e64 v5, v12, v5, s2
	v_bfe_u32 v9, v4, 29, 1
	s_delay_alu instid0(VALU_DEP_3) | instskip(NEXT) | instid1(VALU_DEP_3)
	v_alignbit_b32 v7, v4, v8, 30
	v_alignbit_b32 v8, v8, v5, 30
	;; [unrolled: 1-line block ×3, first 2 shown]
	s_delay_alu instid0(VALU_DEP_4) | instskip(NEXT) | instid1(VALU_DEP_1)
	v_sub_nc_u32_e32 v11, 0, v9
	v_xor_b32_e32 v10, v7, v11
	v_cmp_ne_u32_e32 vcc_lo, v7, v11
	v_xor_b32_e32 v5, v8, v11
	v_xor_b32_e32 v3, v3, v11
	s_delay_alu instid0(VALU_DEP_4) | instskip(NEXT) | instid1(VALU_DEP_1)
	v_clz_i32_u32_e32 v13, v10
	v_add_nc_u32_e32 v12, 1, v13
	s_delay_alu instid0(VALU_DEP_1) | instskip(NEXT) | instid1(VALU_DEP_1)
	v_cndmask_b32_e32 v7, 33, v12, vcc_lo
	v_sub_nc_u32_e32 v8, 32, v7
	s_delay_alu instid0(VALU_DEP_1) | instskip(SKIP_3) | instid1(VALU_DEP_3)
	v_alignbit_b32 v10, v10, v5, v8
	v_alignbit_b32 v3, v5, v3, v8
	v_lshrrev_b32_e32 v5, 29, v4
	v_lshrrev_b32_e32 v4, 30, v4
	v_alignbit_b32 v8, v10, v3, 9
	s_delay_alu instid0(VALU_DEP_3) | instskip(SKIP_1) | instid1(VALU_DEP_4)
	v_lshlrev_b32_e32 v5, 31, v5
	v_alignbit_b32 v10, v7, v10, 9
	v_add_nc_u32_e32 v4, v9, v4
	s_delay_alu instid0(VALU_DEP_4) | instskip(NEXT) | instid1(VALU_DEP_3)
	v_clz_i32_u32_e32 v11, v8
	v_or_b32_e32 v10, v10, v5
	v_or_b32_e32 v5, 0x33800000, v5
	s_delay_alu instid0(VALU_DEP_3) | instskip(NEXT) | instid1(VALU_DEP_3)
	v_min_u32_e32 v11, 32, v11
	v_xor_b32_e32 v10, 1.0, v10
	s_delay_alu instid0(VALU_DEP_2) | instskip(SKIP_1) | instid1(VALU_DEP_3)
	v_sub_nc_u32_e32 v12, 31, v11
	v_add_lshl_u32 v7, v11, v7, 23
	v_mul_f32_e32 v11, 0x3fc90fda, v10
	s_delay_alu instid0(VALU_DEP_3) | instskip(NEXT) | instid1(VALU_DEP_3)
	v_alignbit_b32 v3, v8, v3, v12
	v_sub_nc_u32_e32 v5, v5, v7
	s_delay_alu instid0(VALU_DEP_3) | instskip(NEXT) | instid1(VALU_DEP_3)
	v_fma_f32 v7, 0x3fc90fda, v10, -v11
	v_lshrrev_b32_e32 v3, 9, v3
	s_delay_alu instid0(VALU_DEP_2) | instskip(NEXT) | instid1(VALU_DEP_2)
	v_fmamk_f32 v7, v10, 0x33a22168, v7
	v_or_b32_e32 v3, v5, v3
	s_delay_alu instid0(VALU_DEP_1) | instskip(NEXT) | instid1(VALU_DEP_1)
	v_fmac_f32_e32 v7, 0x3fc90fda, v3
	v_add_f32_e32 v3, v11, v7
	s_or_saveexec_b32 s0, s5
	v_mul_f32_e64 v8, 0x3f22f983, |v1|
	s_xor_b32 exec_lo, exec_lo, s0
	s_branch .LBB19_45
.LBB19_44:
	s_or_saveexec_b32 s0, s5
	v_mul_f32_e64 v8, 0x3f22f983, |v1|
	s_xor_b32 exec_lo, exec_lo, s0
.LBB19_45:
	s_delay_alu instid0(VALU_DEP_1) | instskip(NEXT) | instid1(VALU_DEP_1)
	v_rndne_f32_e32 v4, v8
	v_fma_f32 v3, 0xbfc90fda, v4, |v1|
	s_delay_alu instid0(VALU_DEP_1) | instskip(NEXT) | instid1(VALU_DEP_1)
	v_fmamk_f32 v3, v4, 0xb3a22168, v3
	v_fmamk_f32 v3, v4, 0xa7c234c4, v3
	v_cvt_i32_f32_e32 v4, v4
; %bb.46:
	s_or_b32 exec_lo, exec_lo, s0
                                        ; implicit-def: $vgpr7
                                        ; implicit-def: $vgpr5
	s_and_saveexec_b32 s0, s4
	s_delay_alu instid0(SALU_CYCLE_1)
	s_xor_b32 s4, exec_lo, s0
	s_cbranch_execz .LBB19_48
; %bb.47:
	s_mov_b32 s0, 0x7fffff
	v_mov_b32_e32 v9, 0
	v_and_or_b32 v16, v2, s0, 0x800000
	s_delay_alu instid0(VALU_DEP_1) | instskip(NEXT) | instid1(VALU_DEP_1)
	v_mad_u64_u32 v[7:8], null, 0xfe5163ab, v16, 0
	v_mad_u64_u32 v[10:11], null, 0x3c439041, v16, v[8:9]
	s_delay_alu instid0(VALU_DEP_1) | instskip(NEXT) | instid1(VALU_DEP_1)
	v_mov_b32_e32 v8, v11
	v_mad_u64_u32 v[11:12], null, 0xdb629599, v16, v[8:9]
	s_delay_alu instid0(VALU_DEP_1) | instskip(NEXT) | instid1(VALU_DEP_1)
	v_mov_b32_e32 v8, v12
	v_mad_u64_u32 v[12:13], null, 0xf534ddc0, v16, v[8:9]
	s_delay_alu instid0(VALU_DEP_1) | instskip(NEXT) | instid1(VALU_DEP_1)
	v_dual_mov_b32 v8, v13 :: v_dual_add_nc_u32 v13, 0xffffff88, v6
	v_mad_u64_u32 v[5:6], null, 0xfc2757d1, v16, v[8:9]
	s_delay_alu instid0(VALU_DEP_2) | instskip(SKIP_1) | instid1(VALU_DEP_3)
	v_cmp_lt_u32_e32 vcc_lo, 63, v13
	v_cndmask_b32_e64 v14, 0, 0xffffffc0, vcc_lo
	v_dual_mov_b32 v8, v6 :: v_dual_cndmask_b32 v7, v11, v7
	s_delay_alu instid0(VALU_DEP_2) | instskip(NEXT) | instid1(VALU_DEP_2)
	v_add_nc_u32_e32 v6, v14, v13
	v_mad_u64_u32 v[13:14], null, 0x4e441529, v16, v[8:9]
	s_delay_alu instid0(VALU_DEP_2) | instskip(NEXT) | instid1(VALU_DEP_2)
	v_cmp_lt_u32_e64 s0, 31, v6
	v_mov_b32_e32 v8, v14
	s_delay_alu instid0(VALU_DEP_2) | instskip(NEXT) | instid1(VALU_DEP_1)
	v_cndmask_b32_e64 v15, 0, 0xffffffe0, s0
	v_add_nc_u32_e32 v6, v15, v6
	s_delay_alu instid0(VALU_DEP_3) | instskip(SKIP_1) | instid1(VALU_DEP_3)
	v_mad_u64_u32 v[14:15], null, 0xa2f9836e, v16, v[8:9]
	v_cndmask_b32_e32 v9, v13, v12, vcc_lo
	v_cmp_lt_u32_e64 s1, 31, v6
	s_delay_alu instid0(VALU_DEP_3) | instskip(NEXT) | instid1(VALU_DEP_2)
	v_cndmask_b32_e32 v14, v14, v5, vcc_lo
	v_cndmask_b32_e64 v8, 0, 0xffffffe0, s1
	v_cndmask_b32_e32 v13, v15, v13, vcc_lo
	s_delay_alu instid0(VALU_DEP_2) | instskip(SKIP_2) | instid1(VALU_DEP_4)
	v_dual_cndmask_b32 v5, v5, v11 :: v_dual_add_nc_u32 v6, v8, v6
	v_cndmask_b32_e32 v8, v12, v10, vcc_lo
	v_cndmask_b32_e64 v10, v14, v9, s0
	v_cndmask_b32_e64 v12, v13, v14, s0
	s_delay_alu instid0(VALU_DEP_4)
	v_cndmask_b32_e64 v9, v9, v5, s0
	v_sub_nc_u32_e32 v13, 32, v6
	v_cndmask_b32_e64 v5, v5, v8, s0
	v_cmp_eq_u32_e64 s2, 0, v6
	v_cndmask_b32_e64 v12, v12, v10, s1
	v_cndmask_b32_e64 v10, v10, v9, s1
	;; [unrolled: 1-line block ×4, first 2 shown]
	s_delay_alu instid0(VALU_DEP_3) | instskip(NEXT) | instid1(VALU_DEP_3)
	v_alignbit_b32 v14, v12, v10, v13
	v_cndmask_b32_e64 v5, v5, v7, s1
	s_delay_alu instid0(VALU_DEP_3) | instskip(NEXT) | instid1(VALU_DEP_3)
	v_alignbit_b32 v15, v10, v9, v13
	v_cndmask_b32_e64 v6, v14, v12, s2
	;; [unrolled: 3-line block ×3, first 2 shown]
	s_delay_alu instid0(VALU_DEP_3) | instskip(NEXT) | instid1(VALU_DEP_3)
	v_bfe_u32 v11, v6, 29, 1
	v_cndmask_b32_e64 v9, v13, v9, s2
	s_delay_alu instid0(VALU_DEP_3) | instskip(NEXT) | instid1(VALU_DEP_3)
	v_alignbit_b32 v8, v6, v10, 30
	v_sub_nc_u32_e32 v12, 0, v11
	s_delay_alu instid0(VALU_DEP_3) | instskip(SKIP_1) | instid1(VALU_DEP_3)
	v_alignbit_b32 v10, v10, v9, 30
	v_alignbit_b32 v5, v9, v5, 30
	v_xor_b32_e32 v7, v8, v12
	v_cmp_ne_u32_e32 vcc_lo, v8, v12
	s_delay_alu instid0(VALU_DEP_4) | instskip(NEXT) | instid1(VALU_DEP_4)
	v_xor_b32_e32 v9, v10, v12
	v_xor_b32_e32 v5, v5, v12
	s_delay_alu instid0(VALU_DEP_4) | instskip(NEXT) | instid1(VALU_DEP_1)
	v_clz_i32_u32_e32 v14, v7
	v_add_nc_u32_e32 v13, 1, v14
	s_delay_alu instid0(VALU_DEP_1) | instskip(NEXT) | instid1(VALU_DEP_1)
	v_cndmask_b32_e32 v8, 33, v13, vcc_lo
	v_sub_nc_u32_e32 v10, 32, v8
	s_delay_alu instid0(VALU_DEP_1) | instskip(SKIP_3) | instid1(VALU_DEP_3)
	v_alignbit_b32 v7, v7, v9, v10
	v_alignbit_b32 v5, v9, v5, v10
	v_lshrrev_b32_e32 v9, 29, v6
	v_lshrrev_b32_e32 v6, 30, v6
	v_alignbit_b32 v10, v7, v5, 9
	s_delay_alu instid0(VALU_DEP_3) | instskip(SKIP_1) | instid1(VALU_DEP_3)
	v_lshlrev_b32_e32 v9, 31, v9
	v_alignbit_b32 v7, v8, v7, 9
	v_clz_i32_u32_e32 v12, v10
	s_delay_alu instid0(VALU_DEP_2) | instskip(SKIP_1) | instid1(VALU_DEP_3)
	v_or_b32_e32 v7, v7, v9
	v_or_b32_e32 v9, 0x33800000, v9
	v_min_u32_e32 v12, 32, v12
	s_delay_alu instid0(VALU_DEP_3) | instskip(NEXT) | instid1(VALU_DEP_2)
	v_xor_b32_e32 v7, 1.0, v7
	v_sub_nc_u32_e32 v13, 31, v12
	v_add_lshl_u32 v8, v12, v8, 23
	s_delay_alu instid0(VALU_DEP_3) | instskip(NEXT) | instid1(VALU_DEP_3)
	v_mul_f32_e32 v12, 0x3fc90fda, v7
	v_alignbit_b32 v5, v10, v5, v13
	s_delay_alu instid0(VALU_DEP_3) | instskip(NEXT) | instid1(VALU_DEP_3)
	v_sub_nc_u32_e32 v8, v9, v8
	v_fma_f32 v9, 0x3fc90fda, v7, -v12
	s_delay_alu instid0(VALU_DEP_3) | instskip(NEXT) | instid1(VALU_DEP_2)
	v_lshrrev_b32_e32 v5, 9, v5
	v_fmamk_f32 v7, v7, 0x33a22168, v9
	s_delay_alu instid0(VALU_DEP_2) | instskip(NEXT) | instid1(VALU_DEP_1)
	v_or_b32_e32 v5, v8, v5
                                        ; implicit-def: $vgpr8
	v_fmac_f32_e32 v7, 0x3fc90fda, v5
	s_delay_alu instid0(VALU_DEP_1)
	v_add_f32_e32 v5, v12, v7
	v_add_nc_u32_e32 v7, v11, v6
	s_and_not1_saveexec_b32 s0, s4
	s_cbranch_execnz .LBB19_49
	s_branch .LBB19_50
.LBB19_48:
	s_and_not1_saveexec_b32 s0, s4
.LBB19_49:
	v_rndne_f32_e32 v6, v8
	s_delay_alu instid0(VALU_DEP_1) | instskip(SKIP_1) | instid1(VALU_DEP_2)
	v_fma_f32 v5, 0xbfc90fda, v6, |v1|
	v_cvt_i32_f32_e32 v7, v6
	v_fmamk_f32 v5, v6, 0xb3a22168, v5
	s_delay_alu instid0(VALU_DEP_1)
	v_fmamk_f32 v5, v6, 0xa7c234c4, v5
.LBB19_50:
	s_or_b32 exec_lo, exec_lo, s0
	v_div_scale_f32 v6, null, v41, v41, 0x40a00000
	v_div_scale_f32 v10, vcc_lo, 0x40a00000, v41, 0x40a00000
	s_mov_b32 s0, 0xb94c1982
	s_delay_alu instid0(VALU_DEP_2) | instskip(SKIP_4) | instid1(VALU_DEP_1)
	v_rcp_f32_e32 v8, v6
	s_mov_b32 s1, 0x37d75334
	v_xor_b32_e32 v2, v2, v1
	s_waitcnt_depctr 0xfff
	v_fma_f32 v9, -v6, v8, 1.0
	v_fmac_f32_e32 v8, v9, v8
	s_delay_alu instid0(VALU_DEP_1) | instskip(NEXT) | instid1(VALU_DEP_1)
	v_mul_f32_e32 v9, v10, v8
	v_fma_f32 v11, -v6, v9, v10
	s_delay_alu instid0(VALU_DEP_1) | instskip(SKIP_1) | instid1(VALU_DEP_2)
	v_fmac_f32_e32 v9, v11, v8
	v_mul_f32_e32 v11, v5, v5
	v_fma_f32 v6, -v6, v9, v10
	s_delay_alu instid0(VALU_DEP_2) | instskip(SKIP_1) | instid1(VALU_DEP_3)
	v_fmaak_f32 v20, s0, v11, 0x3c0881c4
	v_fmaak_f32 v21, s1, v11, 0xbab64f3b
	v_div_fmas_f32 v6, v6, v8, v9
	v_mul_f32_e32 v8, v3, v3
	s_delay_alu instid0(VALU_DEP_4)
	v_fmaak_f32 v20, v11, v20, 0xbe2aaa9d
	v_mul_f32_e32 v17, 0x4f800000, v41
	v_fmaak_f32 v21, v11, v21, 0x3d2aabf7
	v_div_fixup_f32 v6, v6, v41, 0x40a00000
	v_fmaak_f32 v18, s0, v8, 0x3c0881c4
	v_cmp_gt_f32_e64 s0, 0xf800000, v41
	v_fmaak_f32 v19, s1, v8, 0xbab64f3b
	v_mul_f32_e32 v20, v11, v20
	v_dual_mul_f32 v10, v6, v6 :: v_dual_and_b32 v9, 1, v4
	v_lshlrev_b32_e32 v4, 30, v4
	v_and_b32_e32 v12, 1, v7
	v_cndmask_b32_e64 v17, v41, v17, s0
	s_delay_alu instid0(VALU_DEP_4) | instskip(SKIP_3) | instid1(VALU_DEP_4)
	v_fmaak_f32 v15, 0, v10, 0x3a47c962
	v_fmaak_f32 v14, 0, v10, 0x3a15c4d9
	;; [unrolled: 1-line block ×3, first 2 shown]
	v_dual_fmaak_f32 v16, 0, v10, 0x42947983 :: v_dual_lshlrev_b32 v7, 30, v7
	v_fmaak_f32 v15, v10, v15, 0x3d95ca45
	s_delay_alu instid0(VALU_DEP_4) | instskip(SKIP_2) | instid1(VALU_DEP_3)
	v_dual_fmaak_f32 v14, v10, v14, 0x3d8cfeeb :: v_dual_fmac_f32 v5, v5, v20
	v_sqrt_f32_e32 v25, v17
	v_fmaak_f32 v18, v8, v18, 0xbe2aaa9d
	v_fmaak_f32 v15, v10, v15, 0x3f9047f6
	s_delay_alu instid0(VALU_DEP_3)
	v_fmaak_f32 v14, v10, v14, 0x3f8d754e
	v_fmaak_f32 v13, v10, v13, 0x409f6dae
	;; [unrolled: 1-line block ×3, first 2 shown]
	v_mul_f32_e32 v18, v8, v18
	v_fmaak_f32 v16, v10, v16, 0x44840e5d
	v_fmaak_f32 v21, v11, v21, 0xbf000004
	v_cmp_eq_u32_e64 s2, 0, v9
	v_fmaak_f32 v19, v8, v19, 0xbf000004
	v_fmac_f32_e32 v3, v3, v18
	v_fmaak_f32 v14, v10, v14, 0x40a25d18
	v_fmaak_f32 v16, v10, v16, 0x459bd349
	v_fma_f32 v11, v11, v21, 1.0
	v_fma_f32 v8, v8, v19, 1.0
	v_and_b32_e32 v4, 0x80000000, v4
	v_dual_fmaak_f32 v15, v10, v15, 0x40a39628 :: v_dual_add_nc_u32 v20, -1, v25
	v_fmaak_f32 v14, v10, v14, 0x410665cf
	v_fmaak_f32 v16, v10, v16, 0x46156947
	v_cndmask_b32_e64 v3, v8, v3, s2
	v_cmp_eq_u32_e64 s2, 0, v12
	v_fmaak_f32 v15, v10, v15, 0x4106c8e4
	v_fmaak_f32 v14, v10, v14, 0x40a6b6ea
	v_fmaak_f32 v16, v10, v16, 0x45f9e855
	v_fma_f32 v8, -v20, v25, v17
	v_cndmask_b32_e64 v5, -v5, v11, s2
	v_fmaak_f32 v15, v10, v15, 0x40a6dd51
	v_fma_f32 v14, v10, v14, 1.0
	v_fmaak_f32 v16, v10, v16, 0x4530a316
	v_xor3_b32 v2, v2, v4, v3
	v_and_b32_e32 v7, 0x80000000, v7
	v_fma_f32 v15, v10, v15, 1.0
	s_delay_alu instid0(VALU_DEP_4) | instskip(NEXT) | instid1(VALU_DEP_3)
	v_fmaak_f32 v16, v10, v16, 0x43a80bfb
	v_xor_b32_e32 v5, v7, v5
	s_delay_alu instid0(VALU_DEP_3) | instskip(SKIP_1) | instid1(VALU_DEP_1)
	v_div_scale_f32 v28, vcc_lo, v15, v14, v15
	v_fmaak_f32 v13, v10, v13, 0x4297a5cd
	v_fmaak_f32 v13, v10, v13, 0x43b763ca
	s_delay_alu instid0(VALU_DEP_1) | instskip(NEXT) | instid1(VALU_DEP_1)
	v_fmaak_f32 v13, v10, v13, 0x4431b6ce
	v_fmaak_f32 v13, v10, v13, 0x44155f56
	s_delay_alu instid0(VALU_DEP_1) | instskip(NEXT) | instid1(VALU_DEP_1)
	v_fmaak_f32 v13, v10, v13, 0x4353b052
	v_fmaak_f32 v10, v10, v13, 0x41c9a7fa
	v_div_scale_f32 v13, null, v14, v14, v15
	s_delay_alu instid0(VALU_DEP_2) | instskip(NEXT) | instid1(VALU_DEP_2)
	v_div_scale_f32 v22, null, v16, v16, v10
	v_rcp_f32_e32 v23, v13
	s_delay_alu instid0(VALU_DEP_1) | instskip(SKIP_3) | instid1(VALU_DEP_2)
	v_rcp_f32_e32 v24, v22
	s_waitcnt_depctr 0xfff
	v_fma_f32 v26, -v13, v23, 1.0
	v_fma_f32 v27, -v22, v24, 1.0
	v_fmac_f32_e32 v23, v26, v23
	v_div_scale_f32 v26, s1, v10, v16, v10
	s_delay_alu instid0(VALU_DEP_3) | instskip(NEXT) | instid1(VALU_DEP_1)
	v_dual_fmac_f32 v24, v27, v24 :: v_dual_add_nc_u32 v27, 1, v25
	v_dual_mul_f32 v18, v28, v23 :: v_dual_mul_f32 v19, v26, v24
	s_delay_alu instid0(VALU_DEP_2) | instskip(NEXT) | instid1(VALU_DEP_2)
	v_fma_f32 v9, -v27, v25, v17
	v_fma_f32 v21, -v13, v18, v28
	s_delay_alu instid0(VALU_DEP_3) | instskip(NEXT) | instid1(VALU_DEP_2)
	v_fma_f32 v29, -v22, v19, v26
	v_fmac_f32_e32 v18, v21, v23
	s_delay_alu instid0(VALU_DEP_2) | instskip(NEXT) | instid1(VALU_DEP_2)
	v_fmac_f32_e32 v19, v29, v24
	v_fma_f32 v11, -v13, v18, v28
	s_delay_alu instid0(VALU_DEP_2) | instskip(NEXT) | instid1(VALU_DEP_2)
	v_fma_f32 v3, -v22, v19, v26
	v_div_fmas_f32 v4, v11, v23, v18
	s_mov_b32 vcc_lo, s1
	v_cmp_lt_f32_e64 s1, 0, v9
	s_delay_alu instid0(VALU_DEP_3)
	v_div_fmas_f32 v3, v3, v24, v19
	v_cmp_ge_f32_e32 vcc_lo, 0, v8
	v_div_fixup_f32 v4, v4, v14, v15
	v_cndmask_b32_e32 v7, v25, v20, vcc_lo
	v_cmp_class_f32_e64 vcc_lo, v1, 0x1f8
	v_div_fixup_f32 v1, v3, v16, v10
	s_delay_alu instid0(VALU_DEP_3) | instskip(SKIP_1) | instid1(VALU_DEP_3)
	v_cndmask_b32_e64 v3, v7, v27, s1
	v_cndmask_b32_e32 v5, 0x7fc00000, v5, vcc_lo
	v_dual_mul_f32 v1, v6, v1 :: v_dual_cndmask_b32 v2, 0x7fc00000, v2
	v_cmp_class_f32_e64 vcc_lo, v17, 0x260
	s_delay_alu instid0(VALU_DEP_2) | instskip(NEXT) | instid1(VALU_DEP_1)
	v_dual_mul_f32 v6, 0x37800000, v3 :: v_dual_mul_f32 v1, v1, v5
	v_cndmask_b32_e64 v3, v3, v6, s0
	s_delay_alu instid0(VALU_DEP_1) | instskip(NEXT) | instid1(VALU_DEP_1)
	v_dual_fmac_f32 v1, v4, v2 :: v_dual_cndmask_b32 v2, v3, v17
	v_mul_f32_e32 v1, 0x3f4c422a, v1
	s_delay_alu instid0(VALU_DEP_1) | instskip(NEXT) | instid1(VALU_DEP_1)
	v_div_scale_f32 v3, null, v2, v2, v1
	v_rcp_f32_e32 v4, v3
	s_waitcnt_depctr 0xfff
	v_fma_f32 v5, -v3, v4, 1.0
	s_delay_alu instid0(VALU_DEP_1) | instskip(SKIP_1) | instid1(VALU_DEP_1)
	v_fmac_f32_e32 v4, v5, v4
	v_div_scale_f32 v5, vcc_lo, v1, v2, v1
	v_mul_f32_e32 v6, v5, v4
	s_delay_alu instid0(VALU_DEP_1) | instskip(NEXT) | instid1(VALU_DEP_1)
	v_fma_f32 v7, -v3, v6, v5
	v_fmac_f32_e32 v6, v7, v4
	s_delay_alu instid0(VALU_DEP_1) | instskip(NEXT) | instid1(VALU_DEP_1)
	v_fma_f32 v3, -v3, v6, v5
	v_div_fmas_f32 v3, v3, v4, v6
	s_delay_alu instid0(VALU_DEP_1)
	v_div_fixup_f32 v43, v3, v2, v1
.LBB19_51:
	s_or_b32 exec_lo, exec_lo, s3
	s_delay_alu instid0(SALU_CYCLE_1)
	s_mov_b32 s0, exec_lo
	v_cmpx_ge_f32_e32 0x40a00000, v42
	s_xor_b32 s42, exec_lo, s0
	s_cbranch_execz .LBB19_57
; %bb.52:
	v_mov_b32_e32 v44, 0xff800000
	s_mov_b32 s43, exec_lo
	v_cmpx_neq_f32_e32 0, v42
	s_cbranch_execz .LBB19_56
; %bb.53:
	v_mov_b32_e32 v44, 0x7fc00000
	s_mov_b32 s44, exec_lo
	v_cmpx_nge_f32_e32 0, v42
	s_cbranch_execz .LBB19_55
; %bb.54:
	v_mul_f32_e32 v1, v42, v42
	s_getpc_b64 s[0:1]
	s_add_u32 s0, s0, _Z17bessel_j1_forwardIfET_S0_@rel32@lo+4
	s_addc_u32 s1, s1, _Z17bessel_j1_forwardIfET_S0_@rel32@hi+12
	s_mov_b32 s45, s15
	v_dual_mov_b32 v41, v0 :: v_dual_mov_b32 v0, v42
	v_fmaak_f32 v2, 0, v1, 0x4414934d
	v_fmaak_f32 v3, 0, v1, 0x4e9695f3
	s_delay_alu instid0(VALU_DEP_2) | instskip(NEXT) | instid1(VALU_DEP_2)
	v_fmaak_f32 v2, v1, v2, 0x48660b06
	v_fmaak_f32 v3, v1, v3, 0xd316b96b
	s_delay_alu instid0(VALU_DEP_2) | instskip(NEXT) | instid1(VALU_DEP_2)
	;; [unrolled: 3-line block ×5, first 2 shown]
	v_fmaak_f32 v2, v1, v2, 0x580d1937
	v_fmaak_f32 v3, v1, v3, 0xdd2cf20b
	s_delay_alu instid0(VALU_DEP_2) | instskip(NEXT) | instid1(VALU_DEP_1)
	v_fmaak_f32 v2, v1, v2, 0x5b741f1e
	v_fmaak_f32 v1, v1, v2, 0x5e5c878d
	s_delay_alu instid0(VALU_DEP_1) | instskip(SKIP_1) | instid1(VALU_DEP_2)
	v_div_scale_f32 v2, null, v1, v1, v3
	v_div_scale_f32 v6, vcc_lo, v3, v1, v3
	v_rcp_f32_e32 v4, v2
	s_waitcnt_depctr 0xfff
	v_fma_f32 v5, -v2, v4, 1.0
	s_delay_alu instid0(VALU_DEP_1) | instskip(NEXT) | instid1(VALU_DEP_1)
	v_fmac_f32_e32 v4, v5, v4
	v_mul_f32_e32 v5, v6, v4
	s_delay_alu instid0(VALU_DEP_1) | instskip(NEXT) | instid1(VALU_DEP_1)
	v_fma_f32 v7, -v2, v5, v6
	v_fmac_f32_e32 v5, v7, v4
	s_delay_alu instid0(VALU_DEP_1) | instskip(NEXT) | instid1(VALU_DEP_1)
	v_fma_f32 v2, -v2, v5, v6
	v_div_fmas_f32 v2, v2, v4, v5
	s_delay_alu instid0(VALU_DEP_1) | instskip(SKIP_4) | instid1(VALU_DEP_3)
	v_div_fixup_f32 v56, v2, v1, v3
	s_swappc_b64 s[30:31], s[0:1]
	v_div_scale_f32 v2, null, v42, v42, -1.0
	v_cmp_gt_f32_e32 vcc_lo, 0x800000, v42
	v_dual_mov_b32 v1, v0 :: v_dual_mov_b32 v0, v41
	v_rcp_f32_e32 v4, v2
	v_div_scale_f32 v6, s0, -1.0, v42, -1.0
	v_cndmask_b32_e64 v3, 1.0, 0x4f800000, vcc_lo
	s_mov_b32 s15, s45
	s_waitcnt_depctr 0xfff
	v_fma_f32 v5, -v2, v4, 1.0
	s_delay_alu instid0(VALU_DEP_1) | instskip(NEXT) | instid1(VALU_DEP_1)
	v_dual_mul_f32 v3, v42, v3 :: v_dual_fmac_f32 v4, v5, v4
	v_log_f32_e32 v3, v3
	s_waitcnt_depctr 0xfff
	v_mul_f32_e32 v5, 0x3f317217, v3
	v_cmp_gt_f32_e64 s1, 0x7f800000, |v3|
	s_delay_alu instid0(VALU_DEP_2) | instskip(NEXT) | instid1(VALU_DEP_1)
	v_fma_f32 v8, 0x3f317217, v3, -v5
	v_dual_mul_f32 v7, v6, v4 :: v_dual_fmamk_f32 v8, v3, 0x3377d1cf, v8
	s_delay_alu instid0(VALU_DEP_1) | instskip(NEXT) | instid1(VALU_DEP_2)
	v_fma_f32 v9, -v2, v7, v6
	v_add_f32_e32 v5, v5, v8
	s_delay_alu instid0(VALU_DEP_2) | instskip(NEXT) | instid1(VALU_DEP_2)
	v_fmac_f32_e32 v7, v9, v4
	v_cndmask_b32_e64 v3, v3, v5, s1
	s_delay_alu instid0(VALU_DEP_2) | instskip(SKIP_2) | instid1(VALU_DEP_2)
	v_fma_f32 v2, -v2, v7, v6
	v_cndmask_b32_e64 v5, 0, 0x41b17218, vcc_lo
	s_mov_b32 vcc_lo, s0
	v_div_fmas_f32 v2, v2, v4, v7
	s_delay_alu instid0(VALU_DEP_2) | instskip(NEXT) | instid1(VALU_DEP_2)
	v_sub_f32_e32 v3, v3, v5
	v_div_fixup_f32 v2, v2, v42, -1.0
	s_delay_alu instid0(VALU_DEP_1) | instskip(NEXT) | instid1(VALU_DEP_1)
	v_fmac_f32_e32 v2, v3, v1
	v_mul_f32_e32 v44, 0x3f22f983, v2
	s_delay_alu instid0(VALU_DEP_1)
	v_fmac_f32_e32 v44, v42, v56
.LBB19_55:
	s_or_b32 exec_lo, exec_lo, s44
.LBB19_56:
	s_delay_alu instid0(SALU_CYCLE_1)
	s_or_b32 exec_lo, exec_lo, s43
                                        ; implicit-def: $vgpr41_vgpr42
.LBB19_57:
	s_and_not1_saveexec_b32 s3, s42
	s_cbranch_execz .LBB19_67
; %bb.58:
	v_add_f32_e32 v1, 0xc016cbe4, v42
                                        ; implicit-def: $vgpr4
                                        ; implicit-def: $vgpr3
	s_delay_alu instid0(VALU_DEP_1) | instskip(SKIP_1) | instid1(VALU_DEP_2)
	v_and_b32_e32 v2, 0x7fffffff, v1
	v_cmp_ngt_f32_e64 s4, 0x48000000, |v1|
	v_lshrrev_b32_e32 v6, 23, v2
	s_delay_alu instid0(VALU_DEP_2) | instskip(NEXT) | instid1(SALU_CYCLE_1)
	s_and_saveexec_b32 s0, s4
	s_xor_b32 s5, exec_lo, s0
	s_cbranch_execz .LBB19_60
; %bb.59:
	s_mov_b32 s0, 0x7fffff
	v_mov_b32_e32 v5, 0
	v_and_or_b32 v14, v2, s0, 0x800000
	v_add_nc_u32_e32 v12, 0xffffff88, v6
	s_delay_alu instid0(VALU_DEP_2) | instskip(NEXT) | instid1(VALU_DEP_2)
	v_mad_u64_u32 v[3:4], null, 0xfe5163ab, v14, 0
	v_cmp_lt_u32_e32 vcc_lo, 63, v12
	v_cndmask_b32_e64 v13, 0, 0xffffffc0, vcc_lo
	s_delay_alu instid0(VALU_DEP_3) | instskip(NEXT) | instid1(VALU_DEP_1)
	v_mad_u64_u32 v[7:8], null, 0x3c439041, v14, v[4:5]
	v_dual_mov_b32 v4, v8 :: v_dual_add_nc_u32 v13, v13, v12
	s_delay_alu instid0(VALU_DEP_1) | instskip(NEXT) | instid1(VALU_DEP_2)
	v_cmp_lt_u32_e64 s0, 31, v13
	v_mad_u64_u32 v[8:9], null, 0xdb629599, v14, v[4:5]
	s_delay_alu instid0(VALU_DEP_2) | instskip(NEXT) | instid1(VALU_DEP_1)
	v_cndmask_b32_e64 v15, 0, 0xffffffe0, s0
	v_dual_mov_b32 v4, v9 :: v_dual_add_nc_u32 v15, v15, v13
	s_delay_alu instid0(VALU_DEP_3) | instskip(NEXT) | instid1(VALU_DEP_2)
	v_cndmask_b32_e32 v3, v8, v3, vcc_lo
	v_cmp_lt_u32_e64 s1, 31, v15
	s_delay_alu instid0(VALU_DEP_3) | instskip(NEXT) | instid1(VALU_DEP_1)
	v_mad_u64_u32 v[9:10], null, 0xf534ddc0, v14, v[4:5]
	v_dual_mov_b32 v4, v10 :: v_dual_cndmask_b32 v7, v9, v7
	s_delay_alu instid0(VALU_DEP_1) | instskip(NEXT) | instid1(VALU_DEP_2)
	v_mad_u64_u32 v[10:11], null, 0xfc2757d1, v14, v[4:5]
	v_cndmask_b32_e64 v3, v7, v3, s0
	s_delay_alu instid0(VALU_DEP_2) | instskip(NEXT) | instid1(VALU_DEP_1)
	v_mov_b32_e32 v4, v11
	v_mad_u64_u32 v[11:12], null, 0x4e441529, v14, v[4:5]
	s_delay_alu instid0(VALU_DEP_1) | instskip(NEXT) | instid1(VALU_DEP_1)
	v_mov_b32_e32 v4, v12
	v_mad_u64_u32 v[12:13], null, 0xa2f9836e, v14, v[4:5]
	v_cndmask_b32_e64 v4, 0, 0xffffffe0, s1
	s_delay_alu instid0(VALU_DEP_1) | instskip(NEXT) | instid1(VALU_DEP_3)
	v_dual_cndmask_b32 v5, v11, v9 :: v_dual_add_nc_u32 v4, v4, v15
	v_dual_cndmask_b32 v12, v12, v10 :: v_dual_cndmask_b32 v11, v13, v11
	v_cndmask_b32_e32 v10, v10, v8, vcc_lo
	s_delay_alu instid0(VALU_DEP_3) | instskip(NEXT) | instid1(VALU_DEP_3)
	v_cmp_eq_u32_e64 s2, 0, v4
	v_cndmask_b32_e64 v9, v12, v5, s0
	s_delay_alu instid0(VALU_DEP_4) | instskip(NEXT) | instid1(VALU_DEP_4)
	v_cndmask_b32_e64 v11, v11, v12, s0
	v_cndmask_b32_e64 v5, v5, v10, s0
	v_sub_nc_u32_e32 v12, 32, v4
	v_cndmask_b32_e64 v10, v10, v7, s0
	s_delay_alu instid0(VALU_DEP_4) | instskip(NEXT) | instid1(VALU_DEP_4)
	v_cndmask_b32_e64 v11, v11, v9, s1
	v_cndmask_b32_e64 v9, v9, v5, s1
	s_delay_alu instid0(VALU_DEP_3) | instskip(SKIP_1) | instid1(VALU_DEP_3)
	v_cndmask_b32_e64 v5, v5, v10, s1
	v_cndmask_b32_e64 v3, v10, v3, s1
	v_alignbit_b32 v13, v11, v9, v12
	s_delay_alu instid0(VALU_DEP_3) | instskip(NEXT) | instid1(VALU_DEP_3)
	v_alignbit_b32 v14, v9, v5, v12
	v_alignbit_b32 v12, v5, v3, v12
	s_delay_alu instid0(VALU_DEP_3) | instskip(NEXT) | instid1(VALU_DEP_3)
	v_cndmask_b32_e64 v4, v13, v11, s2
	v_cndmask_b32_e64 v8, v14, v9, s2
	s_delay_alu instid0(VALU_DEP_3) | instskip(NEXT) | instid1(VALU_DEP_3)
	v_cndmask_b32_e64 v5, v12, v5, s2
	v_bfe_u32 v9, v4, 29, 1
	s_delay_alu instid0(VALU_DEP_3) | instskip(NEXT) | instid1(VALU_DEP_3)
	v_alignbit_b32 v7, v4, v8, 30
	v_alignbit_b32 v8, v8, v5, 30
	;; [unrolled: 1-line block ×3, first 2 shown]
	s_delay_alu instid0(VALU_DEP_4) | instskip(NEXT) | instid1(VALU_DEP_1)
	v_sub_nc_u32_e32 v11, 0, v9
	v_xor_b32_e32 v10, v7, v11
	v_cmp_ne_u32_e32 vcc_lo, v7, v11
	v_xor_b32_e32 v5, v8, v11
	v_xor_b32_e32 v3, v3, v11
	s_delay_alu instid0(VALU_DEP_4) | instskip(NEXT) | instid1(VALU_DEP_1)
	v_clz_i32_u32_e32 v13, v10
	v_add_nc_u32_e32 v12, 1, v13
	s_delay_alu instid0(VALU_DEP_1) | instskip(NEXT) | instid1(VALU_DEP_1)
	v_cndmask_b32_e32 v7, 33, v12, vcc_lo
	v_sub_nc_u32_e32 v8, 32, v7
	s_delay_alu instid0(VALU_DEP_1) | instskip(SKIP_3) | instid1(VALU_DEP_3)
	v_alignbit_b32 v10, v10, v5, v8
	v_alignbit_b32 v3, v5, v3, v8
	v_lshrrev_b32_e32 v5, 29, v4
	v_lshrrev_b32_e32 v4, 30, v4
	v_alignbit_b32 v8, v10, v3, 9
	s_delay_alu instid0(VALU_DEP_3) | instskip(SKIP_1) | instid1(VALU_DEP_4)
	v_lshlrev_b32_e32 v5, 31, v5
	v_alignbit_b32 v10, v7, v10, 9
	v_add_nc_u32_e32 v4, v9, v4
	s_delay_alu instid0(VALU_DEP_4) | instskip(NEXT) | instid1(VALU_DEP_3)
	v_clz_i32_u32_e32 v11, v8
	v_or_b32_e32 v10, v10, v5
	v_or_b32_e32 v5, 0x33800000, v5
	s_delay_alu instid0(VALU_DEP_3) | instskip(NEXT) | instid1(VALU_DEP_3)
	v_min_u32_e32 v11, 32, v11
	v_xor_b32_e32 v10, 1.0, v10
	s_delay_alu instid0(VALU_DEP_2) | instskip(SKIP_1) | instid1(VALU_DEP_3)
	v_sub_nc_u32_e32 v12, 31, v11
	v_add_lshl_u32 v7, v11, v7, 23
	v_mul_f32_e32 v11, 0x3fc90fda, v10
	s_delay_alu instid0(VALU_DEP_3) | instskip(NEXT) | instid1(VALU_DEP_3)
	v_alignbit_b32 v3, v8, v3, v12
	v_sub_nc_u32_e32 v5, v5, v7
	s_delay_alu instid0(VALU_DEP_3) | instskip(NEXT) | instid1(VALU_DEP_3)
	v_fma_f32 v7, 0x3fc90fda, v10, -v11
	v_lshrrev_b32_e32 v3, 9, v3
	s_delay_alu instid0(VALU_DEP_2) | instskip(NEXT) | instid1(VALU_DEP_2)
	v_fmamk_f32 v7, v10, 0x33a22168, v7
	v_or_b32_e32 v3, v5, v3
	s_delay_alu instid0(VALU_DEP_1) | instskip(NEXT) | instid1(VALU_DEP_1)
	v_fmac_f32_e32 v7, 0x3fc90fda, v3
	v_add_f32_e32 v3, v11, v7
	s_or_saveexec_b32 s0, s5
	v_mul_f32_e64 v8, 0x3f22f983, |v1|
	s_xor_b32 exec_lo, exec_lo, s0
	s_branch .LBB19_61
.LBB19_60:
	s_or_saveexec_b32 s0, s5
	v_mul_f32_e64 v8, 0x3f22f983, |v1|
	s_xor_b32 exec_lo, exec_lo, s0
.LBB19_61:
	s_delay_alu instid0(VALU_DEP_1) | instskip(NEXT) | instid1(VALU_DEP_1)
	v_rndne_f32_e32 v4, v8
	v_fma_f32 v3, 0xbfc90fda, v4, |v1|
	s_delay_alu instid0(VALU_DEP_1) | instskip(NEXT) | instid1(VALU_DEP_1)
	v_fmamk_f32 v3, v4, 0xb3a22168, v3
	v_fmamk_f32 v3, v4, 0xa7c234c4, v3
	v_cvt_i32_f32_e32 v4, v4
; %bb.62:
	s_or_b32 exec_lo, exec_lo, s0
                                        ; implicit-def: $vgpr7
                                        ; implicit-def: $vgpr5
	s_and_saveexec_b32 s0, s4
	s_delay_alu instid0(SALU_CYCLE_1)
	s_xor_b32 s4, exec_lo, s0
	s_cbranch_execz .LBB19_64
; %bb.63:
	s_mov_b32 s0, 0x7fffff
	v_mov_b32_e32 v9, 0
	v_and_or_b32 v16, v2, s0, 0x800000
	s_delay_alu instid0(VALU_DEP_1) | instskip(NEXT) | instid1(VALU_DEP_1)
	v_mad_u64_u32 v[7:8], null, 0xfe5163ab, v16, 0
	v_mad_u64_u32 v[10:11], null, 0x3c439041, v16, v[8:9]
	s_delay_alu instid0(VALU_DEP_1) | instskip(NEXT) | instid1(VALU_DEP_1)
	v_mov_b32_e32 v8, v11
	v_mad_u64_u32 v[11:12], null, 0xdb629599, v16, v[8:9]
	s_delay_alu instid0(VALU_DEP_1) | instskip(NEXT) | instid1(VALU_DEP_1)
	v_mov_b32_e32 v8, v12
	v_mad_u64_u32 v[12:13], null, 0xf534ddc0, v16, v[8:9]
	s_delay_alu instid0(VALU_DEP_1) | instskip(NEXT) | instid1(VALU_DEP_1)
	v_dual_mov_b32 v8, v13 :: v_dual_add_nc_u32 v13, 0xffffff88, v6
	v_mad_u64_u32 v[5:6], null, 0xfc2757d1, v16, v[8:9]
	s_delay_alu instid0(VALU_DEP_2) | instskip(SKIP_1) | instid1(VALU_DEP_3)
	v_cmp_lt_u32_e32 vcc_lo, 63, v13
	v_cndmask_b32_e64 v14, 0, 0xffffffc0, vcc_lo
	v_dual_mov_b32 v8, v6 :: v_dual_cndmask_b32 v7, v11, v7
	s_delay_alu instid0(VALU_DEP_2) | instskip(NEXT) | instid1(VALU_DEP_2)
	v_add_nc_u32_e32 v6, v14, v13
	v_mad_u64_u32 v[13:14], null, 0x4e441529, v16, v[8:9]
	s_delay_alu instid0(VALU_DEP_2) | instskip(NEXT) | instid1(VALU_DEP_2)
	v_cmp_lt_u32_e64 s0, 31, v6
	v_mov_b32_e32 v8, v14
	s_delay_alu instid0(VALU_DEP_2) | instskip(NEXT) | instid1(VALU_DEP_1)
	v_cndmask_b32_e64 v15, 0, 0xffffffe0, s0
	v_add_nc_u32_e32 v6, v15, v6
	s_delay_alu instid0(VALU_DEP_3) | instskip(SKIP_1) | instid1(VALU_DEP_3)
	v_mad_u64_u32 v[14:15], null, 0xa2f9836e, v16, v[8:9]
	v_cndmask_b32_e32 v9, v13, v12, vcc_lo
	v_cmp_lt_u32_e64 s1, 31, v6
	s_delay_alu instid0(VALU_DEP_3) | instskip(NEXT) | instid1(VALU_DEP_2)
	v_cndmask_b32_e32 v14, v14, v5, vcc_lo
	v_cndmask_b32_e64 v8, 0, 0xffffffe0, s1
	v_cndmask_b32_e32 v13, v15, v13, vcc_lo
	s_delay_alu instid0(VALU_DEP_2) | instskip(SKIP_2) | instid1(VALU_DEP_4)
	v_dual_cndmask_b32 v5, v5, v11 :: v_dual_add_nc_u32 v6, v8, v6
	v_cndmask_b32_e32 v8, v12, v10, vcc_lo
	v_cndmask_b32_e64 v10, v14, v9, s0
	v_cndmask_b32_e64 v12, v13, v14, s0
	s_delay_alu instid0(VALU_DEP_4)
	v_cndmask_b32_e64 v9, v9, v5, s0
	v_sub_nc_u32_e32 v13, 32, v6
	v_cndmask_b32_e64 v5, v5, v8, s0
	v_cmp_eq_u32_e64 s2, 0, v6
	v_cndmask_b32_e64 v12, v12, v10, s1
	v_cndmask_b32_e64 v10, v10, v9, s1
	;; [unrolled: 1-line block ×4, first 2 shown]
	s_delay_alu instid0(VALU_DEP_3) | instskip(NEXT) | instid1(VALU_DEP_3)
	v_alignbit_b32 v14, v12, v10, v13
	v_cndmask_b32_e64 v5, v5, v7, s1
	s_delay_alu instid0(VALU_DEP_3) | instskip(NEXT) | instid1(VALU_DEP_3)
	v_alignbit_b32 v15, v10, v9, v13
	v_cndmask_b32_e64 v6, v14, v12, s2
	s_delay_alu instid0(VALU_DEP_3) | instskip(NEXT) | instid1(VALU_DEP_3)
	v_alignbit_b32 v13, v9, v5, v13
	v_cndmask_b32_e64 v10, v15, v10, s2
	s_delay_alu instid0(VALU_DEP_3) | instskip(NEXT) | instid1(VALU_DEP_3)
	v_bfe_u32 v11, v6, 29, 1
	v_cndmask_b32_e64 v9, v13, v9, s2
	s_delay_alu instid0(VALU_DEP_3) | instskip(NEXT) | instid1(VALU_DEP_3)
	v_alignbit_b32 v8, v6, v10, 30
	v_sub_nc_u32_e32 v12, 0, v11
	s_delay_alu instid0(VALU_DEP_3) | instskip(SKIP_1) | instid1(VALU_DEP_3)
	v_alignbit_b32 v10, v10, v9, 30
	v_alignbit_b32 v5, v9, v5, 30
	v_xor_b32_e32 v7, v8, v12
	v_cmp_ne_u32_e32 vcc_lo, v8, v12
	s_delay_alu instid0(VALU_DEP_4) | instskip(NEXT) | instid1(VALU_DEP_4)
	v_xor_b32_e32 v9, v10, v12
	v_xor_b32_e32 v5, v5, v12
	s_delay_alu instid0(VALU_DEP_4) | instskip(NEXT) | instid1(VALU_DEP_1)
	v_clz_i32_u32_e32 v14, v7
	v_add_nc_u32_e32 v13, 1, v14
	s_delay_alu instid0(VALU_DEP_1) | instskip(NEXT) | instid1(VALU_DEP_1)
	v_cndmask_b32_e32 v8, 33, v13, vcc_lo
	v_sub_nc_u32_e32 v10, 32, v8
	s_delay_alu instid0(VALU_DEP_1) | instskip(SKIP_3) | instid1(VALU_DEP_3)
	v_alignbit_b32 v7, v7, v9, v10
	v_alignbit_b32 v5, v9, v5, v10
	v_lshrrev_b32_e32 v9, 29, v6
	v_lshrrev_b32_e32 v6, 30, v6
	v_alignbit_b32 v10, v7, v5, 9
	s_delay_alu instid0(VALU_DEP_3) | instskip(SKIP_1) | instid1(VALU_DEP_3)
	v_lshlrev_b32_e32 v9, 31, v9
	v_alignbit_b32 v7, v8, v7, 9
	v_clz_i32_u32_e32 v12, v10
	s_delay_alu instid0(VALU_DEP_2) | instskip(SKIP_1) | instid1(VALU_DEP_3)
	v_or_b32_e32 v7, v7, v9
	v_or_b32_e32 v9, 0x33800000, v9
	v_min_u32_e32 v12, 32, v12
	s_delay_alu instid0(VALU_DEP_3) | instskip(NEXT) | instid1(VALU_DEP_2)
	v_xor_b32_e32 v7, 1.0, v7
	v_sub_nc_u32_e32 v13, 31, v12
	v_add_lshl_u32 v8, v12, v8, 23
	s_delay_alu instid0(VALU_DEP_3) | instskip(NEXT) | instid1(VALU_DEP_3)
	v_mul_f32_e32 v12, 0x3fc90fda, v7
	v_alignbit_b32 v5, v10, v5, v13
	s_delay_alu instid0(VALU_DEP_3) | instskip(NEXT) | instid1(VALU_DEP_3)
	v_sub_nc_u32_e32 v8, v9, v8
	v_fma_f32 v9, 0x3fc90fda, v7, -v12
	s_delay_alu instid0(VALU_DEP_3) | instskip(NEXT) | instid1(VALU_DEP_2)
	v_lshrrev_b32_e32 v5, 9, v5
	v_fmamk_f32 v7, v7, 0x33a22168, v9
	s_delay_alu instid0(VALU_DEP_2) | instskip(NEXT) | instid1(VALU_DEP_1)
	v_or_b32_e32 v5, v8, v5
                                        ; implicit-def: $vgpr8
	v_fmac_f32_e32 v7, 0x3fc90fda, v5
	s_delay_alu instid0(VALU_DEP_1)
	v_add_f32_e32 v5, v12, v7
	v_add_nc_u32_e32 v7, v11, v6
	s_and_not1_saveexec_b32 s0, s4
	s_cbranch_execnz .LBB19_65
	s_branch .LBB19_66
.LBB19_64:
	s_and_not1_saveexec_b32 s0, s4
.LBB19_65:
	v_rndne_f32_e32 v6, v8
	s_delay_alu instid0(VALU_DEP_1) | instskip(SKIP_1) | instid1(VALU_DEP_2)
	v_fma_f32 v5, 0xbfc90fda, v6, |v1|
	v_cvt_i32_f32_e32 v7, v6
	v_fmamk_f32 v5, v6, 0xb3a22168, v5
	s_delay_alu instid0(VALU_DEP_1)
	v_fmamk_f32 v5, v6, 0xa7c234c4, v5
.LBB19_66:
	s_or_b32 exec_lo, exec_lo, s0
	v_div_scale_f32 v6, null, v42, v42, 0x40a00000
	v_div_scale_f32 v10, vcc_lo, 0x40a00000, v42, 0x40a00000
	s_mov_b32 s0, 0xb94c1982
	s_delay_alu instid0(VALU_DEP_2) | instskip(SKIP_4) | instid1(VALU_DEP_1)
	v_rcp_f32_e32 v8, v6
	s_mov_b32 s1, 0x37d75334
	v_xor_b32_e32 v2, v2, v1
	s_waitcnt_depctr 0xfff
	v_fma_f32 v9, -v6, v8, 1.0
	v_fmac_f32_e32 v8, v9, v8
	s_delay_alu instid0(VALU_DEP_1) | instskip(NEXT) | instid1(VALU_DEP_1)
	v_mul_f32_e32 v9, v10, v8
	v_fma_f32 v11, -v6, v9, v10
	s_delay_alu instid0(VALU_DEP_1) | instskip(SKIP_1) | instid1(VALU_DEP_2)
	v_fmac_f32_e32 v9, v11, v8
	v_mul_f32_e32 v11, v5, v5
	v_fma_f32 v6, -v6, v9, v10
	s_delay_alu instid0(VALU_DEP_2) | instskip(SKIP_1) | instid1(VALU_DEP_3)
	v_fmaak_f32 v20, s0, v11, 0x3c0881c4
	v_fmaak_f32 v21, s1, v11, 0xbab64f3b
	v_div_fmas_f32 v6, v6, v8, v9
	v_mul_f32_e32 v8, v3, v3
	s_delay_alu instid0(VALU_DEP_4)
	v_fmaak_f32 v20, v11, v20, 0xbe2aaa9d
	v_mul_f32_e32 v17, 0x4f800000, v42
	v_fmaak_f32 v21, v11, v21, 0x3d2aabf7
	v_div_fixup_f32 v6, v6, v42, 0x40a00000
	v_fmaak_f32 v18, s0, v8, 0x3c0881c4
	v_cmp_gt_f32_e64 s0, 0xf800000, v42
	v_fmaak_f32 v19, s1, v8, 0xbab64f3b
	v_mul_f32_e32 v20, v11, v20
	v_dual_mul_f32 v10, v6, v6 :: v_dual_and_b32 v9, 1, v4
	v_lshlrev_b32_e32 v4, 30, v4
	v_and_b32_e32 v12, 1, v7
	v_cndmask_b32_e64 v17, v42, v17, s0
	s_delay_alu instid0(VALU_DEP_4) | instskip(SKIP_3) | instid1(VALU_DEP_4)
	v_fmaak_f32 v15, 0, v10, 0x3a47c962
	v_fmaak_f32 v14, 0, v10, 0x3a15c4d9
	;; [unrolled: 1-line block ×3, first 2 shown]
	v_dual_fmaak_f32 v16, 0, v10, 0x42947983 :: v_dual_lshlrev_b32 v7, 30, v7
	v_fmaak_f32 v15, v10, v15, 0x3d95ca45
	s_delay_alu instid0(VALU_DEP_4) | instskip(SKIP_2) | instid1(VALU_DEP_3)
	v_dual_fmaak_f32 v14, v10, v14, 0x3d8cfeeb :: v_dual_fmac_f32 v5, v5, v20
	v_sqrt_f32_e32 v25, v17
	v_fmaak_f32 v18, v8, v18, 0xbe2aaa9d
	v_fmaak_f32 v15, v10, v15, 0x3f9047f6
	s_delay_alu instid0(VALU_DEP_3)
	v_fmaak_f32 v14, v10, v14, 0x3f8d754e
	v_fmaak_f32 v13, v10, v13, 0x409f6dae
	;; [unrolled: 1-line block ×3, first 2 shown]
	v_mul_f32_e32 v18, v8, v18
	v_fmaak_f32 v16, v10, v16, 0x44840e5d
	v_fmaak_f32 v21, v11, v21, 0xbf000004
	v_cmp_eq_u32_e64 s2, 0, v9
	v_fmaak_f32 v19, v8, v19, 0xbf000004
	v_fmac_f32_e32 v3, v3, v18
	v_fmaak_f32 v14, v10, v14, 0x40a25d18
	v_fmaak_f32 v16, v10, v16, 0x459bd349
	v_fma_f32 v11, v11, v21, 1.0
	v_fma_f32 v8, v8, v19, 1.0
	v_and_b32_e32 v4, 0x80000000, v4
	v_dual_fmaak_f32 v15, v10, v15, 0x40a39628 :: v_dual_add_nc_u32 v20, -1, v25
	v_fmaak_f32 v14, v10, v14, 0x410665cf
	v_fmaak_f32 v16, v10, v16, 0x46156947
	v_cndmask_b32_e64 v3, v8, v3, s2
	v_cmp_eq_u32_e64 s2, 0, v12
	v_fmaak_f32 v15, v10, v15, 0x4106c8e4
	v_fmaak_f32 v14, v10, v14, 0x40a6b6ea
	;; [unrolled: 1-line block ×3, first 2 shown]
	v_fma_f32 v8, -v20, v25, v17
	v_cndmask_b32_e64 v5, -v5, v11, s2
	v_fmaak_f32 v15, v10, v15, 0x40a6dd51
	v_fma_f32 v14, v10, v14, 1.0
	v_fmaak_f32 v16, v10, v16, 0x4530a316
	v_xor3_b32 v2, v2, v4, v3
	v_and_b32_e32 v7, 0x80000000, v7
	v_fma_f32 v15, v10, v15, 1.0
	s_delay_alu instid0(VALU_DEP_4) | instskip(NEXT) | instid1(VALU_DEP_3)
	v_fmaak_f32 v16, v10, v16, 0x43a80bfb
	v_xor_b32_e32 v5, v7, v5
	s_delay_alu instid0(VALU_DEP_3) | instskip(SKIP_1) | instid1(VALU_DEP_1)
	v_div_scale_f32 v28, vcc_lo, v15, v14, v15
	v_fmaak_f32 v13, v10, v13, 0x4297a5cd
	v_fmaak_f32 v13, v10, v13, 0x43b763ca
	s_delay_alu instid0(VALU_DEP_1) | instskip(NEXT) | instid1(VALU_DEP_1)
	v_fmaak_f32 v13, v10, v13, 0x4431b6ce
	v_fmaak_f32 v13, v10, v13, 0x44155f56
	s_delay_alu instid0(VALU_DEP_1) | instskip(NEXT) | instid1(VALU_DEP_1)
	v_fmaak_f32 v13, v10, v13, 0x4353b052
	v_fmaak_f32 v10, v10, v13, 0x41c9a7fa
	v_div_scale_f32 v13, null, v14, v14, v15
	s_delay_alu instid0(VALU_DEP_2) | instskip(NEXT) | instid1(VALU_DEP_2)
	v_div_scale_f32 v22, null, v16, v16, v10
	v_rcp_f32_e32 v23, v13
	s_delay_alu instid0(VALU_DEP_1) | instskip(SKIP_3) | instid1(VALU_DEP_2)
	v_rcp_f32_e32 v24, v22
	s_waitcnt_depctr 0xfff
	v_fma_f32 v26, -v13, v23, 1.0
	v_fma_f32 v27, -v22, v24, 1.0
	v_fmac_f32_e32 v23, v26, v23
	v_div_scale_f32 v26, s1, v10, v16, v10
	s_delay_alu instid0(VALU_DEP_3) | instskip(NEXT) | instid1(VALU_DEP_1)
	v_dual_fmac_f32 v24, v27, v24 :: v_dual_add_nc_u32 v27, 1, v25
	v_dual_mul_f32 v18, v28, v23 :: v_dual_mul_f32 v19, v26, v24
	s_delay_alu instid0(VALU_DEP_2) | instskip(NEXT) | instid1(VALU_DEP_2)
	v_fma_f32 v9, -v27, v25, v17
	v_fma_f32 v21, -v13, v18, v28
	s_delay_alu instid0(VALU_DEP_3) | instskip(NEXT) | instid1(VALU_DEP_2)
	v_fma_f32 v29, -v22, v19, v26
	v_fmac_f32_e32 v18, v21, v23
	s_delay_alu instid0(VALU_DEP_2) | instskip(NEXT) | instid1(VALU_DEP_2)
	v_fmac_f32_e32 v19, v29, v24
	v_fma_f32 v11, -v13, v18, v28
	s_delay_alu instid0(VALU_DEP_2) | instskip(NEXT) | instid1(VALU_DEP_2)
	v_fma_f32 v3, -v22, v19, v26
	v_div_fmas_f32 v4, v11, v23, v18
	s_mov_b32 vcc_lo, s1
	v_cmp_lt_f32_e64 s1, 0, v9
	s_delay_alu instid0(VALU_DEP_3)
	v_div_fmas_f32 v3, v3, v24, v19
	v_cmp_ge_f32_e32 vcc_lo, 0, v8
	v_div_fixup_f32 v4, v4, v14, v15
	v_cndmask_b32_e32 v7, v25, v20, vcc_lo
	v_cmp_class_f32_e64 vcc_lo, v1, 0x1f8
	v_div_fixup_f32 v1, v3, v16, v10
	s_delay_alu instid0(VALU_DEP_3) | instskip(SKIP_1) | instid1(VALU_DEP_3)
	v_cndmask_b32_e64 v3, v7, v27, s1
	v_cndmask_b32_e32 v5, 0x7fc00000, v5, vcc_lo
	v_dual_mul_f32 v1, v6, v1 :: v_dual_cndmask_b32 v2, 0x7fc00000, v2
	v_cmp_class_f32_e64 vcc_lo, v17, 0x260
	s_delay_alu instid0(VALU_DEP_2) | instskip(NEXT) | instid1(VALU_DEP_1)
	v_dual_mul_f32 v6, 0x37800000, v3 :: v_dual_mul_f32 v1, v1, v5
	v_cndmask_b32_e64 v3, v3, v6, s0
	s_delay_alu instid0(VALU_DEP_1) | instskip(NEXT) | instid1(VALU_DEP_1)
	v_dual_fmac_f32 v1, v4, v2 :: v_dual_cndmask_b32 v2, v3, v17
	v_mul_f32_e32 v1, 0x3f4c422a, v1
	s_delay_alu instid0(VALU_DEP_1) | instskip(NEXT) | instid1(VALU_DEP_1)
	v_div_scale_f32 v3, null, v2, v2, v1
	v_rcp_f32_e32 v4, v3
	s_waitcnt_depctr 0xfff
	v_fma_f32 v5, -v3, v4, 1.0
	s_delay_alu instid0(VALU_DEP_1) | instskip(SKIP_1) | instid1(VALU_DEP_1)
	v_fmac_f32_e32 v4, v5, v4
	v_div_scale_f32 v5, vcc_lo, v1, v2, v1
	v_mul_f32_e32 v6, v5, v4
	s_delay_alu instid0(VALU_DEP_1) | instskip(NEXT) | instid1(VALU_DEP_1)
	v_fma_f32 v7, -v3, v6, v5
	v_fmac_f32_e32 v6, v7, v4
	s_delay_alu instid0(VALU_DEP_1) | instskip(NEXT) | instid1(VALU_DEP_1)
	v_fma_f32 v3, -v3, v6, v5
	v_div_fmas_f32 v3, v3, v4, v6
	s_delay_alu instid0(VALU_DEP_1)
	v_div_fixup_f32 v44, v3, v2, v1
.LBB19_67:
	s_or_b32 exec_lo, exec_lo, s3
	s_add_u32 s2, s36, s40
	s_addc_u32 s3, s37, s41
	s_clause 0x1
	global_store_b64 v47, v[45:46], s[2:3]
	global_store_b64 v47, v[43:44], s[2:3] offset:2048
.LBB19_68:
	s_endpgm
	.section	.rodata,"a",@progbits
	.p2align	6, 0x0
	.amdhsa_kernel _ZN2at6native29vectorized_elementwise_kernelILi2EZZZNS0_12_GLOBAL__N_121bessel_y1_kernel_cudaERNS_18TensorIteratorBaseEENKUlvE_clEvENKUlvE0_clEvEUlfE_St5arrayIPcLm2EEEEviT0_T1_
		.amdhsa_group_segment_fixed_size 0
		.amdhsa_private_segment_fixed_size 80
		.amdhsa_kernarg_size 24
		.amdhsa_user_sgpr_count 15
		.amdhsa_user_sgpr_dispatch_ptr 0
		.amdhsa_user_sgpr_queue_ptr 0
		.amdhsa_user_sgpr_kernarg_segment_ptr 1
		.amdhsa_user_sgpr_dispatch_id 0
		.amdhsa_user_sgpr_private_segment_size 0
		.amdhsa_wavefront_size32 1
		.amdhsa_uses_dynamic_stack 1
		.amdhsa_enable_private_segment 1
		.amdhsa_system_sgpr_workgroup_id_x 1
		.amdhsa_system_sgpr_workgroup_id_y 0
		.amdhsa_system_sgpr_workgroup_id_z 0
		.amdhsa_system_sgpr_workgroup_info 0
		.amdhsa_system_vgpr_workitem_id 0
		.amdhsa_next_free_vgpr 63
		.amdhsa_next_free_sgpr 46
		.amdhsa_reserve_vcc 1
		.amdhsa_float_round_mode_32 0
		.amdhsa_float_round_mode_16_64 0
		.amdhsa_float_denorm_mode_32 3
		.amdhsa_float_denorm_mode_16_64 3
		.amdhsa_dx10_clamp 1
		.amdhsa_ieee_mode 1
		.amdhsa_fp16_overflow 0
		.amdhsa_workgroup_processor_mode 1
		.amdhsa_memory_ordered 1
		.amdhsa_forward_progress 0
		.amdhsa_shared_vgpr_count 0
		.amdhsa_exception_fp_ieee_invalid_op 0
		.amdhsa_exception_fp_denorm_src 0
		.amdhsa_exception_fp_ieee_div_zero 0
		.amdhsa_exception_fp_ieee_overflow 0
		.amdhsa_exception_fp_ieee_underflow 0
		.amdhsa_exception_fp_ieee_inexact 0
		.amdhsa_exception_int_div_zero 0
	.end_amdhsa_kernel
	.section	.text._ZN2at6native29vectorized_elementwise_kernelILi2EZZZNS0_12_GLOBAL__N_121bessel_y1_kernel_cudaERNS_18TensorIteratorBaseEENKUlvE_clEvENKUlvE0_clEvEUlfE_St5arrayIPcLm2EEEEviT0_T1_,"axG",@progbits,_ZN2at6native29vectorized_elementwise_kernelILi2EZZZNS0_12_GLOBAL__N_121bessel_y1_kernel_cudaERNS_18TensorIteratorBaseEENKUlvE_clEvENKUlvE0_clEvEUlfE_St5arrayIPcLm2EEEEviT0_T1_,comdat
.Lfunc_end19:
	.size	_ZN2at6native29vectorized_elementwise_kernelILi2EZZZNS0_12_GLOBAL__N_121bessel_y1_kernel_cudaERNS_18TensorIteratorBaseEENKUlvE_clEvENKUlvE0_clEvEUlfE_St5arrayIPcLm2EEEEviT0_T1_, .Lfunc_end19-_ZN2at6native29vectorized_elementwise_kernelILi2EZZZNS0_12_GLOBAL__N_121bessel_y1_kernel_cudaERNS_18TensorIteratorBaseEENKUlvE_clEvENKUlvE0_clEvEUlfE_St5arrayIPcLm2EEEEviT0_T1_
                                        ; -- End function
	.section	.AMDGPU.csdata,"",@progbits
; Kernel info:
; codeLenInByte = 13192
; NumSgprs: 48
; NumVgprs: 63
; ScratchSize: 80
; MemoryBound: 0
; FloatMode: 240
; IeeeMode: 1
; LDSByteSize: 0 bytes/workgroup (compile time only)
; SGPRBlocks: 5
; VGPRBlocks: 7
; NumSGPRsForWavesPerEU: 48
; NumVGPRsForWavesPerEU: 63
; Occupancy: 16
; WaveLimiterHint : 1
; COMPUTE_PGM_RSRC2:SCRATCH_EN: 1
; COMPUTE_PGM_RSRC2:USER_SGPR: 15
; COMPUTE_PGM_RSRC2:TRAP_HANDLER: 0
; COMPUTE_PGM_RSRC2:TGID_X_EN: 1
; COMPUTE_PGM_RSRC2:TGID_Y_EN: 0
; COMPUTE_PGM_RSRC2:TGID_Z_EN: 0
; COMPUTE_PGM_RSRC2:TIDIG_COMP_CNT: 0
	.section	.text._ZN2at6native27unrolled_elementwise_kernelIZZZNS0_12_GLOBAL__N_121bessel_y1_kernel_cudaERNS_18TensorIteratorBaseEENKUlvE_clEvENKUlvE0_clEvEUlfE_St5arrayIPcLm2EELi4E23TrivialOffsetCalculatorILi1EjESC_NS0_6memory15LoadWithoutCastENSD_16StoreWithoutCastEEEviT_T0_T2_T3_T4_T5_,"axG",@progbits,_ZN2at6native27unrolled_elementwise_kernelIZZZNS0_12_GLOBAL__N_121bessel_y1_kernel_cudaERNS_18TensorIteratorBaseEENKUlvE_clEvENKUlvE0_clEvEUlfE_St5arrayIPcLm2EELi4E23TrivialOffsetCalculatorILi1EjESC_NS0_6memory15LoadWithoutCastENSD_16StoreWithoutCastEEEviT_T0_T2_T3_T4_T5_,comdat
	.globl	_ZN2at6native27unrolled_elementwise_kernelIZZZNS0_12_GLOBAL__N_121bessel_y1_kernel_cudaERNS_18TensorIteratorBaseEENKUlvE_clEvENKUlvE0_clEvEUlfE_St5arrayIPcLm2EELi4E23TrivialOffsetCalculatorILi1EjESC_NS0_6memory15LoadWithoutCastENSD_16StoreWithoutCastEEEviT_T0_T2_T3_T4_T5_ ; -- Begin function _ZN2at6native27unrolled_elementwise_kernelIZZZNS0_12_GLOBAL__N_121bessel_y1_kernel_cudaERNS_18TensorIteratorBaseEENKUlvE_clEvENKUlvE0_clEvEUlfE_St5arrayIPcLm2EELi4E23TrivialOffsetCalculatorILi1EjESC_NS0_6memory15LoadWithoutCastENSD_16StoreWithoutCastEEEviT_T0_T2_T3_T4_T5_
	.p2align	8
	.type	_ZN2at6native27unrolled_elementwise_kernelIZZZNS0_12_GLOBAL__N_121bessel_y1_kernel_cudaERNS_18TensorIteratorBaseEENKUlvE_clEvENKUlvE0_clEvEUlfE_St5arrayIPcLm2EELi4E23TrivialOffsetCalculatorILi1EjESC_NS0_6memory15LoadWithoutCastENSD_16StoreWithoutCastEEEviT_T0_T2_T3_T4_T5_,@function
_ZN2at6native27unrolled_elementwise_kernelIZZZNS0_12_GLOBAL__N_121bessel_y1_kernel_cudaERNS_18TensorIteratorBaseEENKUlvE_clEvENKUlvE0_clEvEUlfE_St5arrayIPcLm2EELi4E23TrivialOffsetCalculatorILi1EjESC_NS0_6memory15LoadWithoutCastENSD_16StoreWithoutCastEEEviT_T0_T2_T3_T4_T5_: ; @_ZN2at6native27unrolled_elementwise_kernelIZZZNS0_12_GLOBAL__N_121bessel_y1_kernel_cudaERNS_18TensorIteratorBaseEENKUlvE_clEvENKUlvE0_clEvEUlfE_St5arrayIPcLm2EELi4E23TrivialOffsetCalculatorILi1EjESC_NS0_6memory15LoadWithoutCastENSD_16StoreWithoutCastEEEviT_T0_T2_T3_T4_T5_
; %bb.0:
	s_clause 0x1
	s_load_b32 s6, s[0:1], 0x0
	s_load_b128 s[0:3], s[0:1], 0x8
	s_lshl_b32 s7, s15, 10
	s_getpc_b64 s[4:5]
	s_add_u32 s4, s4, _ZN2at6native25elementwise_kernel_helperILb0EZZZNS0_12_GLOBAL__N_121bessel_y1_kernel_cudaERNS_18TensorIteratorBaseEENKUlvE_clEvENKUlvE0_clEvEUlfE_NS0_6memory8policies11unroll_baseILi256ESt5arrayIPcLm2EE23TrivialOffsetCalculatorILi1EjESF_NS8_15LoadWithoutCastENS8_16StoreWithoutCastELi4ELi1EEEEEvT0_T1_@rel32@lo+4
	s_addc_u32 s5, s5, _ZN2at6native25elementwise_kernel_helperILb0EZZZNS0_12_GLOBAL__N_121bessel_y1_kernel_cudaERNS_18TensorIteratorBaseEENKUlvE_clEvENKUlvE0_clEvEUlfE_NS0_6memory8policies11unroll_baseILi256ESt5arrayIPcLm2EE23TrivialOffsetCalculatorILi1EjESF_NS8_15LoadWithoutCastENS8_16StoreWithoutCastELi4ELi1EEEEEvT0_T1_@rel32@hi+12
	v_mov_b32_e32 v31, v0
	s_mov_b32 s12, s15
	s_mov_b32 s32, 0
	s_waitcnt lgkmcnt(0)
	s_sub_i32 s6, s6, s7
	v_dual_mov_b32 v0, s0 :: v_dual_mov_b32 v1, s1
	v_dual_mov_b32 v2, s2 :: v_dual_mov_b32 v3, s3
	v_mov_b32_e32 v4, s6
	s_swappc_b64 s[30:31], s[4:5]
	s_endpgm
	.section	.rodata,"a",@progbits
	.p2align	6, 0x0
	.amdhsa_kernel _ZN2at6native27unrolled_elementwise_kernelIZZZNS0_12_GLOBAL__N_121bessel_y1_kernel_cudaERNS_18TensorIteratorBaseEENKUlvE_clEvENKUlvE0_clEvEUlfE_St5arrayIPcLm2EELi4E23TrivialOffsetCalculatorILi1EjESC_NS0_6memory15LoadWithoutCastENSD_16StoreWithoutCastEEEviT_T0_T2_T3_T4_T5_
		.amdhsa_group_segment_fixed_size 0
		.amdhsa_private_segment_fixed_size 80
		.amdhsa_kernarg_size 28
		.amdhsa_user_sgpr_count 15
		.amdhsa_user_sgpr_dispatch_ptr 0
		.amdhsa_user_sgpr_queue_ptr 0
		.amdhsa_user_sgpr_kernarg_segment_ptr 1
		.amdhsa_user_sgpr_dispatch_id 0
		.amdhsa_user_sgpr_private_segment_size 0
		.amdhsa_wavefront_size32 1
		.amdhsa_uses_dynamic_stack 1
		.amdhsa_enable_private_segment 1
		.amdhsa_system_sgpr_workgroup_id_x 1
		.amdhsa_system_sgpr_workgroup_id_y 0
		.amdhsa_system_sgpr_workgroup_id_z 0
		.amdhsa_system_sgpr_workgroup_info 0
		.amdhsa_system_vgpr_workitem_id 0
		.amdhsa_next_free_vgpr 63
		.amdhsa_next_free_sgpr 41
		.amdhsa_reserve_vcc 1
		.amdhsa_float_round_mode_32 0
		.amdhsa_float_round_mode_16_64 0
		.amdhsa_float_denorm_mode_32 3
		.amdhsa_float_denorm_mode_16_64 3
		.amdhsa_dx10_clamp 1
		.amdhsa_ieee_mode 1
		.amdhsa_fp16_overflow 0
		.amdhsa_workgroup_processor_mode 1
		.amdhsa_memory_ordered 1
		.amdhsa_forward_progress 0
		.amdhsa_shared_vgpr_count 0
		.amdhsa_exception_fp_ieee_invalid_op 0
		.amdhsa_exception_fp_denorm_src 0
		.amdhsa_exception_fp_ieee_div_zero 0
		.amdhsa_exception_fp_ieee_overflow 0
		.amdhsa_exception_fp_ieee_underflow 0
		.amdhsa_exception_fp_ieee_inexact 0
		.amdhsa_exception_int_div_zero 0
	.end_amdhsa_kernel
	.section	.text._ZN2at6native27unrolled_elementwise_kernelIZZZNS0_12_GLOBAL__N_121bessel_y1_kernel_cudaERNS_18TensorIteratorBaseEENKUlvE_clEvENKUlvE0_clEvEUlfE_St5arrayIPcLm2EELi4E23TrivialOffsetCalculatorILi1EjESC_NS0_6memory15LoadWithoutCastENSD_16StoreWithoutCastEEEviT_T0_T2_T3_T4_T5_,"axG",@progbits,_ZN2at6native27unrolled_elementwise_kernelIZZZNS0_12_GLOBAL__N_121bessel_y1_kernel_cudaERNS_18TensorIteratorBaseEENKUlvE_clEvENKUlvE0_clEvEUlfE_St5arrayIPcLm2EELi4E23TrivialOffsetCalculatorILi1EjESC_NS0_6memory15LoadWithoutCastENSD_16StoreWithoutCastEEEviT_T0_T2_T3_T4_T5_,comdat
.Lfunc_end20:
	.size	_ZN2at6native27unrolled_elementwise_kernelIZZZNS0_12_GLOBAL__N_121bessel_y1_kernel_cudaERNS_18TensorIteratorBaseEENKUlvE_clEvENKUlvE0_clEvEUlfE_St5arrayIPcLm2EELi4E23TrivialOffsetCalculatorILi1EjESC_NS0_6memory15LoadWithoutCastENSD_16StoreWithoutCastEEEviT_T0_T2_T3_T4_T5_, .Lfunc_end20-_ZN2at6native27unrolled_elementwise_kernelIZZZNS0_12_GLOBAL__N_121bessel_y1_kernel_cudaERNS_18TensorIteratorBaseEENKUlvE_clEvENKUlvE0_clEvEUlfE_St5arrayIPcLm2EELi4E23TrivialOffsetCalculatorILi1EjESC_NS0_6memory15LoadWithoutCastENSD_16StoreWithoutCastEEEviT_T0_T2_T3_T4_T5_
                                        ; -- End function
	.section	.AMDGPU.csdata,"",@progbits
; Kernel info:
; codeLenInByte = 92
; NumSgprs: 43
; NumVgprs: 63
; ScratchSize: 80
; MemoryBound: 0
; FloatMode: 240
; IeeeMode: 1
; LDSByteSize: 0 bytes/workgroup (compile time only)
; SGPRBlocks: 5
; VGPRBlocks: 7
; NumSGPRsForWavesPerEU: 43
; NumVGPRsForWavesPerEU: 63
; Occupancy: 16
; WaveLimiterHint : 0
; COMPUTE_PGM_RSRC2:SCRATCH_EN: 1
; COMPUTE_PGM_RSRC2:USER_SGPR: 15
; COMPUTE_PGM_RSRC2:TRAP_HANDLER: 0
; COMPUTE_PGM_RSRC2:TGID_X_EN: 1
; COMPUTE_PGM_RSRC2:TGID_Y_EN: 0
; COMPUTE_PGM_RSRC2:TGID_Z_EN: 0
; COMPUTE_PGM_RSRC2:TIDIG_COMP_CNT: 0
	.section	.text._ZN2at6native32elementwise_kernel_manual_unrollILi128ELi4EZNS0_22gpu_kernel_impl_nocastIZZZNS0_12_GLOBAL__N_121bessel_y1_kernel_cudaERNS_18TensorIteratorBaseEENKUlvE_clEvENKUlvE0_clEvEUlfE_EEvS5_RKT_EUlibE_EEviT1_,"axG",@progbits,_ZN2at6native32elementwise_kernel_manual_unrollILi128ELi4EZNS0_22gpu_kernel_impl_nocastIZZZNS0_12_GLOBAL__N_121bessel_y1_kernel_cudaERNS_18TensorIteratorBaseEENKUlvE_clEvENKUlvE0_clEvEUlfE_EEvS5_RKT_EUlibE_EEviT1_,comdat
	.globl	_ZN2at6native32elementwise_kernel_manual_unrollILi128ELi4EZNS0_22gpu_kernel_impl_nocastIZZZNS0_12_GLOBAL__N_121bessel_y1_kernel_cudaERNS_18TensorIteratorBaseEENKUlvE_clEvENKUlvE0_clEvEUlfE_EEvS5_RKT_EUlibE_EEviT1_ ; -- Begin function _ZN2at6native32elementwise_kernel_manual_unrollILi128ELi4EZNS0_22gpu_kernel_impl_nocastIZZZNS0_12_GLOBAL__N_121bessel_y1_kernel_cudaERNS_18TensorIteratorBaseEENKUlvE_clEvENKUlvE0_clEvEUlfE_EEvS5_RKT_EUlibE_EEviT1_
	.p2align	8
	.type	_ZN2at6native32elementwise_kernel_manual_unrollILi128ELi4EZNS0_22gpu_kernel_impl_nocastIZZZNS0_12_GLOBAL__N_121bessel_y1_kernel_cudaERNS_18TensorIteratorBaseEENKUlvE_clEvENKUlvE0_clEvEUlfE_EEvS5_RKT_EUlibE_EEviT1_,@function
_ZN2at6native32elementwise_kernel_manual_unrollILi128ELi4EZNS0_22gpu_kernel_impl_nocastIZZZNS0_12_GLOBAL__N_121bessel_y1_kernel_cudaERNS_18TensorIteratorBaseEENKUlvE_clEvENKUlvE0_clEvEUlfE_EEvS5_RKT_EUlibE_EEviT1_: ; @_ZN2at6native32elementwise_kernel_manual_unrollILi128ELi4EZNS0_22gpu_kernel_impl_nocastIZZZNS0_12_GLOBAL__N_121bessel_y1_kernel_cudaERNS_18TensorIteratorBaseEENKUlvE_clEvENKUlvE0_clEvEUlfE_EEvS5_RKT_EUlibE_EEviT1_
; %bb.0:
	s_clause 0x1
	s_load_b32 s35, s[0:1], 0x8
	s_load_b32 s58, s[0:1], 0x0
	v_lshl_or_b32 v44, s15, 9, v0
	s_or_b32 s0, s0, 8
	s_mov_b32 s32, 0
	s_mov_b32 s2, exec_lo
	s_delay_alu instid0(VALU_DEP_1) | instskip(SKIP_2) | instid1(SALU_CYCLE_1)
	v_or_b32_e32 v1, 0x180, v44
	s_waitcnt lgkmcnt(0)
	s_add_i32 s54, s35, -1
	s_cmp_gt_u32 s54, 1
	s_cselect_b32 s55, -1, 0
	v_cmpx_le_i32_e64 s58, v1
	s_xor_b32 s56, exec_lo, s2
	s_cbranch_execz .LBB21_7
; %bb.1:
	s_clause 0x3
	s_load_b128 s[44:47], s[0:1], 0x4
	s_load_b64 s[48:49], s[0:1], 0x14
	s_load_b128 s[40:43], s[0:1], 0xc4
	s_load_b128 s[36:39], s[0:1], 0x148
	s_cmp_lg_u32 s35, 0
	s_mov_b32 s61, exec_lo
	s_cselect_b32 s60, -1, 0
	s_add_u32 s50, s0, 0xc4
	s_addc_u32 s51, s1, 0
	s_min_u32 s59, s54, 15
	s_cmp_gt_u32 s35, 1
	s_cselect_b32 s57, -1, 0
	v_cmpx_gt_i32_e64 s58, v44
	s_cbranch_execz .LBB21_14
; %bb.2:
	s_and_not1_b32 vcc_lo, exec_lo, s55
	s_cbranch_vccnz .LBB21_21
; %bb.3:
	v_mov_b32_e32 v42, 0
	v_mov_b32_e32 v0, 0
	s_and_not1_b32 vcc_lo, exec_lo, s60
	s_mov_b32 s6, 0
	s_cbranch_vccnz .LBB21_137
; %bb.4:
	v_mov_b32_e32 v42, 0
	s_add_i32 s8, s59, 1
	s_cmp_eq_u32 s54, 2
	s_mov_b32 s7, 0
	s_cbranch_scc1 .LBB21_133
; %bb.5:
	v_dual_mov_b32 v0, 0 :: v_dual_mov_b32 v1, v44
	v_mov_b32_e32 v42, 0
	s_and_b32 s7, s8, 28
	s_mov_b32 s9, 0
	s_mov_b64 s[2:3], s[50:51]
	s_mov_b64 s[4:5], s[0:1]
.LBB21_6:                               ; =>This Inner Loop Header: Depth=1
	s_clause 0x1
	s_load_b256 s[12:19], s[4:5], 0x4
	s_load_b128 s[28:31], s[4:5], 0x24
	s_load_b256 s[20:27], s[2:3], 0x0
	s_add_u32 s4, s4, 48
	s_addc_u32 s5, s5, 0
	s_add_i32 s9, s9, 4
	s_add_u32 s2, s2, 32
	s_addc_u32 s3, s3, 0
	s_cmp_lg_u32 s7, s9
	s_waitcnt lgkmcnt(0)
	v_mul_hi_u32 v2, s13, v1
	s_delay_alu instid0(VALU_DEP_1) | instskip(NEXT) | instid1(VALU_DEP_1)
	v_add_nc_u32_e32 v2, v1, v2
	v_lshrrev_b32_e32 v2, s14, v2
	s_delay_alu instid0(VALU_DEP_1) | instskip(SKIP_1) | instid1(VALU_DEP_2)
	v_mul_hi_u32 v3, s16, v2
	v_mul_lo_u32 v5, v2, s12
	v_add_nc_u32_e32 v3, v2, v3
	s_delay_alu instid0(VALU_DEP_2) | instskip(NEXT) | instid1(VALU_DEP_2)
	v_sub_nc_u32_e32 v1, v1, v5
	v_lshrrev_b32_e32 v3, s17, v3
	s_delay_alu instid0(VALU_DEP_2) | instskip(SKIP_1) | instid1(VALU_DEP_3)
	v_mul_lo_u32 v5, v1, s20
	v_mul_lo_u32 v7, v1, s21
	v_mul_hi_u32 v4, s19, v3
	s_delay_alu instid0(VALU_DEP_1) | instskip(NEXT) | instid1(VALU_DEP_1)
	v_add_nc_u32_e32 v4, v3, v4
	v_lshrrev_b32_e32 v4, s28, v4
	s_delay_alu instid0(VALU_DEP_1) | instskip(SKIP_1) | instid1(VALU_DEP_2)
	v_mul_hi_u32 v6, s30, v4
	v_mul_lo_u32 v8, v4, s18
	v_add_nc_u32_e32 v1, v4, v6
	v_mul_lo_u32 v6, v3, s15
	s_delay_alu instid0(VALU_DEP_3) | instskip(NEXT) | instid1(VALU_DEP_3)
	v_sub_nc_u32_e32 v3, v3, v8
	v_lshrrev_b32_e32 v1, s31, v1
	s_delay_alu instid0(VALU_DEP_2) | instskip(SKIP_2) | instid1(VALU_DEP_4)
	v_mul_lo_u32 v8, v3, s24
	v_mul_lo_u32 v3, v3, s25
	v_sub_nc_u32_e32 v2, v2, v6
	v_mul_lo_u32 v9, v1, s29
	s_delay_alu instid0(VALU_DEP_2) | instskip(SKIP_1) | instid1(VALU_DEP_3)
	v_mul_lo_u32 v6, v2, s22
	v_mul_lo_u32 v2, v2, s23
	v_sub_nc_u32_e32 v4, v4, v9
	s_delay_alu instid0(VALU_DEP_3) | instskip(NEXT) | instid1(VALU_DEP_2)
	v_add3_u32 v5, v5, v42, v6
	v_mul_lo_u32 v9, v4, s26
	v_mul_lo_u32 v4, v4, s27
	v_add3_u32 v0, v7, v0, v2
	s_delay_alu instid0(VALU_DEP_3) | instskip(NEXT) | instid1(VALU_DEP_2)
	v_add3_u32 v42, v8, v5, v9
	v_add3_u32 v0, v3, v0, v4
	s_cbranch_scc1 .LBB21_6
	s_branch .LBB21_134
.LBB21_7:
	s_and_not1_saveexec_b32 s2, s56
	s_cbranch_execz .LBB21_190
.LBB21_8:
	v_cndmask_b32_e64 v2, 0, 1, s55
	s_and_not1_b32 vcc_lo, exec_lo, s55
	s_cbranch_vccnz .LBB21_20
; %bb.9:
	v_mov_b32_e32 v42, 0
	v_mov_b32_e32 v0, 0
	s_cmp_lg_u32 s35, 0
	s_mov_b32 s6, 0
	s_cbranch_scc0 .LBB21_26
; %bb.10:
	s_min_u32 s7, s54, 15
	v_mov_b32_e32 v42, 0
	s_add_i32 s7, s7, 1
	s_cmp_eq_u32 s54, 2
	s_mov_b32 s8, 0
	s_cbranch_scc1 .LBB21_23
; %bb.11:
	v_dual_mov_b32 v0, 0 :: v_dual_mov_b32 v3, v44
	v_mov_b32_e32 v42, 0
	s_add_u32 s2, s0, 0xc4
	s_addc_u32 s3, s1, 0
	s_and_b32 s8, s7, 28
	s_mov_b32 s9, 0
	s_mov_b64 s[4:5], s[0:1]
.LBB21_12:                              ; =>This Inner Loop Header: Depth=1
	s_clause 0x1
	s_load_b256 s[12:19], s[4:5], 0x4
	s_load_b128 s[28:31], s[4:5], 0x24
	s_load_b256 s[20:27], s[2:3], 0x0
	s_add_u32 s4, s4, 48
	s_addc_u32 s5, s5, 0
	s_add_i32 s9, s9, 4
	s_add_u32 s2, s2, 32
	s_addc_u32 s3, s3, 0
	s_cmp_lg_u32 s8, s9
	s_waitcnt lgkmcnt(0)
	v_mul_hi_u32 v4, s13, v3
	s_delay_alu instid0(VALU_DEP_1) | instskip(NEXT) | instid1(VALU_DEP_1)
	v_add_nc_u32_e32 v4, v3, v4
	v_lshrrev_b32_e32 v4, s14, v4
	s_delay_alu instid0(VALU_DEP_1) | instskip(SKIP_1) | instid1(VALU_DEP_2)
	v_mul_hi_u32 v5, s16, v4
	v_mul_lo_u32 v7, v4, s12
	v_add_nc_u32_e32 v5, v4, v5
	s_delay_alu instid0(VALU_DEP_2) | instskip(NEXT) | instid1(VALU_DEP_2)
	v_sub_nc_u32_e32 v3, v3, v7
	v_lshrrev_b32_e32 v5, s17, v5
	s_delay_alu instid0(VALU_DEP_2) | instskip(SKIP_1) | instid1(VALU_DEP_3)
	v_mul_lo_u32 v7, v3, s20
	v_mul_lo_u32 v9, v3, s21
	v_mul_hi_u32 v6, s19, v5
	s_delay_alu instid0(VALU_DEP_1) | instskip(NEXT) | instid1(VALU_DEP_1)
	v_add_nc_u32_e32 v6, v5, v6
	v_lshrrev_b32_e32 v6, s28, v6
	s_delay_alu instid0(VALU_DEP_1) | instskip(SKIP_1) | instid1(VALU_DEP_2)
	v_mul_hi_u32 v8, s30, v6
	v_mul_lo_u32 v10, v6, s18
	v_add_nc_u32_e32 v3, v6, v8
	v_mul_lo_u32 v8, v5, s15
	s_delay_alu instid0(VALU_DEP_3) | instskip(NEXT) | instid1(VALU_DEP_3)
	v_sub_nc_u32_e32 v5, v5, v10
	v_lshrrev_b32_e32 v3, s31, v3
	s_delay_alu instid0(VALU_DEP_2) | instskip(SKIP_2) | instid1(VALU_DEP_4)
	v_mul_lo_u32 v10, v5, s24
	v_mul_lo_u32 v5, v5, s25
	v_sub_nc_u32_e32 v4, v4, v8
	v_mul_lo_u32 v11, v3, s29
	s_delay_alu instid0(VALU_DEP_2) | instskip(SKIP_1) | instid1(VALU_DEP_3)
	v_mul_lo_u32 v8, v4, s22
	v_mul_lo_u32 v4, v4, s23
	v_sub_nc_u32_e32 v6, v6, v11
	s_delay_alu instid0(VALU_DEP_3) | instskip(NEXT) | instid1(VALU_DEP_2)
	v_add3_u32 v7, v7, v42, v8
	v_mul_lo_u32 v11, v6, s26
	v_mul_lo_u32 v6, v6, s27
	v_add3_u32 v0, v9, v0, v4
	s_delay_alu instid0(VALU_DEP_3) | instskip(NEXT) | instid1(VALU_DEP_2)
	v_add3_u32 v42, v10, v7, v11
	v_add3_u32 v0, v5, v0, v6
	s_cbranch_scc1 .LBB21_12
; %bb.13:
	s_and_b32 s7, s7, 3
	s_delay_alu instid0(SALU_CYCLE_1)
	s_cmp_eq_u32 s7, 0
	s_cbranch_scc0 .LBB21_24
	s_branch .LBB21_26
.LBB21_14:
	s_or_b32 exec_lo, exec_lo, s61
	s_delay_alu instid0(SALU_CYCLE_1)
	s_mov_b32 s61, exec_lo
	v_cmpx_gt_i32_e64 s58, v44
	s_cbranch_execz .LBB21_157
.LBB21_15:
	s_and_not1_b32 vcc_lo, exec_lo, s55
	s_cbranch_vccnz .LBB21_22
; %bb.16:
	v_mov_b32_e32 v42, 0
	v_mov_b32_e32 v0, 0
	s_and_not1_b32 vcc_lo, exec_lo, s60
	s_mov_b32 s6, 0
	s_cbranch_vccnz .LBB21_168
; %bb.17:
	v_mov_b32_e32 v42, 0
	s_add_i32 s8, s59, 1
	s_cmp_eq_u32 s54, 2
	s_mov_b32 s7, 0
	s_cbranch_scc1 .LBB21_164
; %bb.18:
	v_dual_mov_b32 v0, 0 :: v_dual_mov_b32 v1, v44
	v_mov_b32_e32 v42, 0
	s_and_b32 s7, s8, 28
	s_mov_b32 s9, 0
	s_mov_b64 s[2:3], s[50:51]
	s_mov_b64 s[4:5], s[0:1]
.LBB21_19:                              ; =>This Inner Loop Header: Depth=1
	s_clause 0x1
	s_load_b256 s[12:19], s[4:5], 0x4
	s_load_b128 s[28:31], s[4:5], 0x24
	s_load_b256 s[20:27], s[2:3], 0x0
	s_add_u32 s4, s4, 48
	s_addc_u32 s5, s5, 0
	s_add_i32 s9, s9, 4
	s_add_u32 s2, s2, 32
	s_addc_u32 s3, s3, 0
	s_cmp_eq_u32 s7, s9
	s_waitcnt lgkmcnt(0)
	v_mul_hi_u32 v2, s13, v1
	s_delay_alu instid0(VALU_DEP_1) | instskip(NEXT) | instid1(VALU_DEP_1)
	v_add_nc_u32_e32 v2, v1, v2
	v_lshrrev_b32_e32 v2, s14, v2
	s_delay_alu instid0(VALU_DEP_1) | instskip(SKIP_1) | instid1(VALU_DEP_2)
	v_mul_hi_u32 v3, s16, v2
	v_mul_lo_u32 v5, v2, s12
	v_add_nc_u32_e32 v3, v2, v3
	s_delay_alu instid0(VALU_DEP_2) | instskip(NEXT) | instid1(VALU_DEP_2)
	v_sub_nc_u32_e32 v1, v1, v5
	v_lshrrev_b32_e32 v3, s17, v3
	s_delay_alu instid0(VALU_DEP_2) | instskip(SKIP_1) | instid1(VALU_DEP_3)
	v_mul_lo_u32 v5, v1, s20
	v_mul_lo_u32 v7, v1, s21
	v_mul_hi_u32 v4, s19, v3
	s_delay_alu instid0(VALU_DEP_1) | instskip(NEXT) | instid1(VALU_DEP_1)
	v_add_nc_u32_e32 v4, v3, v4
	v_lshrrev_b32_e32 v4, s28, v4
	s_delay_alu instid0(VALU_DEP_1) | instskip(SKIP_1) | instid1(VALU_DEP_2)
	v_mul_hi_u32 v6, s30, v4
	v_mul_lo_u32 v8, v4, s18
	v_add_nc_u32_e32 v1, v4, v6
	v_mul_lo_u32 v6, v3, s15
	s_delay_alu instid0(VALU_DEP_3) | instskip(NEXT) | instid1(VALU_DEP_3)
	v_sub_nc_u32_e32 v3, v3, v8
	v_lshrrev_b32_e32 v1, s31, v1
	s_delay_alu instid0(VALU_DEP_2) | instskip(SKIP_2) | instid1(VALU_DEP_4)
	v_mul_lo_u32 v8, v3, s24
	v_mul_lo_u32 v3, v3, s25
	v_sub_nc_u32_e32 v2, v2, v6
	v_mul_lo_u32 v9, v1, s29
	s_delay_alu instid0(VALU_DEP_2) | instskip(SKIP_1) | instid1(VALU_DEP_3)
	v_mul_lo_u32 v6, v2, s22
	v_mul_lo_u32 v2, v2, s23
	v_sub_nc_u32_e32 v4, v4, v9
	s_delay_alu instid0(VALU_DEP_3) | instskip(NEXT) | instid1(VALU_DEP_2)
	v_add3_u32 v5, v5, v42, v6
	v_mul_lo_u32 v9, v4, s26
	v_mul_lo_u32 v4, v4, s27
	v_add3_u32 v0, v7, v0, v2
	s_delay_alu instid0(VALU_DEP_3) | instskip(NEXT) | instid1(VALU_DEP_2)
	v_add3_u32 v42, v8, v5, v9
	v_add3_u32 v0, v3, v0, v4
	s_cbranch_scc0 .LBB21_19
	s_branch .LBB21_165
.LBB21_20:
	s_mov_b32 s6, -1
                                        ; implicit-def: $vgpr42
                                        ; implicit-def: $vgpr0
	s_branch .LBB21_26
.LBB21_21:
	s_mov_b32 s6, -1
                                        ; implicit-def: $vgpr42
                                        ; implicit-def: $vgpr0
	s_branch .LBB21_137
.LBB21_22:
	s_mov_b32 s6, -1
                                        ; implicit-def: $vgpr42
                                        ; implicit-def: $vgpr0
	s_branch .LBB21_168
.LBB21_23:
	v_dual_mov_b32 v3, v44 :: v_dual_mov_b32 v0, 0
	s_and_b32 s7, s7, 3
	s_delay_alu instid0(SALU_CYCLE_1)
	s_cmp_eq_u32 s7, 0
	s_cbranch_scc1 .LBB21_26
.LBB21_24:
	s_lshl_b32 s2, s8, 3
	s_mul_i32 s4, s8, 12
	s_add_u32 s2, s2, s0
	s_addc_u32 s3, 0, s1
	s_add_u32 s2, s2, 0xc4
	s_addc_u32 s3, s3, 0
	;; [unrolled: 2-line block ×3, first 2 shown]
	.p2align	6
.LBB21_25:                              ; =>This Inner Loop Header: Depth=1
	s_clause 0x1
	s_load_b64 s[8:9], s[4:5], 0x4
	s_load_b32 s12, s[4:5], 0xc
	s_load_b64 s[10:11], s[2:3], 0x0
	s_add_u32 s4, s4, 12
	s_addc_u32 s5, s5, 0
	s_add_u32 s2, s2, 8
	s_addc_u32 s3, s3, 0
	s_add_i32 s7, s7, -1
	s_delay_alu instid0(SALU_CYCLE_1) | instskip(SKIP_2) | instid1(VALU_DEP_1)
	s_cmp_lg_u32 s7, 0
	s_waitcnt lgkmcnt(0)
	v_mul_hi_u32 v4, s9, v3
	v_add_nc_u32_e32 v4, v3, v4
	s_delay_alu instid0(VALU_DEP_1) | instskip(NEXT) | instid1(VALU_DEP_1)
	v_lshrrev_b32_e32 v7, s12, v4
	v_mul_lo_u32 v4, v7, s8
	s_delay_alu instid0(VALU_DEP_1) | instskip(NEXT) | instid1(VALU_DEP_1)
	v_sub_nc_u32_e32 v3, v3, v4
	v_mad_u64_u32 v[4:5], null, v3, s10, v[42:43]
	v_mad_u64_u32 v[5:6], null, v3, s11, v[0:1]
	s_delay_alu instid0(VALU_DEP_2) | instskip(NEXT) | instid1(VALU_DEP_2)
	v_dual_mov_b32 v3, v7 :: v_dual_mov_b32 v42, v4
	v_mov_b32_e32 v0, v5
	s_cbranch_scc1 .LBB21_25
.LBB21_26:
	s_and_not1_b32 vcc_lo, exec_lo, s6
	s_cbranch_vccnz .LBB21_29
; %bb.27:
	s_clause 0x1
	s_load_b128 s[4:7], s[0:1], 0x4
	s_load_b64 s[2:3], s[0:1], 0xc4
	s_cmp_lt_u32 s35, 2
	s_waitcnt lgkmcnt(0)
	v_mul_hi_u32 v0, s5, v44
	s_delay_alu instid0(VALU_DEP_1) | instskip(NEXT) | instid1(VALU_DEP_1)
	v_add_nc_u32_e32 v0, v44, v0
	v_lshrrev_b32_e32 v3, s6, v0
	s_delay_alu instid0(VALU_DEP_1) | instskip(NEXT) | instid1(VALU_DEP_1)
	v_mul_lo_u32 v0, v3, s4
	v_sub_nc_u32_e32 v0, v44, v0
	s_delay_alu instid0(VALU_DEP_1)
	v_mul_lo_u32 v42, v0, s2
	v_mul_lo_u32 v0, v0, s3
	s_cbranch_scc1 .LBB21_29
; %bb.28:
	s_clause 0x1
	s_load_b128 s[4:7], s[0:1], 0x10
	s_load_b64 s[2:3], s[0:1], 0xcc
	s_waitcnt lgkmcnt(0)
	v_mul_hi_u32 v4, s5, v3
	s_delay_alu instid0(VALU_DEP_1) | instskip(NEXT) | instid1(VALU_DEP_1)
	v_add_nc_u32_e32 v4, v3, v4
	v_lshrrev_b32_e32 v4, s6, v4
	s_delay_alu instid0(VALU_DEP_1) | instskip(NEXT) | instid1(VALU_DEP_1)
	v_mul_lo_u32 v4, v4, s4
	v_sub_nc_u32_e32 v6, v3, v4
	s_delay_alu instid0(VALU_DEP_1) | instskip(SKIP_1) | instid1(VALU_DEP_2)
	v_mad_u64_u32 v[3:4], null, v6, s2, v[42:43]
	v_mad_u64_u32 v[4:5], null, v6, s3, v[0:1]
	v_mov_b32_e32 v42, v3
	s_delay_alu instid0(VALU_DEP_2)
	v_mov_b32_e32 v0, v4
.LBB21_29:
	v_cmp_ne_u32_e32 vcc_lo, 1, v2
	v_add_nc_u32_e32 v3, 0x80, v44
	s_cbranch_vccnz .LBB21_35
; %bb.30:
	v_mov_b32_e32 v43, 0
	v_mov_b32_e32 v57, 0
	s_cmp_lg_u32 s35, 0
	s_mov_b32 s6, 0
	s_cbranch_scc0 .LBB21_39
; %bb.31:
	s_min_u32 s7, s54, 15
	v_mov_b32_e32 v43, 0
	s_add_i32 s7, s7, 1
	s_cmp_eq_u32 s54, 2
	s_mov_b32 s8, 0
	s_cbranch_scc1 .LBB21_36
; %bb.32:
	v_dual_mov_b32 v57, 0 :: v_dual_mov_b32 v4, v3
	v_mov_b32_e32 v43, 0
	s_add_u32 s2, s0, 0xc4
	s_addc_u32 s3, s1, 0
	s_and_b32 s8, s7, 28
	s_mov_b32 s9, 0
	s_mov_b64 s[4:5], s[0:1]
.LBB21_33:                              ; =>This Inner Loop Header: Depth=1
	s_clause 0x1
	s_load_b256 s[12:19], s[4:5], 0x4
	s_load_b128 s[28:31], s[4:5], 0x24
	s_load_b256 s[20:27], s[2:3], 0x0
	s_add_u32 s4, s4, 48
	s_addc_u32 s5, s5, 0
	s_add_i32 s9, s9, 4
	s_add_u32 s2, s2, 32
	s_addc_u32 s3, s3, 0
	s_cmp_lg_u32 s8, s9
	s_waitcnt lgkmcnt(0)
	v_mul_hi_u32 v5, s13, v4
	s_delay_alu instid0(VALU_DEP_1) | instskip(NEXT) | instid1(VALU_DEP_1)
	v_add_nc_u32_e32 v5, v4, v5
	v_lshrrev_b32_e32 v5, s14, v5
	s_delay_alu instid0(VALU_DEP_1) | instskip(SKIP_1) | instid1(VALU_DEP_2)
	v_mul_hi_u32 v6, s16, v5
	v_mul_lo_u32 v8, v5, s12
	v_add_nc_u32_e32 v6, v5, v6
	s_delay_alu instid0(VALU_DEP_2) | instskip(NEXT) | instid1(VALU_DEP_2)
	v_sub_nc_u32_e32 v4, v4, v8
	v_lshrrev_b32_e32 v6, s17, v6
	s_delay_alu instid0(VALU_DEP_2) | instskip(SKIP_1) | instid1(VALU_DEP_3)
	v_mul_lo_u32 v8, v4, s20
	v_mul_lo_u32 v10, v4, s21
	v_mul_hi_u32 v7, s19, v6
	s_delay_alu instid0(VALU_DEP_1) | instskip(NEXT) | instid1(VALU_DEP_1)
	v_add_nc_u32_e32 v7, v6, v7
	v_lshrrev_b32_e32 v7, s28, v7
	s_delay_alu instid0(VALU_DEP_1) | instskip(SKIP_1) | instid1(VALU_DEP_2)
	v_mul_hi_u32 v9, s30, v7
	v_mul_lo_u32 v11, v7, s18
	v_add_nc_u32_e32 v4, v7, v9
	v_mul_lo_u32 v9, v6, s15
	s_delay_alu instid0(VALU_DEP_3) | instskip(NEXT) | instid1(VALU_DEP_3)
	v_sub_nc_u32_e32 v6, v6, v11
	v_lshrrev_b32_e32 v4, s31, v4
	s_delay_alu instid0(VALU_DEP_2) | instskip(SKIP_2) | instid1(VALU_DEP_4)
	v_mul_lo_u32 v11, v6, s24
	v_mul_lo_u32 v6, v6, s25
	v_sub_nc_u32_e32 v5, v5, v9
	v_mul_lo_u32 v12, v4, s29
	s_delay_alu instid0(VALU_DEP_2) | instskip(SKIP_1) | instid1(VALU_DEP_3)
	v_mul_lo_u32 v9, v5, s22
	v_mul_lo_u32 v5, v5, s23
	v_sub_nc_u32_e32 v7, v7, v12
	s_delay_alu instid0(VALU_DEP_3) | instskip(NEXT) | instid1(VALU_DEP_2)
	v_add3_u32 v8, v8, v43, v9
	v_mul_lo_u32 v12, v7, s26
	v_mul_lo_u32 v7, v7, s27
	v_add3_u32 v5, v10, v57, v5
	s_delay_alu instid0(VALU_DEP_3) | instskip(NEXT) | instid1(VALU_DEP_2)
	v_add3_u32 v43, v11, v8, v12
	v_add3_u32 v57, v6, v5, v7
	s_cbranch_scc1 .LBB21_33
; %bb.34:
	s_and_b32 s7, s7, 3
	s_delay_alu instid0(SALU_CYCLE_1)
	s_cmp_eq_u32 s7, 0
	s_cbranch_scc0 .LBB21_37
	s_branch .LBB21_39
.LBB21_35:
	s_mov_b32 s6, -1
                                        ; implicit-def: $vgpr43
                                        ; implicit-def: $vgpr57
	s_branch .LBB21_39
.LBB21_36:
	v_dual_mov_b32 v4, v3 :: v_dual_mov_b32 v57, 0
	s_and_b32 s7, s7, 3
	s_delay_alu instid0(SALU_CYCLE_1)
	s_cmp_eq_u32 s7, 0
	s_cbranch_scc1 .LBB21_39
.LBB21_37:
	s_lshl_b32 s2, s8, 3
	s_mul_i32 s4, s8, 12
	s_add_u32 s2, s2, s0
	s_addc_u32 s3, 0, s1
	s_add_u32 s2, s2, 0xc4
	s_addc_u32 s3, s3, 0
	;; [unrolled: 2-line block ×3, first 2 shown]
	.p2align	6
.LBB21_38:                              ; =>This Inner Loop Header: Depth=1
	s_clause 0x1
	s_load_b64 s[8:9], s[4:5], 0x4
	s_load_b32 s12, s[4:5], 0xc
	s_load_b64 s[10:11], s[2:3], 0x0
	s_add_u32 s4, s4, 12
	s_addc_u32 s5, s5, 0
	s_add_u32 s2, s2, 8
	s_addc_u32 s3, s3, 0
	s_add_i32 s7, s7, -1
	s_delay_alu instid0(SALU_CYCLE_1) | instskip(SKIP_2) | instid1(VALU_DEP_1)
	s_cmp_lg_u32 s7, 0
	s_waitcnt lgkmcnt(0)
	v_mul_hi_u32 v5, s9, v4
	v_add_nc_u32_e32 v5, v4, v5
	s_delay_alu instid0(VALU_DEP_1) | instskip(NEXT) | instid1(VALU_DEP_1)
	v_lshrrev_b32_e32 v8, s12, v5
	v_mul_lo_u32 v5, v8, s8
	s_delay_alu instid0(VALU_DEP_1) | instskip(NEXT) | instid1(VALU_DEP_1)
	v_sub_nc_u32_e32 v4, v4, v5
	v_mad_u64_u32 v[5:6], null, v4, s10, v[43:44]
	v_mad_u64_u32 v[6:7], null, v4, s11, v[57:58]
	s_delay_alu instid0(VALU_DEP_2) | instskip(NEXT) | instid1(VALU_DEP_2)
	v_dual_mov_b32 v4, v8 :: v_dual_mov_b32 v43, v5
	v_mov_b32_e32 v57, v6
	s_cbranch_scc1 .LBB21_38
.LBB21_39:
	s_and_not1_b32 vcc_lo, exec_lo, s6
	s_cbranch_vccnz .LBB21_42
; %bb.40:
	s_clause 0x1
	s_load_b128 s[4:7], s[0:1], 0x4
	s_load_b64 s[2:3], s[0:1], 0xc4
	s_cmp_lt_u32 s35, 2
	s_waitcnt lgkmcnt(0)
	v_mul_hi_u32 v4, s5, v3
	s_delay_alu instid0(VALU_DEP_1) | instskip(NEXT) | instid1(VALU_DEP_1)
	v_add_nc_u32_e32 v4, v3, v4
	v_lshrrev_b32_e32 v4, s6, v4
	s_delay_alu instid0(VALU_DEP_1) | instskip(NEXT) | instid1(VALU_DEP_1)
	v_mul_lo_u32 v5, v4, s4
	v_sub_nc_u32_e32 v3, v3, v5
	s_delay_alu instid0(VALU_DEP_1)
	v_mul_lo_u32 v43, v3, s2
	v_mul_lo_u32 v57, v3, s3
	s_cbranch_scc1 .LBB21_42
; %bb.41:
	s_clause 0x1
	s_load_b128 s[4:7], s[0:1], 0x10
	s_load_b64 s[2:3], s[0:1], 0xcc
	s_waitcnt lgkmcnt(0)
	v_mul_hi_u32 v3, s5, v4
	s_delay_alu instid0(VALU_DEP_1) | instskip(NEXT) | instid1(VALU_DEP_1)
	v_add_nc_u32_e32 v3, v4, v3
	v_lshrrev_b32_e32 v3, s6, v3
	s_delay_alu instid0(VALU_DEP_1) | instskip(NEXT) | instid1(VALU_DEP_1)
	v_mul_lo_u32 v3, v3, s4
	v_sub_nc_u32_e32 v6, v4, v3
	s_delay_alu instid0(VALU_DEP_1) | instskip(SKIP_1) | instid1(VALU_DEP_2)
	v_mad_u64_u32 v[3:4], null, v6, s2, v[43:44]
	v_mad_u64_u32 v[4:5], null, v6, s3, v[57:58]
	v_mov_b32_e32 v43, v3
	s_delay_alu instid0(VALU_DEP_2)
	v_mov_b32_e32 v57, v4
.LBB21_42:
	v_cmp_ne_u32_e32 vcc_lo, 1, v2
	v_add_nc_u32_e32 v3, 0x100, v44
	s_cbranch_vccnz .LBB21_48
; %bb.43:
	v_mov_b32_e32 v44, 0
	v_mov_b32_e32 v56, 0
	s_cmp_lg_u32 s35, 0
	s_mov_b32 s6, 0
	s_cbranch_scc0 .LBB21_52
; %bb.44:
	s_min_u32 s7, s54, 15
	v_mov_b32_e32 v44, 0
	s_add_i32 s7, s7, 1
	s_cmp_eq_u32 s54, 2
	s_mov_b32 s8, 0
	s_cbranch_scc1 .LBB21_49
; %bb.45:
	v_mov_b32_e32 v56, 0
	v_mov_b32_e32 v44, 0
	;; [unrolled: 1-line block ×3, first 2 shown]
	s_add_u32 s2, s0, 0xc4
	s_addc_u32 s3, s1, 0
	s_and_b32 s8, s7, 28
	s_mov_b32 s9, 0
	s_mov_b64 s[4:5], s[0:1]
.LBB21_46:                              ; =>This Inner Loop Header: Depth=1
	s_clause 0x1
	s_load_b256 s[12:19], s[4:5], 0x4
	s_load_b128 s[28:31], s[4:5], 0x24
	s_load_b256 s[20:27], s[2:3], 0x0
	s_add_u32 s4, s4, 48
	s_addc_u32 s5, s5, 0
	s_add_i32 s9, s9, 4
	s_add_u32 s2, s2, 32
	s_addc_u32 s3, s3, 0
	s_cmp_lg_u32 s8, s9
	s_waitcnt lgkmcnt(0)
	v_mul_hi_u32 v5, s13, v4
	s_delay_alu instid0(VALU_DEP_1) | instskip(NEXT) | instid1(VALU_DEP_1)
	v_add_nc_u32_e32 v5, v4, v5
	v_lshrrev_b32_e32 v5, s14, v5
	s_delay_alu instid0(VALU_DEP_1) | instskip(SKIP_1) | instid1(VALU_DEP_2)
	v_mul_hi_u32 v6, s16, v5
	v_mul_lo_u32 v8, v5, s12
	v_add_nc_u32_e32 v6, v5, v6
	s_delay_alu instid0(VALU_DEP_2) | instskip(NEXT) | instid1(VALU_DEP_2)
	v_sub_nc_u32_e32 v4, v4, v8
	v_lshrrev_b32_e32 v6, s17, v6
	s_delay_alu instid0(VALU_DEP_2) | instskip(SKIP_1) | instid1(VALU_DEP_3)
	v_mul_lo_u32 v8, v4, s20
	v_mul_lo_u32 v10, v4, s21
	v_mul_hi_u32 v7, s19, v6
	s_delay_alu instid0(VALU_DEP_1) | instskip(NEXT) | instid1(VALU_DEP_1)
	v_add_nc_u32_e32 v7, v6, v7
	v_lshrrev_b32_e32 v7, s28, v7
	s_delay_alu instid0(VALU_DEP_1) | instskip(SKIP_1) | instid1(VALU_DEP_2)
	v_mul_hi_u32 v9, s30, v7
	v_mul_lo_u32 v11, v7, s18
	v_add_nc_u32_e32 v4, v7, v9
	v_mul_lo_u32 v9, v6, s15
	s_delay_alu instid0(VALU_DEP_3) | instskip(NEXT) | instid1(VALU_DEP_3)
	v_sub_nc_u32_e32 v6, v6, v11
	v_lshrrev_b32_e32 v4, s31, v4
	s_delay_alu instid0(VALU_DEP_2) | instskip(SKIP_2) | instid1(VALU_DEP_4)
	v_mul_lo_u32 v11, v6, s24
	v_mul_lo_u32 v6, v6, s25
	v_sub_nc_u32_e32 v5, v5, v9
	v_mul_lo_u32 v12, v4, s29
	s_delay_alu instid0(VALU_DEP_2) | instskip(SKIP_1) | instid1(VALU_DEP_3)
	v_mul_lo_u32 v9, v5, s22
	v_mul_lo_u32 v5, v5, s23
	v_sub_nc_u32_e32 v7, v7, v12
	s_delay_alu instid0(VALU_DEP_3) | instskip(NEXT) | instid1(VALU_DEP_2)
	v_add3_u32 v8, v8, v44, v9
	v_mul_lo_u32 v12, v7, s26
	v_mul_lo_u32 v7, v7, s27
	v_add3_u32 v5, v10, v56, v5
	s_delay_alu instid0(VALU_DEP_3) | instskip(NEXT) | instid1(VALU_DEP_2)
	v_add3_u32 v44, v11, v8, v12
	v_add3_u32 v56, v6, v5, v7
	s_cbranch_scc1 .LBB21_46
; %bb.47:
	s_and_b32 s7, s7, 3
	s_delay_alu instid0(SALU_CYCLE_1)
	s_cmp_eq_u32 s7, 0
	s_cbranch_scc0 .LBB21_50
	s_branch .LBB21_52
.LBB21_48:
	s_mov_b32 s6, -1
                                        ; implicit-def: $vgpr44
                                        ; implicit-def: $vgpr56
	s_branch .LBB21_52
.LBB21_49:
	v_mov_b32_e32 v4, v3
	v_mov_b32_e32 v56, 0
	s_and_b32 s7, s7, 3
	s_delay_alu instid0(SALU_CYCLE_1)
	s_cmp_eq_u32 s7, 0
	s_cbranch_scc1 .LBB21_52
.LBB21_50:
	s_lshl_b32 s2, s8, 3
	s_mul_i32 s4, s8, 12
	s_add_u32 s2, s2, s0
	s_addc_u32 s3, 0, s1
	s_add_u32 s2, s2, 0xc4
	s_addc_u32 s3, s3, 0
	s_add_u32 s4, s0, s4
	s_addc_u32 s5, 0, s1
	.p2align	6
.LBB21_51:                              ; =>This Inner Loop Header: Depth=1
	s_clause 0x1
	s_load_b64 s[8:9], s[4:5], 0x4
	s_load_b32 s12, s[4:5], 0xc
	s_load_b64 s[10:11], s[2:3], 0x0
	s_add_u32 s4, s4, 12
	s_addc_u32 s5, s5, 0
	s_add_u32 s2, s2, 8
	s_addc_u32 s3, s3, 0
	s_add_i32 s7, s7, -1
	s_delay_alu instid0(SALU_CYCLE_1) | instskip(SKIP_2) | instid1(VALU_DEP_1)
	s_cmp_lg_u32 s7, 0
	s_waitcnt lgkmcnt(0)
	v_mul_hi_u32 v5, s9, v4
	v_add_nc_u32_e32 v5, v4, v5
	s_delay_alu instid0(VALU_DEP_1) | instskip(NEXT) | instid1(VALU_DEP_1)
	v_lshrrev_b32_e32 v8, s12, v5
	v_mul_lo_u32 v5, v8, s8
	s_delay_alu instid0(VALU_DEP_1) | instskip(NEXT) | instid1(VALU_DEP_1)
	v_sub_nc_u32_e32 v4, v4, v5
	v_mad_u64_u32 v[5:6], null, v4, s10, v[44:45]
	v_mad_u64_u32 v[6:7], null, v4, s11, v[56:57]
	v_mov_b32_e32 v4, v8
	s_delay_alu instid0(VALU_DEP_3) | instskip(NEXT) | instid1(VALU_DEP_3)
	v_mov_b32_e32 v44, v5
	v_mov_b32_e32 v56, v6
	s_cbranch_scc1 .LBB21_51
.LBB21_52:
	s_and_not1_b32 vcc_lo, exec_lo, s6
	s_cbranch_vccnz .LBB21_55
; %bb.53:
	s_clause 0x1
	s_load_b128 s[4:7], s[0:1], 0x4
	s_load_b64 s[2:3], s[0:1], 0xc4
	s_cmp_lt_u32 s35, 2
	s_waitcnt lgkmcnt(0)
	v_mul_hi_u32 v4, s5, v3
	s_delay_alu instid0(VALU_DEP_1) | instskip(NEXT) | instid1(VALU_DEP_1)
	v_add_nc_u32_e32 v4, v3, v4
	v_lshrrev_b32_e32 v4, s6, v4
	s_delay_alu instid0(VALU_DEP_1) | instskip(NEXT) | instid1(VALU_DEP_1)
	v_mul_lo_u32 v5, v4, s4
	v_sub_nc_u32_e32 v3, v3, v5
	s_delay_alu instid0(VALU_DEP_1)
	v_mul_lo_u32 v44, v3, s2
	v_mul_lo_u32 v56, v3, s3
	s_cbranch_scc1 .LBB21_55
; %bb.54:
	s_clause 0x1
	s_load_b128 s[4:7], s[0:1], 0x10
	s_load_b64 s[2:3], s[0:1], 0xcc
	s_waitcnt lgkmcnt(0)
	v_mul_hi_u32 v3, s5, v4
	s_delay_alu instid0(VALU_DEP_1) | instskip(NEXT) | instid1(VALU_DEP_1)
	v_add_nc_u32_e32 v3, v4, v3
	v_lshrrev_b32_e32 v3, s6, v3
	s_delay_alu instid0(VALU_DEP_1) | instskip(NEXT) | instid1(VALU_DEP_1)
	v_mul_lo_u32 v3, v3, s4
	v_sub_nc_u32_e32 v6, v4, v3
	s_delay_alu instid0(VALU_DEP_1) | instskip(SKIP_1) | instid1(VALU_DEP_2)
	v_mad_u64_u32 v[3:4], null, v6, s2, v[44:45]
	v_mad_u64_u32 v[4:5], null, v6, s3, v[56:57]
	v_mov_b32_e32 v44, v3
	s_delay_alu instid0(VALU_DEP_2)
	v_mov_b32_e32 v56, v4
.LBB21_55:
	v_cmp_ne_u32_e32 vcc_lo, 1, v2
	s_cbranch_vccnz .LBB21_61
; %bb.56:
	v_dual_mov_b32 v45, 0 :: v_dual_mov_b32 v46, 0
	s_cmp_lg_u32 s35, 0
	s_mov_b32 s6, 0
	s_cbranch_scc0 .LBB21_65
; %bb.57:
	s_min_u32 s7, s54, 15
	v_mov_b32_e32 v45, 0
	s_add_i32 s7, s7, 1
	s_cmp_eq_u32 s54, 2
	s_mov_b32 s8, 0
	s_cbranch_scc1 .LBB21_62
; %bb.58:
	v_dual_mov_b32 v46, 0 :: v_dual_mov_b32 v45, 0
	v_mov_b32_e32 v2, v1
	s_add_u32 s2, s0, 0xc4
	s_addc_u32 s3, s1, 0
	s_and_b32 s8, s7, 28
	s_mov_b32 s9, 0
	s_mov_b64 s[4:5], s[0:1]
.LBB21_59:                              ; =>This Inner Loop Header: Depth=1
	s_clause 0x1
	s_load_b256 s[12:19], s[4:5], 0x4
	s_load_b128 s[28:31], s[4:5], 0x24
	s_load_b256 s[20:27], s[2:3], 0x0
	s_add_u32 s4, s4, 48
	s_addc_u32 s5, s5, 0
	s_add_i32 s9, s9, 4
	s_add_u32 s2, s2, 32
	s_addc_u32 s3, s3, 0
	s_cmp_lg_u32 s8, s9
	s_waitcnt lgkmcnt(0)
	v_mul_hi_u32 v3, s13, v2
	s_delay_alu instid0(VALU_DEP_1) | instskip(NEXT) | instid1(VALU_DEP_1)
	v_add_nc_u32_e32 v3, v2, v3
	v_lshrrev_b32_e32 v3, s14, v3
	s_delay_alu instid0(VALU_DEP_1) | instskip(SKIP_1) | instid1(VALU_DEP_2)
	v_mul_hi_u32 v4, s16, v3
	v_mul_lo_u32 v6, v3, s12
	v_add_nc_u32_e32 v4, v3, v4
	s_delay_alu instid0(VALU_DEP_2) | instskip(NEXT) | instid1(VALU_DEP_2)
	v_sub_nc_u32_e32 v2, v2, v6
	v_lshrrev_b32_e32 v4, s17, v4
	s_delay_alu instid0(VALU_DEP_2) | instskip(SKIP_1) | instid1(VALU_DEP_3)
	v_mul_lo_u32 v6, v2, s20
	v_mul_lo_u32 v8, v2, s21
	v_mul_hi_u32 v5, s19, v4
	s_delay_alu instid0(VALU_DEP_1) | instskip(NEXT) | instid1(VALU_DEP_1)
	v_add_nc_u32_e32 v5, v4, v5
	v_lshrrev_b32_e32 v5, s28, v5
	s_delay_alu instid0(VALU_DEP_1) | instskip(SKIP_1) | instid1(VALU_DEP_2)
	v_mul_hi_u32 v7, s30, v5
	v_mul_lo_u32 v9, v5, s18
	v_add_nc_u32_e32 v2, v5, v7
	v_mul_lo_u32 v7, v4, s15
	s_delay_alu instid0(VALU_DEP_3) | instskip(NEXT) | instid1(VALU_DEP_3)
	v_sub_nc_u32_e32 v4, v4, v9
	v_lshrrev_b32_e32 v2, s31, v2
	s_delay_alu instid0(VALU_DEP_2) | instskip(SKIP_2) | instid1(VALU_DEP_4)
	v_mul_lo_u32 v9, v4, s24
	v_mul_lo_u32 v4, v4, s25
	v_sub_nc_u32_e32 v3, v3, v7
	v_mul_lo_u32 v10, v2, s29
	s_delay_alu instid0(VALU_DEP_2) | instskip(SKIP_1) | instid1(VALU_DEP_3)
	v_mul_lo_u32 v7, v3, s22
	v_mul_lo_u32 v3, v3, s23
	v_sub_nc_u32_e32 v5, v5, v10
	s_delay_alu instid0(VALU_DEP_3) | instskip(NEXT) | instid1(VALU_DEP_2)
	v_add3_u32 v6, v6, v45, v7
	v_mul_lo_u32 v10, v5, s26
	v_mul_lo_u32 v5, v5, s27
	v_add3_u32 v3, v8, v46, v3
	s_delay_alu instid0(VALU_DEP_3) | instskip(NEXT) | instid1(VALU_DEP_2)
	v_add3_u32 v45, v9, v6, v10
	v_add3_u32 v46, v4, v3, v5
	s_cbranch_scc1 .LBB21_59
; %bb.60:
	s_and_b32 s7, s7, 3
	s_delay_alu instid0(SALU_CYCLE_1)
	s_cmp_eq_u32 s7, 0
	s_cbranch_scc0 .LBB21_63
	s_branch .LBB21_65
.LBB21_61:
	s_mov_b32 s6, -1
                                        ; implicit-def: $vgpr45
                                        ; implicit-def: $vgpr46
	s_branch .LBB21_65
.LBB21_62:
	v_mov_b32_e32 v2, v1
	v_mov_b32_e32 v46, 0
	s_and_b32 s7, s7, 3
	s_delay_alu instid0(SALU_CYCLE_1)
	s_cmp_eq_u32 s7, 0
	s_cbranch_scc1 .LBB21_65
.LBB21_63:
	s_lshl_b32 s2, s8, 3
	s_mul_i32 s4, s8, 12
	s_add_u32 s2, s2, s0
	s_addc_u32 s3, 0, s1
	s_add_u32 s2, s2, 0xc4
	s_addc_u32 s3, s3, 0
	;; [unrolled: 2-line block ×3, first 2 shown]
	.p2align	6
.LBB21_64:                              ; =>This Inner Loop Header: Depth=1
	s_clause 0x1
	s_load_b64 s[8:9], s[4:5], 0x4
	s_load_b32 s12, s[4:5], 0xc
	s_load_b64 s[10:11], s[2:3], 0x0
	s_add_u32 s4, s4, 12
	s_addc_u32 s5, s5, 0
	s_add_u32 s2, s2, 8
	s_addc_u32 s3, s3, 0
	s_add_i32 s7, s7, -1
	s_delay_alu instid0(SALU_CYCLE_1) | instskip(SKIP_2) | instid1(VALU_DEP_1)
	s_cmp_lg_u32 s7, 0
	s_waitcnt lgkmcnt(0)
	v_mul_hi_u32 v3, s9, v2
	v_add_nc_u32_e32 v3, v2, v3
	s_delay_alu instid0(VALU_DEP_1) | instskip(NEXT) | instid1(VALU_DEP_1)
	v_lshrrev_b32_e32 v6, s12, v3
	v_mul_lo_u32 v3, v6, s8
	s_delay_alu instid0(VALU_DEP_1) | instskip(NEXT) | instid1(VALU_DEP_1)
	v_sub_nc_u32_e32 v2, v2, v3
	v_mad_u64_u32 v[3:4], null, v2, s10, v[45:46]
	v_mad_u64_u32 v[4:5], null, v2, s11, v[46:47]
	s_delay_alu instid0(VALU_DEP_2) | instskip(NEXT) | instid1(VALU_DEP_2)
	v_dual_mov_b32 v2, v6 :: v_dual_mov_b32 v45, v3
	v_mov_b32_e32 v46, v4
	s_cbranch_scc1 .LBB21_64
.LBB21_65:
	s_and_not1_b32 vcc_lo, exec_lo, s6
	s_cbranch_vccnz .LBB21_68
; %bb.66:
	s_clause 0x1
	s_load_b128 s[4:7], s[0:1], 0x4
	s_load_b64 s[2:3], s[0:1], 0xc4
	s_cmp_lt_u32 s35, 2
	s_waitcnt lgkmcnt(0)
	v_mul_hi_u32 v2, s5, v1
	s_delay_alu instid0(VALU_DEP_1) | instskip(NEXT) | instid1(VALU_DEP_1)
	v_add_nc_u32_e32 v2, v1, v2
	v_lshrrev_b32_e32 v2, s6, v2
	s_delay_alu instid0(VALU_DEP_1) | instskip(NEXT) | instid1(VALU_DEP_1)
	v_mul_lo_u32 v3, v2, s4
	v_sub_nc_u32_e32 v1, v1, v3
	s_delay_alu instid0(VALU_DEP_1)
	v_mul_lo_u32 v45, v1, s2
	v_mul_lo_u32 v46, v1, s3
	s_cbranch_scc1 .LBB21_68
; %bb.67:
	s_clause 0x1
	s_load_b128 s[4:7], s[0:1], 0x10
	s_load_b64 s[2:3], s[0:1], 0xcc
	s_waitcnt lgkmcnt(0)
	v_mul_hi_u32 v1, s5, v2
	s_delay_alu instid0(VALU_DEP_1) | instskip(NEXT) | instid1(VALU_DEP_1)
	v_add_nc_u32_e32 v1, v2, v1
	v_lshrrev_b32_e32 v1, s6, v1
	s_delay_alu instid0(VALU_DEP_1) | instskip(NEXT) | instid1(VALU_DEP_1)
	v_mul_lo_u32 v1, v1, s4
	v_sub_nc_u32_e32 v4, v2, v1
	s_delay_alu instid0(VALU_DEP_1) | instskip(SKIP_1) | instid1(VALU_DEP_1)
	v_mad_u64_u32 v[1:2], null, v4, s2, v[45:46]
	v_mad_u64_u32 v[2:3], null, v4, s3, v[46:47]
	v_dual_mov_b32 v45, v1 :: v_dual_mov_b32 v46, v2
.LBB21_68:
	s_waitcnt lgkmcnt(0)
	s_load_b128 s[36:39], s[0:1], 0x148
                                        ; implicit-def: $vgpr47
	s_mov_b32 s0, exec_lo
	s_waitcnt lgkmcnt(0)
	global_load_b32 v41, v0, s[38:39]
	s_waitcnt vmcnt(0)
	v_cmpx_ge_f32_e32 0x40a00000, v41
	s_xor_b32 s35, exec_lo, s0
	s_cbranch_execz .LBB21_74
; %bb.69:
	v_mov_b32_e32 v47, 0xff800000
	s_mov_b32 s40, exec_lo
	v_cmpx_neq_f32_e32 0, v41
	s_cbranch_execz .LBB21_73
; %bb.70:
	v_mov_b32_e32 v47, 0x7fc00000
	s_mov_b32 s41, exec_lo
	v_cmpx_nge_f32_e32 0, v41
	s_cbranch_execz .LBB21_72
; %bb.71:
	v_mul_f32_e32 v0, v41, v41
	s_getpc_b64 s[0:1]
	s_add_u32 s0, s0, _Z17bessel_j1_forwardIfET_S0_@rel32@lo+4
	s_addc_u32 s1, s1, _Z17bessel_j1_forwardIfET_S0_@rel32@hi+12
	s_delay_alu instid0(VALU_DEP_1) | instskip(SKIP_1) | instid1(VALU_DEP_2)
	v_fmaak_f32 v1, 0, v0, 0x4414934d
	v_fmaak_f32 v2, 0, v0, 0x4e9695f3
	;; [unrolled: 1-line block ×3, first 2 shown]
	s_delay_alu instid0(VALU_DEP_2) | instskip(NEXT) | instid1(VALU_DEP_2)
	v_fmaak_f32 v2, v0, v2, 0xd316b96b
	v_fmaak_f32 v1, v0, v1, 0x4c8c277d
	s_delay_alu instid0(VALU_DEP_2) | instskip(NEXT) | instid1(VALU_DEP_2)
	v_fmaak_f32 v2, v0, v2, 0x56d04aa6
	v_fmaak_f32 v1, v0, v1, 0x508bc61d
	;; [unrolled: 3-line block ×5, first 2 shown]
	s_delay_alu instid0(VALU_DEP_1) | instskip(NEXT) | instid1(VALU_DEP_1)
	v_fmaak_f32 v0, v0, v1, 0x5e5c878d
	v_div_scale_f32 v1, null, v0, v0, v2
	v_div_scale_f32 v5, vcc_lo, v2, v0, v2
	s_delay_alu instid0(VALU_DEP_2) | instskip(SKIP_2) | instid1(VALU_DEP_1)
	v_rcp_f32_e32 v3, v1
	s_waitcnt_depctr 0xfff
	v_fma_f32 v4, -v1, v3, 1.0
	v_fmac_f32_e32 v3, v4, v3
	s_delay_alu instid0(VALU_DEP_1) | instskip(NEXT) | instid1(VALU_DEP_1)
	v_mul_f32_e32 v4, v5, v3
	v_fma_f32 v6, -v1, v4, v5
	s_delay_alu instid0(VALU_DEP_1) | instskip(NEXT) | instid1(VALU_DEP_1)
	v_fmac_f32_e32 v4, v6, v3
	v_fma_f32 v1, -v1, v4, v5
	s_delay_alu instid0(VALU_DEP_1) | instskip(NEXT) | instid1(VALU_DEP_1)
	v_div_fmas_f32 v1, v1, v3, v4
	v_div_fixup_f32 v58, v1, v0, v2
	v_mov_b32_e32 v0, v41
	s_swappc_b64 s[30:31], s[0:1]
	v_div_scale_f32 v1, null, v41, v41, -1.0
	v_cmp_gt_f32_e32 vcc_lo, 0x800000, v41
	v_div_scale_f32 v5, s0, -1.0, v41, -1.0
	s_delay_alu instid0(VALU_DEP_3) | instskip(SKIP_3) | instid1(VALU_DEP_1)
	v_rcp_f32_e32 v3, v1
	v_cndmask_b32_e64 v2, 1.0, 0x4f800000, vcc_lo
	s_waitcnt_depctr 0xfff
	v_fma_f32 v4, -v1, v3, 1.0
	v_dual_mul_f32 v2, v41, v2 :: v_dual_fmac_f32 v3, v4, v3
	s_delay_alu instid0(VALU_DEP_1) | instskip(SKIP_3) | instid1(VALU_DEP_2)
	v_log_f32_e32 v2, v2
	s_waitcnt_depctr 0xfff
	v_mul_f32_e32 v4, 0x3f317217, v2
	v_cmp_gt_f32_e64 s1, 0x7f800000, |v2|
	v_fma_f32 v7, 0x3f317217, v2, -v4
	s_delay_alu instid0(VALU_DEP_1) | instskip(NEXT) | instid1(VALU_DEP_1)
	v_dual_mul_f32 v6, v5, v3 :: v_dual_fmamk_f32 v7, v2, 0x3377d1cf, v7
	v_fma_f32 v8, -v1, v6, v5
	s_delay_alu instid0(VALU_DEP_2) | instskip(NEXT) | instid1(VALU_DEP_2)
	v_add_f32_e32 v4, v4, v7
	v_fmac_f32_e32 v6, v8, v3
	s_delay_alu instid0(VALU_DEP_2) | instskip(NEXT) | instid1(VALU_DEP_2)
	v_cndmask_b32_e64 v2, v2, v4, s1
	v_fma_f32 v1, -v1, v6, v5
	v_cndmask_b32_e64 v4, 0, 0x41b17218, vcc_lo
	s_mov_b32 vcc_lo, s0
	s_delay_alu instid0(VALU_DEP_2) | instskip(NEXT) | instid1(VALU_DEP_2)
	v_div_fmas_f32 v1, v1, v3, v6
	v_sub_f32_e32 v2, v2, v4
	s_delay_alu instid0(VALU_DEP_2) | instskip(NEXT) | instid1(VALU_DEP_1)
	v_div_fixup_f32 v1, v1, v41, -1.0
	v_fmac_f32_e32 v1, v2, v0
	s_delay_alu instid0(VALU_DEP_1) | instskip(NEXT) | instid1(VALU_DEP_1)
	v_mul_f32_e32 v47, 0x3f22f983, v1
	v_fmac_f32_e32 v47, v41, v58
.LBB21_72:
	s_or_b32 exec_lo, exec_lo, s41
.LBB21_73:
	s_delay_alu instid0(SALU_CYCLE_1)
	s_or_b32 exec_lo, exec_lo, s40
                                        ; implicit-def: $vgpr41
.LBB21_74:
	s_and_not1_saveexec_b32 s3, s35
	s_cbranch_execz .LBB21_84
; %bb.75:
	v_add_f32_e32 v0, 0xc016cbe4, v41
                                        ; implicit-def: $vgpr3
                                        ; implicit-def: $vgpr2
	s_delay_alu instid0(VALU_DEP_1) | instskip(SKIP_1) | instid1(VALU_DEP_2)
	v_and_b32_e32 v1, 0x7fffffff, v0
	v_cmp_ngt_f32_e64 s4, 0x48000000, |v0|
	v_lshrrev_b32_e32 v5, 23, v1
	s_delay_alu instid0(VALU_DEP_2) | instskip(NEXT) | instid1(SALU_CYCLE_1)
	s_and_saveexec_b32 s0, s4
	s_xor_b32 s5, exec_lo, s0
	s_cbranch_execz .LBB21_77
; %bb.76:
	s_mov_b32 s0, 0x7fffff
	v_mov_b32_e32 v4, 0
	v_and_or_b32 v13, v1, s0, 0x800000
	v_add_nc_u32_e32 v11, 0xffffff88, v5
	s_delay_alu instid0(VALU_DEP_2) | instskip(NEXT) | instid1(VALU_DEP_2)
	v_mad_u64_u32 v[2:3], null, 0xfe5163ab, v13, 0
	v_cmp_lt_u32_e32 vcc_lo, 63, v11
	v_cndmask_b32_e64 v12, 0, 0xffffffc0, vcc_lo
	s_delay_alu instid0(VALU_DEP_3) | instskip(NEXT) | instid1(VALU_DEP_1)
	v_mad_u64_u32 v[6:7], null, 0x3c439041, v13, v[3:4]
	v_dual_mov_b32 v3, v7 :: v_dual_add_nc_u32 v12, v12, v11
	s_delay_alu instid0(VALU_DEP_1) | instskip(NEXT) | instid1(VALU_DEP_2)
	v_cmp_lt_u32_e64 s0, 31, v12
	v_mad_u64_u32 v[7:8], null, 0xdb629599, v13, v[3:4]
	s_delay_alu instid0(VALU_DEP_2) | instskip(NEXT) | instid1(VALU_DEP_1)
	v_cndmask_b32_e64 v14, 0, 0xffffffe0, s0
	v_dual_mov_b32 v3, v8 :: v_dual_add_nc_u32 v14, v14, v12
	s_delay_alu instid0(VALU_DEP_3) | instskip(NEXT) | instid1(VALU_DEP_2)
	v_cndmask_b32_e32 v2, v7, v2, vcc_lo
	v_cmp_lt_u32_e64 s1, 31, v14
	s_delay_alu instid0(VALU_DEP_3) | instskip(NEXT) | instid1(VALU_DEP_1)
	v_mad_u64_u32 v[8:9], null, 0xf534ddc0, v13, v[3:4]
	v_dual_mov_b32 v3, v9 :: v_dual_cndmask_b32 v6, v8, v6
	s_delay_alu instid0(VALU_DEP_1) | instskip(NEXT) | instid1(VALU_DEP_2)
	v_mad_u64_u32 v[9:10], null, 0xfc2757d1, v13, v[3:4]
	v_cndmask_b32_e64 v2, v6, v2, s0
	s_delay_alu instid0(VALU_DEP_2) | instskip(NEXT) | instid1(VALU_DEP_1)
	v_mov_b32_e32 v3, v10
	v_mad_u64_u32 v[10:11], null, 0x4e441529, v13, v[3:4]
	s_delay_alu instid0(VALU_DEP_1) | instskip(NEXT) | instid1(VALU_DEP_1)
	v_mov_b32_e32 v3, v11
	v_mad_u64_u32 v[11:12], null, 0xa2f9836e, v13, v[3:4]
	v_cndmask_b32_e64 v3, 0, 0xffffffe0, s1
	s_delay_alu instid0(VALU_DEP_1) | instskip(NEXT) | instid1(VALU_DEP_3)
	v_dual_cndmask_b32 v4, v10, v8 :: v_dual_add_nc_u32 v3, v3, v14
	v_dual_cndmask_b32 v11, v11, v9 :: v_dual_cndmask_b32 v10, v12, v10
	v_cndmask_b32_e32 v9, v9, v7, vcc_lo
	s_delay_alu instid0(VALU_DEP_3) | instskip(NEXT) | instid1(VALU_DEP_3)
	v_cmp_eq_u32_e64 s2, 0, v3
	v_cndmask_b32_e64 v8, v11, v4, s0
	s_delay_alu instid0(VALU_DEP_4) | instskip(NEXT) | instid1(VALU_DEP_4)
	v_cndmask_b32_e64 v10, v10, v11, s0
	v_cndmask_b32_e64 v4, v4, v9, s0
	v_sub_nc_u32_e32 v11, 32, v3
	v_cndmask_b32_e64 v9, v9, v6, s0
	s_delay_alu instid0(VALU_DEP_4) | instskip(NEXT) | instid1(VALU_DEP_4)
	v_cndmask_b32_e64 v10, v10, v8, s1
	v_cndmask_b32_e64 v8, v8, v4, s1
	s_delay_alu instid0(VALU_DEP_3) | instskip(SKIP_1) | instid1(VALU_DEP_3)
	v_cndmask_b32_e64 v4, v4, v9, s1
	v_cndmask_b32_e64 v2, v9, v2, s1
	v_alignbit_b32 v12, v10, v8, v11
	s_delay_alu instid0(VALU_DEP_3) | instskip(NEXT) | instid1(VALU_DEP_3)
	v_alignbit_b32 v13, v8, v4, v11
	v_alignbit_b32 v11, v4, v2, v11
	s_delay_alu instid0(VALU_DEP_3) | instskip(NEXT) | instid1(VALU_DEP_3)
	v_cndmask_b32_e64 v3, v12, v10, s2
	v_cndmask_b32_e64 v7, v13, v8, s2
	s_delay_alu instid0(VALU_DEP_3) | instskip(NEXT) | instid1(VALU_DEP_3)
	v_cndmask_b32_e64 v4, v11, v4, s2
	v_bfe_u32 v8, v3, 29, 1
	s_delay_alu instid0(VALU_DEP_3) | instskip(NEXT) | instid1(VALU_DEP_3)
	v_alignbit_b32 v6, v3, v7, 30
	v_alignbit_b32 v7, v7, v4, 30
	;; [unrolled: 1-line block ×3, first 2 shown]
	s_delay_alu instid0(VALU_DEP_4) | instskip(NEXT) | instid1(VALU_DEP_1)
	v_sub_nc_u32_e32 v10, 0, v8
	v_xor_b32_e32 v9, v6, v10
	v_cmp_ne_u32_e32 vcc_lo, v6, v10
	v_xor_b32_e32 v4, v7, v10
	v_xor_b32_e32 v2, v2, v10
	s_delay_alu instid0(VALU_DEP_4) | instskip(NEXT) | instid1(VALU_DEP_1)
	v_clz_i32_u32_e32 v12, v9
	v_add_nc_u32_e32 v11, 1, v12
	s_delay_alu instid0(VALU_DEP_1) | instskip(NEXT) | instid1(VALU_DEP_1)
	v_cndmask_b32_e32 v6, 33, v11, vcc_lo
	v_sub_nc_u32_e32 v7, 32, v6
	s_delay_alu instid0(VALU_DEP_1) | instskip(SKIP_3) | instid1(VALU_DEP_3)
	v_alignbit_b32 v9, v9, v4, v7
	v_alignbit_b32 v2, v4, v2, v7
	v_lshrrev_b32_e32 v4, 29, v3
	v_lshrrev_b32_e32 v3, 30, v3
	v_alignbit_b32 v7, v9, v2, 9
	s_delay_alu instid0(VALU_DEP_3) | instskip(SKIP_1) | instid1(VALU_DEP_4)
	v_lshlrev_b32_e32 v4, 31, v4
	v_alignbit_b32 v9, v6, v9, 9
	v_add_nc_u32_e32 v3, v8, v3
	s_delay_alu instid0(VALU_DEP_4) | instskip(NEXT) | instid1(VALU_DEP_3)
	v_clz_i32_u32_e32 v10, v7
	v_or_b32_e32 v9, v9, v4
	v_or_b32_e32 v4, 0x33800000, v4
	s_delay_alu instid0(VALU_DEP_3) | instskip(NEXT) | instid1(VALU_DEP_3)
	v_min_u32_e32 v10, 32, v10
	v_xor_b32_e32 v9, 1.0, v9
	s_delay_alu instid0(VALU_DEP_2) | instskip(SKIP_1) | instid1(VALU_DEP_3)
	v_sub_nc_u32_e32 v11, 31, v10
	v_add_lshl_u32 v6, v10, v6, 23
	v_mul_f32_e32 v10, 0x3fc90fda, v9
	s_delay_alu instid0(VALU_DEP_3) | instskip(NEXT) | instid1(VALU_DEP_3)
	v_alignbit_b32 v2, v7, v2, v11
	v_sub_nc_u32_e32 v4, v4, v6
	s_delay_alu instid0(VALU_DEP_3) | instskip(NEXT) | instid1(VALU_DEP_3)
	v_fma_f32 v6, 0x3fc90fda, v9, -v10
	v_lshrrev_b32_e32 v2, 9, v2
	s_delay_alu instid0(VALU_DEP_2) | instskip(NEXT) | instid1(VALU_DEP_2)
	v_fmamk_f32 v6, v9, 0x33a22168, v6
	v_or_b32_e32 v2, v4, v2
	s_delay_alu instid0(VALU_DEP_1) | instskip(NEXT) | instid1(VALU_DEP_1)
	v_fmac_f32_e32 v6, 0x3fc90fda, v2
	v_add_f32_e32 v2, v10, v6
	s_or_saveexec_b32 s0, s5
	v_mul_f32_e64 v7, 0x3f22f983, |v0|
	s_xor_b32 exec_lo, exec_lo, s0
	s_branch .LBB21_78
.LBB21_77:
	s_or_saveexec_b32 s0, s5
	v_mul_f32_e64 v7, 0x3f22f983, |v0|
	s_xor_b32 exec_lo, exec_lo, s0
.LBB21_78:
	s_delay_alu instid0(VALU_DEP_1) | instskip(NEXT) | instid1(VALU_DEP_1)
	v_rndne_f32_e32 v3, v7
	v_fma_f32 v2, 0xbfc90fda, v3, |v0|
	s_delay_alu instid0(VALU_DEP_1) | instskip(NEXT) | instid1(VALU_DEP_1)
	v_fmamk_f32 v2, v3, 0xb3a22168, v2
	v_fmamk_f32 v2, v3, 0xa7c234c4, v2
	v_cvt_i32_f32_e32 v3, v3
; %bb.79:
	s_or_b32 exec_lo, exec_lo, s0
                                        ; implicit-def: $vgpr6
                                        ; implicit-def: $vgpr4
	s_and_saveexec_b32 s0, s4
	s_delay_alu instid0(SALU_CYCLE_1)
	s_xor_b32 s4, exec_lo, s0
	s_cbranch_execz .LBB21_81
; %bb.80:
	s_mov_b32 s0, 0x7fffff
	v_mov_b32_e32 v8, 0
	v_and_or_b32 v15, v1, s0, 0x800000
	s_delay_alu instid0(VALU_DEP_1) | instskip(NEXT) | instid1(VALU_DEP_1)
	v_mad_u64_u32 v[6:7], null, 0xfe5163ab, v15, 0
	v_mad_u64_u32 v[9:10], null, 0x3c439041, v15, v[7:8]
	s_delay_alu instid0(VALU_DEP_1) | instskip(NEXT) | instid1(VALU_DEP_1)
	v_mov_b32_e32 v7, v10
	v_mad_u64_u32 v[10:11], null, 0xdb629599, v15, v[7:8]
	s_delay_alu instid0(VALU_DEP_1) | instskip(NEXT) | instid1(VALU_DEP_1)
	v_mov_b32_e32 v7, v11
	v_mad_u64_u32 v[11:12], null, 0xf534ddc0, v15, v[7:8]
	s_delay_alu instid0(VALU_DEP_1) | instskip(NEXT) | instid1(VALU_DEP_1)
	v_dual_mov_b32 v7, v12 :: v_dual_add_nc_u32 v12, 0xffffff88, v5
	v_mad_u64_u32 v[4:5], null, 0xfc2757d1, v15, v[7:8]
	s_delay_alu instid0(VALU_DEP_2) | instskip(SKIP_1) | instid1(VALU_DEP_3)
	v_cmp_lt_u32_e32 vcc_lo, 63, v12
	v_cndmask_b32_e64 v13, 0, 0xffffffc0, vcc_lo
	v_dual_mov_b32 v7, v5 :: v_dual_cndmask_b32 v6, v10, v6
	s_delay_alu instid0(VALU_DEP_2) | instskip(NEXT) | instid1(VALU_DEP_2)
	v_add_nc_u32_e32 v5, v13, v12
	v_mad_u64_u32 v[12:13], null, 0x4e441529, v15, v[7:8]
	s_delay_alu instid0(VALU_DEP_2) | instskip(NEXT) | instid1(VALU_DEP_2)
	v_cmp_lt_u32_e64 s0, 31, v5
	v_mov_b32_e32 v7, v13
	s_delay_alu instid0(VALU_DEP_2) | instskip(NEXT) | instid1(VALU_DEP_1)
	v_cndmask_b32_e64 v14, 0, 0xffffffe0, s0
	v_add_nc_u32_e32 v5, v14, v5
	s_delay_alu instid0(VALU_DEP_3) | instskip(SKIP_1) | instid1(VALU_DEP_3)
	v_mad_u64_u32 v[13:14], null, 0xa2f9836e, v15, v[7:8]
	v_cndmask_b32_e32 v8, v12, v11, vcc_lo
	v_cmp_lt_u32_e64 s1, 31, v5
	s_delay_alu instid0(VALU_DEP_3) | instskip(NEXT) | instid1(VALU_DEP_2)
	v_cndmask_b32_e32 v13, v13, v4, vcc_lo
	v_cndmask_b32_e64 v7, 0, 0xffffffe0, s1
	v_cndmask_b32_e32 v12, v14, v12, vcc_lo
	s_delay_alu instid0(VALU_DEP_2) | instskip(SKIP_2) | instid1(VALU_DEP_4)
	v_dual_cndmask_b32 v4, v4, v10 :: v_dual_add_nc_u32 v5, v7, v5
	v_cndmask_b32_e32 v7, v11, v9, vcc_lo
	v_cndmask_b32_e64 v9, v13, v8, s0
	v_cndmask_b32_e64 v11, v12, v13, s0
	s_delay_alu instid0(VALU_DEP_4)
	v_cndmask_b32_e64 v8, v8, v4, s0
	v_sub_nc_u32_e32 v12, 32, v5
	v_cndmask_b32_e64 v4, v4, v7, s0
	v_cmp_eq_u32_e64 s2, 0, v5
	v_cndmask_b32_e64 v11, v11, v9, s1
	v_cndmask_b32_e64 v9, v9, v8, s1
	v_cndmask_b32_e64 v6, v7, v6, s0
	v_cndmask_b32_e64 v8, v8, v4, s1
	s_delay_alu instid0(VALU_DEP_3) | instskip(NEXT) | instid1(VALU_DEP_3)
	v_alignbit_b32 v13, v11, v9, v12
	v_cndmask_b32_e64 v4, v4, v6, s1
	s_delay_alu instid0(VALU_DEP_3) | instskip(NEXT) | instid1(VALU_DEP_3)
	v_alignbit_b32 v14, v9, v8, v12
	v_cndmask_b32_e64 v5, v13, v11, s2
	;; [unrolled: 3-line block ×3, first 2 shown]
	s_delay_alu instid0(VALU_DEP_3) | instskip(NEXT) | instid1(VALU_DEP_3)
	v_bfe_u32 v10, v5, 29, 1
	v_cndmask_b32_e64 v8, v12, v8, s2
	s_delay_alu instid0(VALU_DEP_3) | instskip(NEXT) | instid1(VALU_DEP_3)
	v_alignbit_b32 v7, v5, v9, 30
	v_sub_nc_u32_e32 v11, 0, v10
	s_delay_alu instid0(VALU_DEP_3) | instskip(SKIP_1) | instid1(VALU_DEP_3)
	v_alignbit_b32 v9, v9, v8, 30
	v_alignbit_b32 v4, v8, v4, 30
	v_xor_b32_e32 v6, v7, v11
	v_cmp_ne_u32_e32 vcc_lo, v7, v11
	s_delay_alu instid0(VALU_DEP_4) | instskip(NEXT) | instid1(VALU_DEP_4)
	v_xor_b32_e32 v8, v9, v11
	v_xor_b32_e32 v4, v4, v11
	s_delay_alu instid0(VALU_DEP_4) | instskip(NEXT) | instid1(VALU_DEP_1)
	v_clz_i32_u32_e32 v13, v6
	v_add_nc_u32_e32 v12, 1, v13
	s_delay_alu instid0(VALU_DEP_1) | instskip(NEXT) | instid1(VALU_DEP_1)
	v_cndmask_b32_e32 v7, 33, v12, vcc_lo
	v_sub_nc_u32_e32 v9, 32, v7
	s_delay_alu instid0(VALU_DEP_1) | instskip(SKIP_3) | instid1(VALU_DEP_3)
	v_alignbit_b32 v6, v6, v8, v9
	v_alignbit_b32 v4, v8, v4, v9
	v_lshrrev_b32_e32 v8, 29, v5
	v_lshrrev_b32_e32 v5, 30, v5
	v_alignbit_b32 v9, v6, v4, 9
	s_delay_alu instid0(VALU_DEP_3) | instskip(SKIP_1) | instid1(VALU_DEP_3)
	v_lshlrev_b32_e32 v8, 31, v8
	v_alignbit_b32 v6, v7, v6, 9
	v_clz_i32_u32_e32 v11, v9
	s_delay_alu instid0(VALU_DEP_2) | instskip(SKIP_1) | instid1(VALU_DEP_3)
	v_or_b32_e32 v6, v6, v8
	v_or_b32_e32 v8, 0x33800000, v8
	v_min_u32_e32 v11, 32, v11
	s_delay_alu instid0(VALU_DEP_3) | instskip(NEXT) | instid1(VALU_DEP_2)
	v_xor_b32_e32 v6, 1.0, v6
	v_sub_nc_u32_e32 v12, 31, v11
	v_add_lshl_u32 v7, v11, v7, 23
	s_delay_alu instid0(VALU_DEP_3) | instskip(NEXT) | instid1(VALU_DEP_3)
	v_mul_f32_e32 v11, 0x3fc90fda, v6
	v_alignbit_b32 v4, v9, v4, v12
	s_delay_alu instid0(VALU_DEP_3) | instskip(NEXT) | instid1(VALU_DEP_3)
	v_sub_nc_u32_e32 v7, v8, v7
	v_fma_f32 v8, 0x3fc90fda, v6, -v11
	s_delay_alu instid0(VALU_DEP_3) | instskip(NEXT) | instid1(VALU_DEP_2)
	v_lshrrev_b32_e32 v4, 9, v4
	v_fmamk_f32 v6, v6, 0x33a22168, v8
	s_delay_alu instid0(VALU_DEP_2) | instskip(NEXT) | instid1(VALU_DEP_1)
	v_or_b32_e32 v4, v7, v4
                                        ; implicit-def: $vgpr7
	v_fmac_f32_e32 v6, 0x3fc90fda, v4
	s_delay_alu instid0(VALU_DEP_1)
	v_add_f32_e32 v4, v11, v6
	v_add_nc_u32_e32 v6, v10, v5
	s_and_not1_saveexec_b32 s0, s4
	s_cbranch_execnz .LBB21_82
	s_branch .LBB21_83
.LBB21_81:
	s_and_not1_saveexec_b32 s0, s4
.LBB21_82:
	v_rndne_f32_e32 v5, v7
	s_delay_alu instid0(VALU_DEP_1) | instskip(SKIP_1) | instid1(VALU_DEP_2)
	v_fma_f32 v4, 0xbfc90fda, v5, |v0|
	v_cvt_i32_f32_e32 v6, v5
	v_fmamk_f32 v4, v5, 0xb3a22168, v4
	s_delay_alu instid0(VALU_DEP_1)
	v_fmamk_f32 v4, v5, 0xa7c234c4, v4
.LBB21_83:
	s_or_b32 exec_lo, exec_lo, s0
	v_div_scale_f32 v5, null, v41, v41, 0x40a00000
	v_div_scale_f32 v9, vcc_lo, 0x40a00000, v41, 0x40a00000
	s_mov_b32 s0, 0xb94c1982
	s_delay_alu instid0(VALU_DEP_2) | instskip(SKIP_4) | instid1(VALU_DEP_1)
	v_rcp_f32_e32 v7, v5
	s_mov_b32 s1, 0x37d75334
	v_xor_b32_e32 v1, v1, v0
	s_waitcnt_depctr 0xfff
	v_fma_f32 v8, -v5, v7, 1.0
	v_fmac_f32_e32 v7, v8, v7
	s_delay_alu instid0(VALU_DEP_1) | instskip(NEXT) | instid1(VALU_DEP_1)
	v_mul_f32_e32 v8, v9, v7
	v_fma_f32 v10, -v5, v8, v9
	s_delay_alu instid0(VALU_DEP_1) | instskip(SKIP_1) | instid1(VALU_DEP_2)
	v_fmac_f32_e32 v8, v10, v7
	v_mul_f32_e32 v10, v4, v4
	v_fma_f32 v5, -v5, v8, v9
	s_delay_alu instid0(VALU_DEP_2) | instskip(SKIP_1) | instid1(VALU_DEP_3)
	v_fmaak_f32 v19, s0, v10, 0x3c0881c4
	v_fmaak_f32 v20, s1, v10, 0xbab64f3b
	v_div_fmas_f32 v5, v5, v7, v8
	v_mul_f32_e32 v7, v2, v2
	s_delay_alu instid0(VALU_DEP_4)
	v_fmaak_f32 v19, v10, v19, 0xbe2aaa9d
	v_mul_f32_e32 v16, 0x4f800000, v41
	v_fmaak_f32 v20, v10, v20, 0x3d2aabf7
	v_div_fixup_f32 v5, v5, v41, 0x40a00000
	v_fmaak_f32 v17, s0, v7, 0x3c0881c4
	v_cmp_gt_f32_e64 s0, 0xf800000, v41
	v_fmaak_f32 v18, s1, v7, 0xbab64f3b
	v_mul_f32_e32 v19, v10, v19
	v_dual_mul_f32 v9, v5, v5 :: v_dual_and_b32 v8, 1, v3
	v_lshlrev_b32_e32 v3, 30, v3
	v_and_b32_e32 v11, 1, v6
	v_cndmask_b32_e64 v16, v41, v16, s0
	s_delay_alu instid0(VALU_DEP_4) | instskip(SKIP_3) | instid1(VALU_DEP_4)
	v_fmaak_f32 v14, 0, v9, 0x3a47c962
	v_fmaak_f32 v13, 0, v9, 0x3a15c4d9
	;; [unrolled: 1-line block ×3, first 2 shown]
	v_dual_fmaak_f32 v15, 0, v9, 0x42947983 :: v_dual_lshlrev_b32 v6, 30, v6
	v_fmaak_f32 v14, v9, v14, 0x3d95ca45
	s_delay_alu instid0(VALU_DEP_4) | instskip(SKIP_2) | instid1(VALU_DEP_3)
	v_dual_fmaak_f32 v13, v9, v13, 0x3d8cfeeb :: v_dual_fmac_f32 v4, v4, v19
	v_sqrt_f32_e32 v24, v16
	v_fmaak_f32 v17, v7, v17, 0xbe2aaa9d
	v_fmaak_f32 v14, v9, v14, 0x3f9047f6
	s_delay_alu instid0(VALU_DEP_3)
	v_fmaak_f32 v13, v9, v13, 0x3f8d754e
	v_fmaak_f32 v12, v9, v12, 0x409f6dae
	;; [unrolled: 1-line block ×3, first 2 shown]
	v_mul_f32_e32 v17, v7, v17
	v_fmaak_f32 v15, v9, v15, 0x44840e5d
	v_fmaak_f32 v20, v10, v20, 0xbf000004
	v_cmp_eq_u32_e64 s2, 0, v8
	v_fmaak_f32 v18, v7, v18, 0xbf000004
	v_fmac_f32_e32 v2, v2, v17
	v_fmaak_f32 v13, v9, v13, 0x40a25d18
	v_fmaak_f32 v15, v9, v15, 0x459bd349
	v_fma_f32 v10, v10, v20, 1.0
	v_fma_f32 v7, v7, v18, 1.0
	v_and_b32_e32 v3, 0x80000000, v3
	v_dual_fmaak_f32 v14, v9, v14, 0x40a39628 :: v_dual_add_nc_u32 v19, -1, v24
	v_fmaak_f32 v13, v9, v13, 0x410665cf
	v_fmaak_f32 v15, v9, v15, 0x46156947
	v_cndmask_b32_e64 v2, v7, v2, s2
	v_cmp_eq_u32_e64 s2, 0, v11
	v_fmaak_f32 v14, v9, v14, 0x4106c8e4
	v_fmaak_f32 v13, v9, v13, 0x40a6b6ea
	;; [unrolled: 1-line block ×3, first 2 shown]
	v_fma_f32 v7, -v19, v24, v16
	v_cndmask_b32_e64 v4, -v4, v10, s2
	v_fmaak_f32 v14, v9, v14, 0x40a6dd51
	v_fma_f32 v13, v9, v13, 1.0
	v_fmaak_f32 v15, v9, v15, 0x4530a316
	v_xor3_b32 v1, v1, v3, v2
	v_and_b32_e32 v6, 0x80000000, v6
	v_fma_f32 v14, v9, v14, 1.0
	s_delay_alu instid0(VALU_DEP_4) | instskip(NEXT) | instid1(VALU_DEP_3)
	v_fmaak_f32 v15, v9, v15, 0x43a80bfb
	v_xor_b32_e32 v4, v6, v4
	s_delay_alu instid0(VALU_DEP_3) | instskip(SKIP_1) | instid1(VALU_DEP_1)
	v_div_scale_f32 v27, vcc_lo, v14, v13, v14
	v_fmaak_f32 v12, v9, v12, 0x4297a5cd
	v_fmaak_f32 v12, v9, v12, 0x43b763ca
	s_delay_alu instid0(VALU_DEP_1) | instskip(NEXT) | instid1(VALU_DEP_1)
	v_fmaak_f32 v12, v9, v12, 0x4431b6ce
	v_fmaak_f32 v12, v9, v12, 0x44155f56
	s_delay_alu instid0(VALU_DEP_1) | instskip(NEXT) | instid1(VALU_DEP_1)
	v_fmaak_f32 v12, v9, v12, 0x4353b052
	v_fmaak_f32 v9, v9, v12, 0x41c9a7fa
	v_div_scale_f32 v12, null, v13, v13, v14
	s_delay_alu instid0(VALU_DEP_2) | instskip(NEXT) | instid1(VALU_DEP_2)
	v_div_scale_f32 v21, null, v15, v15, v9
	v_rcp_f32_e32 v22, v12
	s_delay_alu instid0(VALU_DEP_1) | instskip(SKIP_3) | instid1(VALU_DEP_2)
	v_rcp_f32_e32 v23, v21
	s_waitcnt_depctr 0xfff
	v_fma_f32 v25, -v12, v22, 1.0
	v_fma_f32 v26, -v21, v23, 1.0
	v_fmac_f32_e32 v22, v25, v22
	v_div_scale_f32 v25, s1, v9, v15, v9
	s_delay_alu instid0(VALU_DEP_3) | instskip(NEXT) | instid1(VALU_DEP_1)
	v_dual_fmac_f32 v23, v26, v23 :: v_dual_add_nc_u32 v26, 1, v24
	v_dual_mul_f32 v17, v27, v22 :: v_dual_mul_f32 v18, v25, v23
	s_delay_alu instid0(VALU_DEP_2) | instskip(NEXT) | instid1(VALU_DEP_2)
	v_fma_f32 v8, -v26, v24, v16
	v_fma_f32 v20, -v12, v17, v27
	s_delay_alu instid0(VALU_DEP_3) | instskip(NEXT) | instid1(VALU_DEP_2)
	v_fma_f32 v28, -v21, v18, v25
	v_fmac_f32_e32 v17, v20, v22
	s_delay_alu instid0(VALU_DEP_2) | instskip(NEXT) | instid1(VALU_DEP_2)
	v_fmac_f32_e32 v18, v28, v23
	v_fma_f32 v10, -v12, v17, v27
	s_delay_alu instid0(VALU_DEP_2) | instskip(NEXT) | instid1(VALU_DEP_2)
	v_fma_f32 v2, -v21, v18, v25
	v_div_fmas_f32 v3, v10, v22, v17
	s_mov_b32 vcc_lo, s1
	v_cmp_lt_f32_e64 s1, 0, v8
	s_delay_alu instid0(VALU_DEP_3)
	v_div_fmas_f32 v2, v2, v23, v18
	v_cmp_ge_f32_e32 vcc_lo, 0, v7
	v_div_fixup_f32 v3, v3, v13, v14
	v_cndmask_b32_e32 v6, v24, v19, vcc_lo
	v_cmp_class_f32_e64 vcc_lo, v0, 0x1f8
	v_div_fixup_f32 v0, v2, v15, v9
	s_delay_alu instid0(VALU_DEP_3) | instskip(SKIP_1) | instid1(VALU_DEP_3)
	v_cndmask_b32_e64 v2, v6, v26, s1
	v_cndmask_b32_e32 v4, 0x7fc00000, v4, vcc_lo
	v_dual_mul_f32 v0, v5, v0 :: v_dual_cndmask_b32 v1, 0x7fc00000, v1
	v_cmp_class_f32_e64 vcc_lo, v16, 0x260
	s_delay_alu instid0(VALU_DEP_2) | instskip(NEXT) | instid1(VALU_DEP_1)
	v_dual_mul_f32 v5, 0x37800000, v2 :: v_dual_mul_f32 v0, v0, v4
	v_cndmask_b32_e64 v2, v2, v5, s0
	s_delay_alu instid0(VALU_DEP_1) | instskip(NEXT) | instid1(VALU_DEP_1)
	v_dual_fmac_f32 v0, v3, v1 :: v_dual_cndmask_b32 v1, v2, v16
	v_mul_f32_e32 v0, 0x3f4c422a, v0
	s_delay_alu instid0(VALU_DEP_1) | instskip(NEXT) | instid1(VALU_DEP_1)
	v_div_scale_f32 v2, null, v1, v1, v0
	v_rcp_f32_e32 v3, v2
	s_waitcnt_depctr 0xfff
	v_fma_f32 v4, -v2, v3, 1.0
	s_delay_alu instid0(VALU_DEP_1) | instskip(SKIP_1) | instid1(VALU_DEP_1)
	v_fmac_f32_e32 v3, v4, v3
	v_div_scale_f32 v4, vcc_lo, v0, v1, v0
	v_mul_f32_e32 v5, v4, v3
	s_delay_alu instid0(VALU_DEP_1) | instskip(NEXT) | instid1(VALU_DEP_1)
	v_fma_f32 v6, -v2, v5, v4
	v_fmac_f32_e32 v5, v6, v3
	s_delay_alu instid0(VALU_DEP_1) | instskip(NEXT) | instid1(VALU_DEP_1)
	v_fma_f32 v2, -v2, v5, v4
	v_div_fmas_f32 v2, v2, v3, v5
	s_delay_alu instid0(VALU_DEP_1)
	v_div_fixup_f32 v47, v2, v1, v0
.LBB21_84:
	s_or_b32 exec_lo, exec_lo, s3
	global_load_b32 v41, v57, s[38:39]
                                        ; implicit-def: $vgpr57
	s_mov_b32 s0, exec_lo
	s_waitcnt vmcnt(0)
	v_cmpx_ge_f32_e32 0x40a00000, v41
	s_xor_b32 s35, exec_lo, s0
	s_cbranch_execz .LBB21_90
; %bb.85:
	v_mov_b32_e32 v57, 0xff800000
	s_mov_b32 s40, exec_lo
	v_cmpx_neq_f32_e32 0, v41
	s_cbranch_execz .LBB21_89
; %bb.86:
	v_mov_b32_e32 v57, 0x7fc00000
	s_mov_b32 s41, exec_lo
	v_cmpx_nge_f32_e32 0, v41
	s_cbranch_execz .LBB21_88
; %bb.87:
	v_mul_f32_e32 v0, v41, v41
	s_getpc_b64 s[0:1]
	s_add_u32 s0, s0, _Z17bessel_j1_forwardIfET_S0_@rel32@lo+4
	s_addc_u32 s1, s1, _Z17bessel_j1_forwardIfET_S0_@rel32@hi+12
	s_delay_alu instid0(VALU_DEP_1) | instskip(SKIP_1) | instid1(VALU_DEP_2)
	v_fmaak_f32 v1, 0, v0, 0x4414934d
	v_fmaak_f32 v2, 0, v0, 0x4e9695f3
	;; [unrolled: 1-line block ×3, first 2 shown]
	s_delay_alu instid0(VALU_DEP_2) | instskip(NEXT) | instid1(VALU_DEP_2)
	v_fmaak_f32 v2, v0, v2, 0xd316b96b
	v_fmaak_f32 v1, v0, v1, 0x4c8c277d
	s_delay_alu instid0(VALU_DEP_2) | instskip(NEXT) | instid1(VALU_DEP_2)
	v_fmaak_f32 v2, v0, v2, 0x56d04aa6
	v_fmaak_f32 v1, v0, v1, 0x508bc61d
	;; [unrolled: 3-line block ×5, first 2 shown]
	s_delay_alu instid0(VALU_DEP_1) | instskip(NEXT) | instid1(VALU_DEP_1)
	v_fmaak_f32 v0, v0, v1, 0x5e5c878d
	v_div_scale_f32 v1, null, v0, v0, v2
	v_div_scale_f32 v5, vcc_lo, v2, v0, v2
	s_delay_alu instid0(VALU_DEP_2) | instskip(SKIP_2) | instid1(VALU_DEP_1)
	v_rcp_f32_e32 v3, v1
	s_waitcnt_depctr 0xfff
	v_fma_f32 v4, -v1, v3, 1.0
	v_fmac_f32_e32 v3, v4, v3
	s_delay_alu instid0(VALU_DEP_1) | instskip(NEXT) | instid1(VALU_DEP_1)
	v_mul_f32_e32 v4, v5, v3
	v_fma_f32 v6, -v1, v4, v5
	s_delay_alu instid0(VALU_DEP_1) | instskip(NEXT) | instid1(VALU_DEP_1)
	v_fmac_f32_e32 v4, v6, v3
	v_fma_f32 v1, -v1, v4, v5
	s_delay_alu instid0(VALU_DEP_1) | instskip(NEXT) | instid1(VALU_DEP_1)
	v_div_fmas_f32 v1, v1, v3, v4
	v_div_fixup_f32 v58, v1, v0, v2
	v_mov_b32_e32 v0, v41
	s_swappc_b64 s[30:31], s[0:1]
	v_div_scale_f32 v1, null, v41, v41, -1.0
	v_cmp_gt_f32_e32 vcc_lo, 0x800000, v41
	v_div_scale_f32 v5, s0, -1.0, v41, -1.0
	s_delay_alu instid0(VALU_DEP_3) | instskip(SKIP_3) | instid1(VALU_DEP_1)
	v_rcp_f32_e32 v3, v1
	v_cndmask_b32_e64 v2, 1.0, 0x4f800000, vcc_lo
	s_waitcnt_depctr 0xfff
	v_fma_f32 v4, -v1, v3, 1.0
	v_dual_mul_f32 v2, v41, v2 :: v_dual_fmac_f32 v3, v4, v3
	s_delay_alu instid0(VALU_DEP_1) | instskip(SKIP_3) | instid1(VALU_DEP_2)
	v_log_f32_e32 v2, v2
	s_waitcnt_depctr 0xfff
	v_mul_f32_e32 v4, 0x3f317217, v2
	v_cmp_gt_f32_e64 s1, 0x7f800000, |v2|
	v_fma_f32 v7, 0x3f317217, v2, -v4
	s_delay_alu instid0(VALU_DEP_1) | instskip(NEXT) | instid1(VALU_DEP_1)
	v_dual_mul_f32 v6, v5, v3 :: v_dual_fmamk_f32 v7, v2, 0x3377d1cf, v7
	v_fma_f32 v8, -v1, v6, v5
	s_delay_alu instid0(VALU_DEP_2) | instskip(NEXT) | instid1(VALU_DEP_2)
	v_add_f32_e32 v4, v4, v7
	v_fmac_f32_e32 v6, v8, v3
	s_delay_alu instid0(VALU_DEP_2) | instskip(NEXT) | instid1(VALU_DEP_2)
	v_cndmask_b32_e64 v2, v2, v4, s1
	v_fma_f32 v1, -v1, v6, v5
	v_cndmask_b32_e64 v4, 0, 0x41b17218, vcc_lo
	s_mov_b32 vcc_lo, s0
	s_delay_alu instid0(VALU_DEP_2) | instskip(NEXT) | instid1(VALU_DEP_2)
	v_div_fmas_f32 v1, v1, v3, v6
	v_sub_f32_e32 v2, v2, v4
	s_delay_alu instid0(VALU_DEP_2) | instskip(NEXT) | instid1(VALU_DEP_1)
	v_div_fixup_f32 v1, v1, v41, -1.0
	v_fmac_f32_e32 v1, v2, v0
	s_delay_alu instid0(VALU_DEP_1) | instskip(NEXT) | instid1(VALU_DEP_1)
	v_mul_f32_e32 v57, 0x3f22f983, v1
	v_fmac_f32_e32 v57, v41, v58
.LBB21_88:
	s_or_b32 exec_lo, exec_lo, s41
.LBB21_89:
	s_delay_alu instid0(SALU_CYCLE_1)
	s_or_b32 exec_lo, exec_lo, s40
                                        ; implicit-def: $vgpr41
.LBB21_90:
	s_and_not1_saveexec_b32 s3, s35
	s_cbranch_execz .LBB21_100
; %bb.91:
	v_add_f32_e32 v0, 0xc016cbe4, v41
                                        ; implicit-def: $vgpr3
                                        ; implicit-def: $vgpr2
	s_delay_alu instid0(VALU_DEP_1) | instskip(SKIP_1) | instid1(VALU_DEP_2)
	v_and_b32_e32 v1, 0x7fffffff, v0
	v_cmp_ngt_f32_e64 s4, 0x48000000, |v0|
	v_lshrrev_b32_e32 v5, 23, v1
	s_delay_alu instid0(VALU_DEP_2) | instskip(NEXT) | instid1(SALU_CYCLE_1)
	s_and_saveexec_b32 s0, s4
	s_xor_b32 s5, exec_lo, s0
	s_cbranch_execz .LBB21_93
; %bb.92:
	s_mov_b32 s0, 0x7fffff
	v_mov_b32_e32 v4, 0
	v_and_or_b32 v13, v1, s0, 0x800000
	v_add_nc_u32_e32 v11, 0xffffff88, v5
	s_delay_alu instid0(VALU_DEP_2) | instskip(NEXT) | instid1(VALU_DEP_2)
	v_mad_u64_u32 v[2:3], null, 0xfe5163ab, v13, 0
	v_cmp_lt_u32_e32 vcc_lo, 63, v11
	v_cndmask_b32_e64 v12, 0, 0xffffffc0, vcc_lo
	s_delay_alu instid0(VALU_DEP_3) | instskip(NEXT) | instid1(VALU_DEP_1)
	v_mad_u64_u32 v[6:7], null, 0x3c439041, v13, v[3:4]
	v_dual_mov_b32 v3, v7 :: v_dual_add_nc_u32 v12, v12, v11
	s_delay_alu instid0(VALU_DEP_1) | instskip(NEXT) | instid1(VALU_DEP_2)
	v_cmp_lt_u32_e64 s0, 31, v12
	v_mad_u64_u32 v[7:8], null, 0xdb629599, v13, v[3:4]
	s_delay_alu instid0(VALU_DEP_2) | instskip(NEXT) | instid1(VALU_DEP_1)
	v_cndmask_b32_e64 v14, 0, 0xffffffe0, s0
	v_dual_mov_b32 v3, v8 :: v_dual_add_nc_u32 v14, v14, v12
	s_delay_alu instid0(VALU_DEP_3) | instskip(NEXT) | instid1(VALU_DEP_2)
	v_cndmask_b32_e32 v2, v7, v2, vcc_lo
	v_cmp_lt_u32_e64 s1, 31, v14
	s_delay_alu instid0(VALU_DEP_3) | instskip(NEXT) | instid1(VALU_DEP_1)
	v_mad_u64_u32 v[8:9], null, 0xf534ddc0, v13, v[3:4]
	v_dual_mov_b32 v3, v9 :: v_dual_cndmask_b32 v6, v8, v6
	s_delay_alu instid0(VALU_DEP_1) | instskip(NEXT) | instid1(VALU_DEP_2)
	v_mad_u64_u32 v[9:10], null, 0xfc2757d1, v13, v[3:4]
	v_cndmask_b32_e64 v2, v6, v2, s0
	s_delay_alu instid0(VALU_DEP_2) | instskip(NEXT) | instid1(VALU_DEP_1)
	v_mov_b32_e32 v3, v10
	v_mad_u64_u32 v[10:11], null, 0x4e441529, v13, v[3:4]
	s_delay_alu instid0(VALU_DEP_1) | instskip(NEXT) | instid1(VALU_DEP_1)
	v_mov_b32_e32 v3, v11
	v_mad_u64_u32 v[11:12], null, 0xa2f9836e, v13, v[3:4]
	v_cndmask_b32_e64 v3, 0, 0xffffffe0, s1
	s_delay_alu instid0(VALU_DEP_1) | instskip(NEXT) | instid1(VALU_DEP_3)
	v_dual_cndmask_b32 v4, v10, v8 :: v_dual_add_nc_u32 v3, v3, v14
	v_dual_cndmask_b32 v11, v11, v9 :: v_dual_cndmask_b32 v10, v12, v10
	v_cndmask_b32_e32 v9, v9, v7, vcc_lo
	s_delay_alu instid0(VALU_DEP_3) | instskip(NEXT) | instid1(VALU_DEP_3)
	v_cmp_eq_u32_e64 s2, 0, v3
	v_cndmask_b32_e64 v8, v11, v4, s0
	s_delay_alu instid0(VALU_DEP_4) | instskip(NEXT) | instid1(VALU_DEP_4)
	v_cndmask_b32_e64 v10, v10, v11, s0
	v_cndmask_b32_e64 v4, v4, v9, s0
	v_sub_nc_u32_e32 v11, 32, v3
	v_cndmask_b32_e64 v9, v9, v6, s0
	s_delay_alu instid0(VALU_DEP_4) | instskip(NEXT) | instid1(VALU_DEP_4)
	v_cndmask_b32_e64 v10, v10, v8, s1
	v_cndmask_b32_e64 v8, v8, v4, s1
	s_delay_alu instid0(VALU_DEP_3) | instskip(SKIP_1) | instid1(VALU_DEP_3)
	v_cndmask_b32_e64 v4, v4, v9, s1
	v_cndmask_b32_e64 v2, v9, v2, s1
	v_alignbit_b32 v12, v10, v8, v11
	s_delay_alu instid0(VALU_DEP_3) | instskip(NEXT) | instid1(VALU_DEP_3)
	v_alignbit_b32 v13, v8, v4, v11
	v_alignbit_b32 v11, v4, v2, v11
	s_delay_alu instid0(VALU_DEP_3) | instskip(NEXT) | instid1(VALU_DEP_3)
	v_cndmask_b32_e64 v3, v12, v10, s2
	v_cndmask_b32_e64 v7, v13, v8, s2
	s_delay_alu instid0(VALU_DEP_3) | instskip(NEXT) | instid1(VALU_DEP_3)
	v_cndmask_b32_e64 v4, v11, v4, s2
	v_bfe_u32 v8, v3, 29, 1
	s_delay_alu instid0(VALU_DEP_3) | instskip(NEXT) | instid1(VALU_DEP_3)
	v_alignbit_b32 v6, v3, v7, 30
	v_alignbit_b32 v7, v7, v4, 30
	;; [unrolled: 1-line block ×3, first 2 shown]
	s_delay_alu instid0(VALU_DEP_4) | instskip(NEXT) | instid1(VALU_DEP_1)
	v_sub_nc_u32_e32 v10, 0, v8
	v_xor_b32_e32 v9, v6, v10
	v_cmp_ne_u32_e32 vcc_lo, v6, v10
	v_xor_b32_e32 v4, v7, v10
	v_xor_b32_e32 v2, v2, v10
	s_delay_alu instid0(VALU_DEP_4) | instskip(NEXT) | instid1(VALU_DEP_1)
	v_clz_i32_u32_e32 v12, v9
	v_add_nc_u32_e32 v11, 1, v12
	s_delay_alu instid0(VALU_DEP_1) | instskip(NEXT) | instid1(VALU_DEP_1)
	v_cndmask_b32_e32 v6, 33, v11, vcc_lo
	v_sub_nc_u32_e32 v7, 32, v6
	s_delay_alu instid0(VALU_DEP_1) | instskip(SKIP_3) | instid1(VALU_DEP_3)
	v_alignbit_b32 v9, v9, v4, v7
	v_alignbit_b32 v2, v4, v2, v7
	v_lshrrev_b32_e32 v4, 29, v3
	v_lshrrev_b32_e32 v3, 30, v3
	v_alignbit_b32 v7, v9, v2, 9
	s_delay_alu instid0(VALU_DEP_3) | instskip(SKIP_1) | instid1(VALU_DEP_4)
	v_lshlrev_b32_e32 v4, 31, v4
	v_alignbit_b32 v9, v6, v9, 9
	v_add_nc_u32_e32 v3, v8, v3
	s_delay_alu instid0(VALU_DEP_4) | instskip(NEXT) | instid1(VALU_DEP_3)
	v_clz_i32_u32_e32 v10, v7
	v_or_b32_e32 v9, v9, v4
	v_or_b32_e32 v4, 0x33800000, v4
	s_delay_alu instid0(VALU_DEP_3) | instskip(NEXT) | instid1(VALU_DEP_3)
	v_min_u32_e32 v10, 32, v10
	v_xor_b32_e32 v9, 1.0, v9
	s_delay_alu instid0(VALU_DEP_2) | instskip(SKIP_1) | instid1(VALU_DEP_3)
	v_sub_nc_u32_e32 v11, 31, v10
	v_add_lshl_u32 v6, v10, v6, 23
	v_mul_f32_e32 v10, 0x3fc90fda, v9
	s_delay_alu instid0(VALU_DEP_3) | instskip(NEXT) | instid1(VALU_DEP_3)
	v_alignbit_b32 v2, v7, v2, v11
	v_sub_nc_u32_e32 v4, v4, v6
	s_delay_alu instid0(VALU_DEP_3) | instskip(NEXT) | instid1(VALU_DEP_3)
	v_fma_f32 v6, 0x3fc90fda, v9, -v10
	v_lshrrev_b32_e32 v2, 9, v2
	s_delay_alu instid0(VALU_DEP_2) | instskip(NEXT) | instid1(VALU_DEP_2)
	v_fmamk_f32 v6, v9, 0x33a22168, v6
	v_or_b32_e32 v2, v4, v2
	s_delay_alu instid0(VALU_DEP_1) | instskip(NEXT) | instid1(VALU_DEP_1)
	v_fmac_f32_e32 v6, 0x3fc90fda, v2
	v_add_f32_e32 v2, v10, v6
	s_or_saveexec_b32 s0, s5
	v_mul_f32_e64 v7, 0x3f22f983, |v0|
	s_xor_b32 exec_lo, exec_lo, s0
	s_branch .LBB21_94
.LBB21_93:
	s_or_saveexec_b32 s0, s5
	v_mul_f32_e64 v7, 0x3f22f983, |v0|
	s_xor_b32 exec_lo, exec_lo, s0
.LBB21_94:
	s_delay_alu instid0(VALU_DEP_1) | instskip(NEXT) | instid1(VALU_DEP_1)
	v_rndne_f32_e32 v3, v7
	v_fma_f32 v2, 0xbfc90fda, v3, |v0|
	s_delay_alu instid0(VALU_DEP_1) | instskip(NEXT) | instid1(VALU_DEP_1)
	v_fmamk_f32 v2, v3, 0xb3a22168, v2
	v_fmamk_f32 v2, v3, 0xa7c234c4, v2
	v_cvt_i32_f32_e32 v3, v3
; %bb.95:
	s_or_b32 exec_lo, exec_lo, s0
                                        ; implicit-def: $vgpr6
                                        ; implicit-def: $vgpr4
	s_and_saveexec_b32 s0, s4
	s_delay_alu instid0(SALU_CYCLE_1)
	s_xor_b32 s4, exec_lo, s0
	s_cbranch_execz .LBB21_97
; %bb.96:
	s_mov_b32 s0, 0x7fffff
	v_mov_b32_e32 v8, 0
	v_and_or_b32 v15, v1, s0, 0x800000
	s_delay_alu instid0(VALU_DEP_1) | instskip(NEXT) | instid1(VALU_DEP_1)
	v_mad_u64_u32 v[6:7], null, 0xfe5163ab, v15, 0
	v_mad_u64_u32 v[9:10], null, 0x3c439041, v15, v[7:8]
	s_delay_alu instid0(VALU_DEP_1) | instskip(NEXT) | instid1(VALU_DEP_1)
	v_mov_b32_e32 v7, v10
	v_mad_u64_u32 v[10:11], null, 0xdb629599, v15, v[7:8]
	s_delay_alu instid0(VALU_DEP_1) | instskip(NEXT) | instid1(VALU_DEP_1)
	v_mov_b32_e32 v7, v11
	v_mad_u64_u32 v[11:12], null, 0xf534ddc0, v15, v[7:8]
	s_delay_alu instid0(VALU_DEP_1) | instskip(NEXT) | instid1(VALU_DEP_1)
	v_dual_mov_b32 v7, v12 :: v_dual_add_nc_u32 v12, 0xffffff88, v5
	v_mad_u64_u32 v[4:5], null, 0xfc2757d1, v15, v[7:8]
	s_delay_alu instid0(VALU_DEP_2) | instskip(SKIP_1) | instid1(VALU_DEP_3)
	v_cmp_lt_u32_e32 vcc_lo, 63, v12
	v_cndmask_b32_e64 v13, 0, 0xffffffc0, vcc_lo
	v_dual_mov_b32 v7, v5 :: v_dual_cndmask_b32 v6, v10, v6
	s_delay_alu instid0(VALU_DEP_2) | instskip(NEXT) | instid1(VALU_DEP_2)
	v_add_nc_u32_e32 v5, v13, v12
	v_mad_u64_u32 v[12:13], null, 0x4e441529, v15, v[7:8]
	s_delay_alu instid0(VALU_DEP_2) | instskip(NEXT) | instid1(VALU_DEP_2)
	v_cmp_lt_u32_e64 s0, 31, v5
	v_mov_b32_e32 v7, v13
	s_delay_alu instid0(VALU_DEP_2) | instskip(NEXT) | instid1(VALU_DEP_1)
	v_cndmask_b32_e64 v14, 0, 0xffffffe0, s0
	v_add_nc_u32_e32 v5, v14, v5
	s_delay_alu instid0(VALU_DEP_3) | instskip(SKIP_1) | instid1(VALU_DEP_3)
	v_mad_u64_u32 v[13:14], null, 0xa2f9836e, v15, v[7:8]
	v_cndmask_b32_e32 v8, v12, v11, vcc_lo
	v_cmp_lt_u32_e64 s1, 31, v5
	s_delay_alu instid0(VALU_DEP_3) | instskip(NEXT) | instid1(VALU_DEP_2)
	v_cndmask_b32_e32 v13, v13, v4, vcc_lo
	v_cndmask_b32_e64 v7, 0, 0xffffffe0, s1
	v_cndmask_b32_e32 v12, v14, v12, vcc_lo
	s_delay_alu instid0(VALU_DEP_2) | instskip(SKIP_2) | instid1(VALU_DEP_4)
	v_dual_cndmask_b32 v4, v4, v10 :: v_dual_add_nc_u32 v5, v7, v5
	v_cndmask_b32_e32 v7, v11, v9, vcc_lo
	v_cndmask_b32_e64 v9, v13, v8, s0
	v_cndmask_b32_e64 v11, v12, v13, s0
	s_delay_alu instid0(VALU_DEP_4)
	v_cndmask_b32_e64 v8, v8, v4, s0
	v_sub_nc_u32_e32 v12, 32, v5
	v_cndmask_b32_e64 v4, v4, v7, s0
	v_cmp_eq_u32_e64 s2, 0, v5
	v_cndmask_b32_e64 v11, v11, v9, s1
	v_cndmask_b32_e64 v9, v9, v8, s1
	;; [unrolled: 1-line block ×4, first 2 shown]
	s_delay_alu instid0(VALU_DEP_3) | instskip(NEXT) | instid1(VALU_DEP_3)
	v_alignbit_b32 v13, v11, v9, v12
	v_cndmask_b32_e64 v4, v4, v6, s1
	s_delay_alu instid0(VALU_DEP_3) | instskip(NEXT) | instid1(VALU_DEP_3)
	v_alignbit_b32 v14, v9, v8, v12
	v_cndmask_b32_e64 v5, v13, v11, s2
	;; [unrolled: 3-line block ×3, first 2 shown]
	s_delay_alu instid0(VALU_DEP_3) | instskip(NEXT) | instid1(VALU_DEP_3)
	v_bfe_u32 v10, v5, 29, 1
	v_cndmask_b32_e64 v8, v12, v8, s2
	s_delay_alu instid0(VALU_DEP_3) | instskip(NEXT) | instid1(VALU_DEP_3)
	v_alignbit_b32 v7, v5, v9, 30
	v_sub_nc_u32_e32 v11, 0, v10
	s_delay_alu instid0(VALU_DEP_3) | instskip(SKIP_1) | instid1(VALU_DEP_3)
	v_alignbit_b32 v9, v9, v8, 30
	v_alignbit_b32 v4, v8, v4, 30
	v_xor_b32_e32 v6, v7, v11
	v_cmp_ne_u32_e32 vcc_lo, v7, v11
	s_delay_alu instid0(VALU_DEP_4) | instskip(NEXT) | instid1(VALU_DEP_4)
	v_xor_b32_e32 v8, v9, v11
	v_xor_b32_e32 v4, v4, v11
	s_delay_alu instid0(VALU_DEP_4) | instskip(NEXT) | instid1(VALU_DEP_1)
	v_clz_i32_u32_e32 v13, v6
	v_add_nc_u32_e32 v12, 1, v13
	s_delay_alu instid0(VALU_DEP_1) | instskip(NEXT) | instid1(VALU_DEP_1)
	v_cndmask_b32_e32 v7, 33, v12, vcc_lo
	v_sub_nc_u32_e32 v9, 32, v7
	s_delay_alu instid0(VALU_DEP_1) | instskip(SKIP_3) | instid1(VALU_DEP_3)
	v_alignbit_b32 v6, v6, v8, v9
	v_alignbit_b32 v4, v8, v4, v9
	v_lshrrev_b32_e32 v8, 29, v5
	v_lshrrev_b32_e32 v5, 30, v5
	v_alignbit_b32 v9, v6, v4, 9
	s_delay_alu instid0(VALU_DEP_3) | instskip(SKIP_1) | instid1(VALU_DEP_3)
	v_lshlrev_b32_e32 v8, 31, v8
	v_alignbit_b32 v6, v7, v6, 9
	v_clz_i32_u32_e32 v11, v9
	s_delay_alu instid0(VALU_DEP_2) | instskip(SKIP_1) | instid1(VALU_DEP_3)
	v_or_b32_e32 v6, v6, v8
	v_or_b32_e32 v8, 0x33800000, v8
	v_min_u32_e32 v11, 32, v11
	s_delay_alu instid0(VALU_DEP_3) | instskip(NEXT) | instid1(VALU_DEP_2)
	v_xor_b32_e32 v6, 1.0, v6
	v_sub_nc_u32_e32 v12, 31, v11
	v_add_lshl_u32 v7, v11, v7, 23
	s_delay_alu instid0(VALU_DEP_3) | instskip(NEXT) | instid1(VALU_DEP_3)
	v_mul_f32_e32 v11, 0x3fc90fda, v6
	v_alignbit_b32 v4, v9, v4, v12
	s_delay_alu instid0(VALU_DEP_3) | instskip(NEXT) | instid1(VALU_DEP_3)
	v_sub_nc_u32_e32 v7, v8, v7
	v_fma_f32 v8, 0x3fc90fda, v6, -v11
	s_delay_alu instid0(VALU_DEP_3) | instskip(NEXT) | instid1(VALU_DEP_2)
	v_lshrrev_b32_e32 v4, 9, v4
	v_fmamk_f32 v6, v6, 0x33a22168, v8
	s_delay_alu instid0(VALU_DEP_2) | instskip(NEXT) | instid1(VALU_DEP_1)
	v_or_b32_e32 v4, v7, v4
                                        ; implicit-def: $vgpr7
	v_fmac_f32_e32 v6, 0x3fc90fda, v4
	s_delay_alu instid0(VALU_DEP_1)
	v_add_f32_e32 v4, v11, v6
	v_add_nc_u32_e32 v6, v10, v5
	s_and_not1_saveexec_b32 s0, s4
	s_cbranch_execnz .LBB21_98
	s_branch .LBB21_99
.LBB21_97:
	s_and_not1_saveexec_b32 s0, s4
.LBB21_98:
	v_rndne_f32_e32 v5, v7
	s_delay_alu instid0(VALU_DEP_1) | instskip(SKIP_1) | instid1(VALU_DEP_2)
	v_fma_f32 v4, 0xbfc90fda, v5, |v0|
	v_cvt_i32_f32_e32 v6, v5
	v_fmamk_f32 v4, v5, 0xb3a22168, v4
	s_delay_alu instid0(VALU_DEP_1)
	v_fmamk_f32 v4, v5, 0xa7c234c4, v4
.LBB21_99:
	s_or_b32 exec_lo, exec_lo, s0
	v_div_scale_f32 v5, null, v41, v41, 0x40a00000
	v_div_scale_f32 v9, vcc_lo, 0x40a00000, v41, 0x40a00000
	s_mov_b32 s0, 0xb94c1982
	s_delay_alu instid0(VALU_DEP_2) | instskip(SKIP_4) | instid1(VALU_DEP_1)
	v_rcp_f32_e32 v7, v5
	s_mov_b32 s1, 0x37d75334
	v_xor_b32_e32 v1, v1, v0
	s_waitcnt_depctr 0xfff
	v_fma_f32 v8, -v5, v7, 1.0
	v_fmac_f32_e32 v7, v8, v7
	s_delay_alu instid0(VALU_DEP_1) | instskip(NEXT) | instid1(VALU_DEP_1)
	v_mul_f32_e32 v8, v9, v7
	v_fma_f32 v10, -v5, v8, v9
	s_delay_alu instid0(VALU_DEP_1) | instskip(SKIP_1) | instid1(VALU_DEP_2)
	v_fmac_f32_e32 v8, v10, v7
	v_mul_f32_e32 v10, v4, v4
	v_fma_f32 v5, -v5, v8, v9
	s_delay_alu instid0(VALU_DEP_2) | instskip(SKIP_1) | instid1(VALU_DEP_3)
	v_fmaak_f32 v19, s0, v10, 0x3c0881c4
	v_fmaak_f32 v20, s1, v10, 0xbab64f3b
	v_div_fmas_f32 v5, v5, v7, v8
	v_mul_f32_e32 v7, v2, v2
	s_delay_alu instid0(VALU_DEP_4)
	v_fmaak_f32 v19, v10, v19, 0xbe2aaa9d
	v_mul_f32_e32 v16, 0x4f800000, v41
	v_fmaak_f32 v20, v10, v20, 0x3d2aabf7
	v_div_fixup_f32 v5, v5, v41, 0x40a00000
	v_fmaak_f32 v17, s0, v7, 0x3c0881c4
	v_cmp_gt_f32_e64 s0, 0xf800000, v41
	v_fmaak_f32 v18, s1, v7, 0xbab64f3b
	v_mul_f32_e32 v19, v10, v19
	v_dual_mul_f32 v9, v5, v5 :: v_dual_and_b32 v8, 1, v3
	v_lshlrev_b32_e32 v3, 30, v3
	v_and_b32_e32 v11, 1, v6
	v_cndmask_b32_e64 v16, v41, v16, s0
	s_delay_alu instid0(VALU_DEP_4) | instskip(SKIP_3) | instid1(VALU_DEP_4)
	v_fmaak_f32 v14, 0, v9, 0x3a47c962
	v_fmaak_f32 v13, 0, v9, 0x3a15c4d9
	;; [unrolled: 1-line block ×3, first 2 shown]
	v_dual_fmaak_f32 v15, 0, v9, 0x42947983 :: v_dual_lshlrev_b32 v6, 30, v6
	v_fmaak_f32 v14, v9, v14, 0x3d95ca45
	s_delay_alu instid0(VALU_DEP_4) | instskip(SKIP_2) | instid1(VALU_DEP_3)
	v_dual_fmaak_f32 v13, v9, v13, 0x3d8cfeeb :: v_dual_fmac_f32 v4, v4, v19
	v_sqrt_f32_e32 v24, v16
	v_fmaak_f32 v17, v7, v17, 0xbe2aaa9d
	v_fmaak_f32 v14, v9, v14, 0x3f9047f6
	s_delay_alu instid0(VALU_DEP_3)
	v_fmaak_f32 v13, v9, v13, 0x3f8d754e
	v_fmaak_f32 v12, v9, v12, 0x409f6dae
	;; [unrolled: 1-line block ×3, first 2 shown]
	v_mul_f32_e32 v17, v7, v17
	v_fmaak_f32 v15, v9, v15, 0x44840e5d
	v_fmaak_f32 v20, v10, v20, 0xbf000004
	v_cmp_eq_u32_e64 s2, 0, v8
	v_fmaak_f32 v18, v7, v18, 0xbf000004
	v_fmac_f32_e32 v2, v2, v17
	v_fmaak_f32 v13, v9, v13, 0x40a25d18
	v_fmaak_f32 v15, v9, v15, 0x459bd349
	v_fma_f32 v10, v10, v20, 1.0
	v_fma_f32 v7, v7, v18, 1.0
	v_and_b32_e32 v3, 0x80000000, v3
	v_dual_fmaak_f32 v14, v9, v14, 0x40a39628 :: v_dual_add_nc_u32 v19, -1, v24
	v_fmaak_f32 v13, v9, v13, 0x410665cf
	v_fmaak_f32 v15, v9, v15, 0x46156947
	v_cndmask_b32_e64 v2, v7, v2, s2
	v_cmp_eq_u32_e64 s2, 0, v11
	v_fmaak_f32 v14, v9, v14, 0x4106c8e4
	v_fmaak_f32 v13, v9, v13, 0x40a6b6ea
	;; [unrolled: 1-line block ×3, first 2 shown]
	v_fma_f32 v7, -v19, v24, v16
	v_cndmask_b32_e64 v4, -v4, v10, s2
	v_fmaak_f32 v14, v9, v14, 0x40a6dd51
	v_fma_f32 v13, v9, v13, 1.0
	v_fmaak_f32 v15, v9, v15, 0x4530a316
	v_xor3_b32 v1, v1, v3, v2
	v_and_b32_e32 v6, 0x80000000, v6
	v_fma_f32 v14, v9, v14, 1.0
	s_delay_alu instid0(VALU_DEP_4) | instskip(NEXT) | instid1(VALU_DEP_3)
	v_fmaak_f32 v15, v9, v15, 0x43a80bfb
	v_xor_b32_e32 v4, v6, v4
	s_delay_alu instid0(VALU_DEP_3) | instskip(SKIP_1) | instid1(VALU_DEP_1)
	v_div_scale_f32 v27, vcc_lo, v14, v13, v14
	v_fmaak_f32 v12, v9, v12, 0x4297a5cd
	v_fmaak_f32 v12, v9, v12, 0x43b763ca
	s_delay_alu instid0(VALU_DEP_1) | instskip(NEXT) | instid1(VALU_DEP_1)
	v_fmaak_f32 v12, v9, v12, 0x4431b6ce
	v_fmaak_f32 v12, v9, v12, 0x44155f56
	s_delay_alu instid0(VALU_DEP_1) | instskip(NEXT) | instid1(VALU_DEP_1)
	v_fmaak_f32 v12, v9, v12, 0x4353b052
	v_fmaak_f32 v9, v9, v12, 0x41c9a7fa
	v_div_scale_f32 v12, null, v13, v13, v14
	s_delay_alu instid0(VALU_DEP_2) | instskip(NEXT) | instid1(VALU_DEP_2)
	v_div_scale_f32 v21, null, v15, v15, v9
	v_rcp_f32_e32 v22, v12
	s_delay_alu instid0(VALU_DEP_1) | instskip(SKIP_3) | instid1(VALU_DEP_2)
	v_rcp_f32_e32 v23, v21
	s_waitcnt_depctr 0xfff
	v_fma_f32 v25, -v12, v22, 1.0
	v_fma_f32 v26, -v21, v23, 1.0
	v_fmac_f32_e32 v22, v25, v22
	v_div_scale_f32 v25, s1, v9, v15, v9
	s_delay_alu instid0(VALU_DEP_3) | instskip(NEXT) | instid1(VALU_DEP_1)
	v_dual_fmac_f32 v23, v26, v23 :: v_dual_add_nc_u32 v26, 1, v24
	v_dual_mul_f32 v17, v27, v22 :: v_dual_mul_f32 v18, v25, v23
	s_delay_alu instid0(VALU_DEP_2) | instskip(NEXT) | instid1(VALU_DEP_2)
	v_fma_f32 v8, -v26, v24, v16
	v_fma_f32 v20, -v12, v17, v27
	s_delay_alu instid0(VALU_DEP_3) | instskip(NEXT) | instid1(VALU_DEP_2)
	v_fma_f32 v28, -v21, v18, v25
	v_fmac_f32_e32 v17, v20, v22
	s_delay_alu instid0(VALU_DEP_2) | instskip(NEXT) | instid1(VALU_DEP_2)
	v_fmac_f32_e32 v18, v28, v23
	v_fma_f32 v10, -v12, v17, v27
	s_delay_alu instid0(VALU_DEP_2) | instskip(NEXT) | instid1(VALU_DEP_2)
	v_fma_f32 v2, -v21, v18, v25
	v_div_fmas_f32 v3, v10, v22, v17
	s_mov_b32 vcc_lo, s1
	v_cmp_lt_f32_e64 s1, 0, v8
	s_delay_alu instid0(VALU_DEP_3)
	v_div_fmas_f32 v2, v2, v23, v18
	v_cmp_ge_f32_e32 vcc_lo, 0, v7
	v_div_fixup_f32 v3, v3, v13, v14
	v_cndmask_b32_e32 v6, v24, v19, vcc_lo
	v_cmp_class_f32_e64 vcc_lo, v0, 0x1f8
	v_div_fixup_f32 v0, v2, v15, v9
	s_delay_alu instid0(VALU_DEP_3) | instskip(SKIP_1) | instid1(VALU_DEP_3)
	v_cndmask_b32_e64 v2, v6, v26, s1
	v_cndmask_b32_e32 v4, 0x7fc00000, v4, vcc_lo
	v_dual_mul_f32 v0, v5, v0 :: v_dual_cndmask_b32 v1, 0x7fc00000, v1
	v_cmp_class_f32_e64 vcc_lo, v16, 0x260
	s_delay_alu instid0(VALU_DEP_2) | instskip(NEXT) | instid1(VALU_DEP_1)
	v_dual_mul_f32 v5, 0x37800000, v2 :: v_dual_mul_f32 v0, v0, v4
	v_cndmask_b32_e64 v2, v2, v5, s0
	s_delay_alu instid0(VALU_DEP_1) | instskip(NEXT) | instid1(VALU_DEP_1)
	v_dual_fmac_f32 v0, v3, v1 :: v_dual_cndmask_b32 v1, v2, v16
	v_mul_f32_e32 v0, 0x3f4c422a, v0
	s_delay_alu instid0(VALU_DEP_1) | instskip(NEXT) | instid1(VALU_DEP_1)
	v_div_scale_f32 v2, null, v1, v1, v0
	v_rcp_f32_e32 v3, v2
	s_waitcnt_depctr 0xfff
	v_fma_f32 v4, -v2, v3, 1.0
	s_delay_alu instid0(VALU_DEP_1) | instskip(SKIP_1) | instid1(VALU_DEP_1)
	v_fmac_f32_e32 v3, v4, v3
	v_div_scale_f32 v4, vcc_lo, v0, v1, v0
	v_mul_f32_e32 v5, v4, v3
	s_delay_alu instid0(VALU_DEP_1) | instskip(NEXT) | instid1(VALU_DEP_1)
	v_fma_f32 v6, -v2, v5, v4
	v_fmac_f32_e32 v5, v6, v3
	s_delay_alu instid0(VALU_DEP_1) | instskip(NEXT) | instid1(VALU_DEP_1)
	v_fma_f32 v2, -v2, v5, v4
	v_div_fmas_f32 v2, v2, v3, v5
	s_delay_alu instid0(VALU_DEP_1)
	v_div_fixup_f32 v57, v2, v1, v0
.LBB21_100:
	s_or_b32 exec_lo, exec_lo, s3
	global_load_b32 v41, v56, s[38:39]
                                        ; implicit-def: $vgpr56
	s_mov_b32 s0, exec_lo
	s_waitcnt vmcnt(0)
	v_cmpx_ge_f32_e32 0x40a00000, v41
	s_xor_b32 s35, exec_lo, s0
	s_cbranch_execz .LBB21_106
; %bb.101:
	v_mov_b32_e32 v56, 0xff800000
	s_mov_b32 s40, exec_lo
	v_cmpx_neq_f32_e32 0, v41
	s_cbranch_execz .LBB21_105
; %bb.102:
	v_mov_b32_e32 v56, 0x7fc00000
	s_mov_b32 s41, exec_lo
	v_cmpx_nge_f32_e32 0, v41
	s_cbranch_execz .LBB21_104
; %bb.103:
	v_mul_f32_e32 v0, v41, v41
	s_getpc_b64 s[0:1]
	s_add_u32 s0, s0, _Z17bessel_j1_forwardIfET_S0_@rel32@lo+4
	s_addc_u32 s1, s1, _Z17bessel_j1_forwardIfET_S0_@rel32@hi+12
	s_delay_alu instid0(VALU_DEP_1) | instskip(SKIP_1) | instid1(VALU_DEP_2)
	v_fmaak_f32 v1, 0, v0, 0x4414934d
	v_fmaak_f32 v2, 0, v0, 0x4e9695f3
	;; [unrolled: 1-line block ×3, first 2 shown]
	s_delay_alu instid0(VALU_DEP_2) | instskip(NEXT) | instid1(VALU_DEP_2)
	v_fmaak_f32 v2, v0, v2, 0xd316b96b
	v_fmaak_f32 v1, v0, v1, 0x4c8c277d
	s_delay_alu instid0(VALU_DEP_2) | instskip(NEXT) | instid1(VALU_DEP_2)
	v_fmaak_f32 v2, v0, v2, 0x56d04aa6
	v_fmaak_f32 v1, v0, v1, 0x508bc61d
	s_delay_alu instid0(VALU_DEP_2) | instskip(NEXT) | instid1(VALU_DEP_2)
	v_fmaak_f32 v2, v0, v2, 0xd9e700d2
	v_fmaak_f32 v1, v0, v1, 0x5461faf8
	s_delay_alu instid0(VALU_DEP_2) | instskip(NEXT) | instid1(VALU_DEP_2)
	v_fmaak_f32 v2, v0, v2, 0x5c33cd68
	v_fmaak_f32 v1, v0, v1, 0x580d1937
	s_delay_alu instid0(VALU_DEP_2) | instskip(NEXT) | instid1(VALU_DEP_2)
	v_fmaak_f32 v2, v0, v2, 0xdd2cf20b
	v_fmaak_f32 v1, v0, v1, 0x5b741f1e
	s_delay_alu instid0(VALU_DEP_1) | instskip(NEXT) | instid1(VALU_DEP_1)
	v_fmaak_f32 v0, v0, v1, 0x5e5c878d
	v_div_scale_f32 v1, null, v0, v0, v2
	v_div_scale_f32 v5, vcc_lo, v2, v0, v2
	s_delay_alu instid0(VALU_DEP_2) | instskip(SKIP_2) | instid1(VALU_DEP_1)
	v_rcp_f32_e32 v3, v1
	s_waitcnt_depctr 0xfff
	v_fma_f32 v4, -v1, v3, 1.0
	v_fmac_f32_e32 v3, v4, v3
	s_delay_alu instid0(VALU_DEP_1) | instskip(NEXT) | instid1(VALU_DEP_1)
	v_mul_f32_e32 v4, v5, v3
	v_fma_f32 v6, -v1, v4, v5
	s_delay_alu instid0(VALU_DEP_1) | instskip(NEXT) | instid1(VALU_DEP_1)
	v_fmac_f32_e32 v4, v6, v3
	v_fma_f32 v1, -v1, v4, v5
	s_delay_alu instid0(VALU_DEP_1) | instskip(NEXT) | instid1(VALU_DEP_1)
	v_div_fmas_f32 v1, v1, v3, v4
	v_div_fixup_f32 v58, v1, v0, v2
	v_mov_b32_e32 v0, v41
	s_swappc_b64 s[30:31], s[0:1]
	v_div_scale_f32 v1, null, v41, v41, -1.0
	v_cmp_gt_f32_e32 vcc_lo, 0x800000, v41
	v_div_scale_f32 v5, s0, -1.0, v41, -1.0
	s_delay_alu instid0(VALU_DEP_3) | instskip(SKIP_3) | instid1(VALU_DEP_1)
	v_rcp_f32_e32 v3, v1
	v_cndmask_b32_e64 v2, 1.0, 0x4f800000, vcc_lo
	s_waitcnt_depctr 0xfff
	v_fma_f32 v4, -v1, v3, 1.0
	v_dual_mul_f32 v2, v41, v2 :: v_dual_fmac_f32 v3, v4, v3
	s_delay_alu instid0(VALU_DEP_1) | instskip(SKIP_3) | instid1(VALU_DEP_2)
	v_log_f32_e32 v2, v2
	s_waitcnt_depctr 0xfff
	v_mul_f32_e32 v4, 0x3f317217, v2
	v_cmp_gt_f32_e64 s1, 0x7f800000, |v2|
	v_fma_f32 v7, 0x3f317217, v2, -v4
	s_delay_alu instid0(VALU_DEP_1) | instskip(NEXT) | instid1(VALU_DEP_1)
	v_dual_mul_f32 v6, v5, v3 :: v_dual_fmamk_f32 v7, v2, 0x3377d1cf, v7
	v_fma_f32 v8, -v1, v6, v5
	s_delay_alu instid0(VALU_DEP_2) | instskip(NEXT) | instid1(VALU_DEP_2)
	v_add_f32_e32 v4, v4, v7
	v_fmac_f32_e32 v6, v8, v3
	s_delay_alu instid0(VALU_DEP_2) | instskip(NEXT) | instid1(VALU_DEP_2)
	v_cndmask_b32_e64 v2, v2, v4, s1
	v_fma_f32 v1, -v1, v6, v5
	v_cndmask_b32_e64 v4, 0, 0x41b17218, vcc_lo
	s_mov_b32 vcc_lo, s0
	s_delay_alu instid0(VALU_DEP_2) | instskip(NEXT) | instid1(VALU_DEP_2)
	v_div_fmas_f32 v1, v1, v3, v6
	v_sub_f32_e32 v2, v2, v4
	s_delay_alu instid0(VALU_DEP_2) | instskip(NEXT) | instid1(VALU_DEP_1)
	v_div_fixup_f32 v1, v1, v41, -1.0
	v_fmac_f32_e32 v1, v2, v0
	s_delay_alu instid0(VALU_DEP_1) | instskip(NEXT) | instid1(VALU_DEP_1)
	v_mul_f32_e32 v56, 0x3f22f983, v1
	v_fmac_f32_e32 v56, v41, v58
.LBB21_104:
	s_or_b32 exec_lo, exec_lo, s41
.LBB21_105:
	s_delay_alu instid0(SALU_CYCLE_1)
	s_or_b32 exec_lo, exec_lo, s40
                                        ; implicit-def: $vgpr41
.LBB21_106:
	s_and_not1_saveexec_b32 s3, s35
	s_cbranch_execz .LBB21_116
; %bb.107:
	v_add_f32_e32 v0, 0xc016cbe4, v41
                                        ; implicit-def: $vgpr3
                                        ; implicit-def: $vgpr2
	s_delay_alu instid0(VALU_DEP_1) | instskip(SKIP_1) | instid1(VALU_DEP_2)
	v_and_b32_e32 v1, 0x7fffffff, v0
	v_cmp_ngt_f32_e64 s4, 0x48000000, |v0|
	v_lshrrev_b32_e32 v5, 23, v1
	s_delay_alu instid0(VALU_DEP_2) | instskip(NEXT) | instid1(SALU_CYCLE_1)
	s_and_saveexec_b32 s0, s4
	s_xor_b32 s5, exec_lo, s0
	s_cbranch_execz .LBB21_109
; %bb.108:
	s_mov_b32 s0, 0x7fffff
	v_mov_b32_e32 v4, 0
	v_and_or_b32 v13, v1, s0, 0x800000
	v_add_nc_u32_e32 v11, 0xffffff88, v5
	s_delay_alu instid0(VALU_DEP_2) | instskip(NEXT) | instid1(VALU_DEP_2)
	v_mad_u64_u32 v[2:3], null, 0xfe5163ab, v13, 0
	v_cmp_lt_u32_e32 vcc_lo, 63, v11
	v_cndmask_b32_e64 v12, 0, 0xffffffc0, vcc_lo
	s_delay_alu instid0(VALU_DEP_3) | instskip(NEXT) | instid1(VALU_DEP_1)
	v_mad_u64_u32 v[6:7], null, 0x3c439041, v13, v[3:4]
	v_dual_mov_b32 v3, v7 :: v_dual_add_nc_u32 v12, v12, v11
	s_delay_alu instid0(VALU_DEP_1) | instskip(NEXT) | instid1(VALU_DEP_2)
	v_cmp_lt_u32_e64 s0, 31, v12
	v_mad_u64_u32 v[7:8], null, 0xdb629599, v13, v[3:4]
	s_delay_alu instid0(VALU_DEP_2) | instskip(NEXT) | instid1(VALU_DEP_1)
	v_cndmask_b32_e64 v14, 0, 0xffffffe0, s0
	v_dual_mov_b32 v3, v8 :: v_dual_add_nc_u32 v14, v14, v12
	s_delay_alu instid0(VALU_DEP_3) | instskip(NEXT) | instid1(VALU_DEP_2)
	v_cndmask_b32_e32 v2, v7, v2, vcc_lo
	v_cmp_lt_u32_e64 s1, 31, v14
	s_delay_alu instid0(VALU_DEP_3) | instskip(NEXT) | instid1(VALU_DEP_1)
	v_mad_u64_u32 v[8:9], null, 0xf534ddc0, v13, v[3:4]
	v_dual_mov_b32 v3, v9 :: v_dual_cndmask_b32 v6, v8, v6
	s_delay_alu instid0(VALU_DEP_1) | instskip(NEXT) | instid1(VALU_DEP_2)
	v_mad_u64_u32 v[9:10], null, 0xfc2757d1, v13, v[3:4]
	v_cndmask_b32_e64 v2, v6, v2, s0
	s_delay_alu instid0(VALU_DEP_2) | instskip(NEXT) | instid1(VALU_DEP_1)
	v_mov_b32_e32 v3, v10
	v_mad_u64_u32 v[10:11], null, 0x4e441529, v13, v[3:4]
	s_delay_alu instid0(VALU_DEP_1) | instskip(NEXT) | instid1(VALU_DEP_1)
	v_mov_b32_e32 v3, v11
	v_mad_u64_u32 v[11:12], null, 0xa2f9836e, v13, v[3:4]
	v_cndmask_b32_e64 v3, 0, 0xffffffe0, s1
	s_delay_alu instid0(VALU_DEP_1) | instskip(NEXT) | instid1(VALU_DEP_3)
	v_dual_cndmask_b32 v4, v10, v8 :: v_dual_add_nc_u32 v3, v3, v14
	v_dual_cndmask_b32 v11, v11, v9 :: v_dual_cndmask_b32 v10, v12, v10
	v_cndmask_b32_e32 v9, v9, v7, vcc_lo
	s_delay_alu instid0(VALU_DEP_3) | instskip(NEXT) | instid1(VALU_DEP_3)
	v_cmp_eq_u32_e64 s2, 0, v3
	v_cndmask_b32_e64 v8, v11, v4, s0
	s_delay_alu instid0(VALU_DEP_4) | instskip(NEXT) | instid1(VALU_DEP_4)
	v_cndmask_b32_e64 v10, v10, v11, s0
	v_cndmask_b32_e64 v4, v4, v9, s0
	v_sub_nc_u32_e32 v11, 32, v3
	v_cndmask_b32_e64 v9, v9, v6, s0
	s_delay_alu instid0(VALU_DEP_4) | instskip(NEXT) | instid1(VALU_DEP_4)
	v_cndmask_b32_e64 v10, v10, v8, s1
	v_cndmask_b32_e64 v8, v8, v4, s1
	s_delay_alu instid0(VALU_DEP_3) | instskip(SKIP_1) | instid1(VALU_DEP_3)
	v_cndmask_b32_e64 v4, v4, v9, s1
	v_cndmask_b32_e64 v2, v9, v2, s1
	v_alignbit_b32 v12, v10, v8, v11
	s_delay_alu instid0(VALU_DEP_3) | instskip(NEXT) | instid1(VALU_DEP_3)
	v_alignbit_b32 v13, v8, v4, v11
	v_alignbit_b32 v11, v4, v2, v11
	s_delay_alu instid0(VALU_DEP_3) | instskip(NEXT) | instid1(VALU_DEP_3)
	v_cndmask_b32_e64 v3, v12, v10, s2
	v_cndmask_b32_e64 v7, v13, v8, s2
	s_delay_alu instid0(VALU_DEP_3) | instskip(NEXT) | instid1(VALU_DEP_3)
	v_cndmask_b32_e64 v4, v11, v4, s2
	v_bfe_u32 v8, v3, 29, 1
	s_delay_alu instid0(VALU_DEP_3) | instskip(NEXT) | instid1(VALU_DEP_3)
	v_alignbit_b32 v6, v3, v7, 30
	v_alignbit_b32 v7, v7, v4, 30
	;; [unrolled: 1-line block ×3, first 2 shown]
	s_delay_alu instid0(VALU_DEP_4) | instskip(NEXT) | instid1(VALU_DEP_1)
	v_sub_nc_u32_e32 v10, 0, v8
	v_xor_b32_e32 v9, v6, v10
	v_cmp_ne_u32_e32 vcc_lo, v6, v10
	v_xor_b32_e32 v4, v7, v10
	v_xor_b32_e32 v2, v2, v10
	s_delay_alu instid0(VALU_DEP_4) | instskip(NEXT) | instid1(VALU_DEP_1)
	v_clz_i32_u32_e32 v12, v9
	v_add_nc_u32_e32 v11, 1, v12
	s_delay_alu instid0(VALU_DEP_1) | instskip(NEXT) | instid1(VALU_DEP_1)
	v_cndmask_b32_e32 v6, 33, v11, vcc_lo
	v_sub_nc_u32_e32 v7, 32, v6
	s_delay_alu instid0(VALU_DEP_1) | instskip(SKIP_3) | instid1(VALU_DEP_3)
	v_alignbit_b32 v9, v9, v4, v7
	v_alignbit_b32 v2, v4, v2, v7
	v_lshrrev_b32_e32 v4, 29, v3
	v_lshrrev_b32_e32 v3, 30, v3
	v_alignbit_b32 v7, v9, v2, 9
	s_delay_alu instid0(VALU_DEP_3) | instskip(SKIP_1) | instid1(VALU_DEP_4)
	v_lshlrev_b32_e32 v4, 31, v4
	v_alignbit_b32 v9, v6, v9, 9
	v_add_nc_u32_e32 v3, v8, v3
	s_delay_alu instid0(VALU_DEP_4) | instskip(NEXT) | instid1(VALU_DEP_3)
	v_clz_i32_u32_e32 v10, v7
	v_or_b32_e32 v9, v9, v4
	v_or_b32_e32 v4, 0x33800000, v4
	s_delay_alu instid0(VALU_DEP_3) | instskip(NEXT) | instid1(VALU_DEP_3)
	v_min_u32_e32 v10, 32, v10
	v_xor_b32_e32 v9, 1.0, v9
	s_delay_alu instid0(VALU_DEP_2) | instskip(SKIP_1) | instid1(VALU_DEP_3)
	v_sub_nc_u32_e32 v11, 31, v10
	v_add_lshl_u32 v6, v10, v6, 23
	v_mul_f32_e32 v10, 0x3fc90fda, v9
	s_delay_alu instid0(VALU_DEP_3) | instskip(NEXT) | instid1(VALU_DEP_3)
	v_alignbit_b32 v2, v7, v2, v11
	v_sub_nc_u32_e32 v4, v4, v6
	s_delay_alu instid0(VALU_DEP_3) | instskip(NEXT) | instid1(VALU_DEP_3)
	v_fma_f32 v6, 0x3fc90fda, v9, -v10
	v_lshrrev_b32_e32 v2, 9, v2
	s_delay_alu instid0(VALU_DEP_2) | instskip(NEXT) | instid1(VALU_DEP_2)
	v_fmamk_f32 v6, v9, 0x33a22168, v6
	v_or_b32_e32 v2, v4, v2
	s_delay_alu instid0(VALU_DEP_1) | instskip(NEXT) | instid1(VALU_DEP_1)
	v_fmac_f32_e32 v6, 0x3fc90fda, v2
	v_add_f32_e32 v2, v10, v6
	s_or_saveexec_b32 s0, s5
	v_mul_f32_e64 v7, 0x3f22f983, |v0|
	s_xor_b32 exec_lo, exec_lo, s0
	s_branch .LBB21_110
.LBB21_109:
	s_or_saveexec_b32 s0, s5
	v_mul_f32_e64 v7, 0x3f22f983, |v0|
	s_xor_b32 exec_lo, exec_lo, s0
.LBB21_110:
	s_delay_alu instid0(VALU_DEP_1) | instskip(NEXT) | instid1(VALU_DEP_1)
	v_rndne_f32_e32 v3, v7
	v_fma_f32 v2, 0xbfc90fda, v3, |v0|
	s_delay_alu instid0(VALU_DEP_1) | instskip(NEXT) | instid1(VALU_DEP_1)
	v_fmamk_f32 v2, v3, 0xb3a22168, v2
	v_fmamk_f32 v2, v3, 0xa7c234c4, v2
	v_cvt_i32_f32_e32 v3, v3
; %bb.111:
	s_or_b32 exec_lo, exec_lo, s0
                                        ; implicit-def: $vgpr6
                                        ; implicit-def: $vgpr4
	s_and_saveexec_b32 s0, s4
	s_delay_alu instid0(SALU_CYCLE_1)
	s_xor_b32 s4, exec_lo, s0
	s_cbranch_execz .LBB21_113
; %bb.112:
	s_mov_b32 s0, 0x7fffff
	v_mov_b32_e32 v8, 0
	v_and_or_b32 v15, v1, s0, 0x800000
	s_delay_alu instid0(VALU_DEP_1) | instskip(NEXT) | instid1(VALU_DEP_1)
	v_mad_u64_u32 v[6:7], null, 0xfe5163ab, v15, 0
	v_mad_u64_u32 v[9:10], null, 0x3c439041, v15, v[7:8]
	s_delay_alu instid0(VALU_DEP_1) | instskip(NEXT) | instid1(VALU_DEP_1)
	v_mov_b32_e32 v7, v10
	v_mad_u64_u32 v[10:11], null, 0xdb629599, v15, v[7:8]
	s_delay_alu instid0(VALU_DEP_1) | instskip(NEXT) | instid1(VALU_DEP_1)
	v_mov_b32_e32 v7, v11
	v_mad_u64_u32 v[11:12], null, 0xf534ddc0, v15, v[7:8]
	s_delay_alu instid0(VALU_DEP_1) | instskip(NEXT) | instid1(VALU_DEP_1)
	v_dual_mov_b32 v7, v12 :: v_dual_add_nc_u32 v12, 0xffffff88, v5
	v_mad_u64_u32 v[4:5], null, 0xfc2757d1, v15, v[7:8]
	s_delay_alu instid0(VALU_DEP_2) | instskip(SKIP_1) | instid1(VALU_DEP_3)
	v_cmp_lt_u32_e32 vcc_lo, 63, v12
	v_cndmask_b32_e64 v13, 0, 0xffffffc0, vcc_lo
	v_dual_mov_b32 v7, v5 :: v_dual_cndmask_b32 v6, v10, v6
	s_delay_alu instid0(VALU_DEP_2) | instskip(NEXT) | instid1(VALU_DEP_2)
	v_add_nc_u32_e32 v5, v13, v12
	v_mad_u64_u32 v[12:13], null, 0x4e441529, v15, v[7:8]
	s_delay_alu instid0(VALU_DEP_2) | instskip(NEXT) | instid1(VALU_DEP_2)
	v_cmp_lt_u32_e64 s0, 31, v5
	v_mov_b32_e32 v7, v13
	s_delay_alu instid0(VALU_DEP_2) | instskip(NEXT) | instid1(VALU_DEP_1)
	v_cndmask_b32_e64 v14, 0, 0xffffffe0, s0
	v_add_nc_u32_e32 v5, v14, v5
	s_delay_alu instid0(VALU_DEP_3) | instskip(SKIP_1) | instid1(VALU_DEP_3)
	v_mad_u64_u32 v[13:14], null, 0xa2f9836e, v15, v[7:8]
	v_cndmask_b32_e32 v8, v12, v11, vcc_lo
	v_cmp_lt_u32_e64 s1, 31, v5
	s_delay_alu instid0(VALU_DEP_3) | instskip(NEXT) | instid1(VALU_DEP_2)
	v_cndmask_b32_e32 v13, v13, v4, vcc_lo
	v_cndmask_b32_e64 v7, 0, 0xffffffe0, s1
	v_cndmask_b32_e32 v12, v14, v12, vcc_lo
	s_delay_alu instid0(VALU_DEP_2) | instskip(SKIP_2) | instid1(VALU_DEP_4)
	v_dual_cndmask_b32 v4, v4, v10 :: v_dual_add_nc_u32 v5, v7, v5
	v_cndmask_b32_e32 v7, v11, v9, vcc_lo
	v_cndmask_b32_e64 v9, v13, v8, s0
	v_cndmask_b32_e64 v11, v12, v13, s0
	s_delay_alu instid0(VALU_DEP_4)
	v_cndmask_b32_e64 v8, v8, v4, s0
	v_sub_nc_u32_e32 v12, 32, v5
	v_cndmask_b32_e64 v4, v4, v7, s0
	v_cmp_eq_u32_e64 s2, 0, v5
	v_cndmask_b32_e64 v11, v11, v9, s1
	v_cndmask_b32_e64 v9, v9, v8, s1
	;; [unrolled: 1-line block ×4, first 2 shown]
	s_delay_alu instid0(VALU_DEP_3) | instskip(NEXT) | instid1(VALU_DEP_3)
	v_alignbit_b32 v13, v11, v9, v12
	v_cndmask_b32_e64 v4, v4, v6, s1
	s_delay_alu instid0(VALU_DEP_3) | instskip(NEXT) | instid1(VALU_DEP_3)
	v_alignbit_b32 v14, v9, v8, v12
	v_cndmask_b32_e64 v5, v13, v11, s2
	;; [unrolled: 3-line block ×3, first 2 shown]
	s_delay_alu instid0(VALU_DEP_3) | instskip(NEXT) | instid1(VALU_DEP_3)
	v_bfe_u32 v10, v5, 29, 1
	v_cndmask_b32_e64 v8, v12, v8, s2
	s_delay_alu instid0(VALU_DEP_3) | instskip(NEXT) | instid1(VALU_DEP_3)
	v_alignbit_b32 v7, v5, v9, 30
	v_sub_nc_u32_e32 v11, 0, v10
	s_delay_alu instid0(VALU_DEP_3) | instskip(SKIP_1) | instid1(VALU_DEP_3)
	v_alignbit_b32 v9, v9, v8, 30
	v_alignbit_b32 v4, v8, v4, 30
	v_xor_b32_e32 v6, v7, v11
	v_cmp_ne_u32_e32 vcc_lo, v7, v11
	s_delay_alu instid0(VALU_DEP_4) | instskip(NEXT) | instid1(VALU_DEP_4)
	v_xor_b32_e32 v8, v9, v11
	v_xor_b32_e32 v4, v4, v11
	s_delay_alu instid0(VALU_DEP_4) | instskip(NEXT) | instid1(VALU_DEP_1)
	v_clz_i32_u32_e32 v13, v6
	v_add_nc_u32_e32 v12, 1, v13
	s_delay_alu instid0(VALU_DEP_1) | instskip(NEXT) | instid1(VALU_DEP_1)
	v_cndmask_b32_e32 v7, 33, v12, vcc_lo
	v_sub_nc_u32_e32 v9, 32, v7
	s_delay_alu instid0(VALU_DEP_1) | instskip(SKIP_3) | instid1(VALU_DEP_3)
	v_alignbit_b32 v6, v6, v8, v9
	v_alignbit_b32 v4, v8, v4, v9
	v_lshrrev_b32_e32 v8, 29, v5
	v_lshrrev_b32_e32 v5, 30, v5
	v_alignbit_b32 v9, v6, v4, 9
	s_delay_alu instid0(VALU_DEP_3) | instskip(SKIP_1) | instid1(VALU_DEP_3)
	v_lshlrev_b32_e32 v8, 31, v8
	v_alignbit_b32 v6, v7, v6, 9
	v_clz_i32_u32_e32 v11, v9
	s_delay_alu instid0(VALU_DEP_2) | instskip(SKIP_1) | instid1(VALU_DEP_3)
	v_or_b32_e32 v6, v6, v8
	v_or_b32_e32 v8, 0x33800000, v8
	v_min_u32_e32 v11, 32, v11
	s_delay_alu instid0(VALU_DEP_3) | instskip(NEXT) | instid1(VALU_DEP_2)
	v_xor_b32_e32 v6, 1.0, v6
	v_sub_nc_u32_e32 v12, 31, v11
	v_add_lshl_u32 v7, v11, v7, 23
	s_delay_alu instid0(VALU_DEP_3) | instskip(NEXT) | instid1(VALU_DEP_3)
	v_mul_f32_e32 v11, 0x3fc90fda, v6
	v_alignbit_b32 v4, v9, v4, v12
	s_delay_alu instid0(VALU_DEP_3) | instskip(NEXT) | instid1(VALU_DEP_3)
	v_sub_nc_u32_e32 v7, v8, v7
	v_fma_f32 v8, 0x3fc90fda, v6, -v11
	s_delay_alu instid0(VALU_DEP_3) | instskip(NEXT) | instid1(VALU_DEP_2)
	v_lshrrev_b32_e32 v4, 9, v4
	v_fmamk_f32 v6, v6, 0x33a22168, v8
	s_delay_alu instid0(VALU_DEP_2) | instskip(NEXT) | instid1(VALU_DEP_1)
	v_or_b32_e32 v4, v7, v4
                                        ; implicit-def: $vgpr7
	v_fmac_f32_e32 v6, 0x3fc90fda, v4
	s_delay_alu instid0(VALU_DEP_1)
	v_add_f32_e32 v4, v11, v6
	v_add_nc_u32_e32 v6, v10, v5
	s_and_not1_saveexec_b32 s0, s4
	s_cbranch_execnz .LBB21_114
	s_branch .LBB21_115
.LBB21_113:
	s_and_not1_saveexec_b32 s0, s4
.LBB21_114:
	v_rndne_f32_e32 v5, v7
	s_delay_alu instid0(VALU_DEP_1) | instskip(SKIP_1) | instid1(VALU_DEP_2)
	v_fma_f32 v4, 0xbfc90fda, v5, |v0|
	v_cvt_i32_f32_e32 v6, v5
	v_fmamk_f32 v4, v5, 0xb3a22168, v4
	s_delay_alu instid0(VALU_DEP_1)
	v_fmamk_f32 v4, v5, 0xa7c234c4, v4
.LBB21_115:
	s_or_b32 exec_lo, exec_lo, s0
	v_div_scale_f32 v5, null, v41, v41, 0x40a00000
	v_div_scale_f32 v9, vcc_lo, 0x40a00000, v41, 0x40a00000
	s_mov_b32 s0, 0xb94c1982
	s_delay_alu instid0(VALU_DEP_2) | instskip(SKIP_4) | instid1(VALU_DEP_1)
	v_rcp_f32_e32 v7, v5
	s_mov_b32 s1, 0x37d75334
	v_xor_b32_e32 v1, v1, v0
	s_waitcnt_depctr 0xfff
	v_fma_f32 v8, -v5, v7, 1.0
	v_fmac_f32_e32 v7, v8, v7
	s_delay_alu instid0(VALU_DEP_1) | instskip(NEXT) | instid1(VALU_DEP_1)
	v_mul_f32_e32 v8, v9, v7
	v_fma_f32 v10, -v5, v8, v9
	s_delay_alu instid0(VALU_DEP_1) | instskip(SKIP_1) | instid1(VALU_DEP_2)
	v_fmac_f32_e32 v8, v10, v7
	v_mul_f32_e32 v10, v4, v4
	v_fma_f32 v5, -v5, v8, v9
	s_delay_alu instid0(VALU_DEP_2) | instskip(SKIP_1) | instid1(VALU_DEP_3)
	v_fmaak_f32 v19, s0, v10, 0x3c0881c4
	v_fmaak_f32 v20, s1, v10, 0xbab64f3b
	v_div_fmas_f32 v5, v5, v7, v8
	v_mul_f32_e32 v7, v2, v2
	s_delay_alu instid0(VALU_DEP_4)
	v_fmaak_f32 v19, v10, v19, 0xbe2aaa9d
	v_mul_f32_e32 v16, 0x4f800000, v41
	v_fmaak_f32 v20, v10, v20, 0x3d2aabf7
	v_div_fixup_f32 v5, v5, v41, 0x40a00000
	v_fmaak_f32 v17, s0, v7, 0x3c0881c4
	v_cmp_gt_f32_e64 s0, 0xf800000, v41
	v_fmaak_f32 v18, s1, v7, 0xbab64f3b
	v_mul_f32_e32 v19, v10, v19
	v_dual_mul_f32 v9, v5, v5 :: v_dual_and_b32 v8, 1, v3
	v_lshlrev_b32_e32 v3, 30, v3
	v_and_b32_e32 v11, 1, v6
	v_cndmask_b32_e64 v16, v41, v16, s0
	s_delay_alu instid0(VALU_DEP_4) | instskip(SKIP_3) | instid1(VALU_DEP_4)
	v_fmaak_f32 v14, 0, v9, 0x3a47c962
	v_fmaak_f32 v13, 0, v9, 0x3a15c4d9
	;; [unrolled: 1-line block ×3, first 2 shown]
	v_dual_fmaak_f32 v15, 0, v9, 0x42947983 :: v_dual_lshlrev_b32 v6, 30, v6
	v_fmaak_f32 v14, v9, v14, 0x3d95ca45
	s_delay_alu instid0(VALU_DEP_4) | instskip(SKIP_2) | instid1(VALU_DEP_3)
	v_dual_fmaak_f32 v13, v9, v13, 0x3d8cfeeb :: v_dual_fmac_f32 v4, v4, v19
	v_sqrt_f32_e32 v24, v16
	v_fmaak_f32 v17, v7, v17, 0xbe2aaa9d
	v_fmaak_f32 v14, v9, v14, 0x3f9047f6
	s_delay_alu instid0(VALU_DEP_3)
	v_fmaak_f32 v13, v9, v13, 0x3f8d754e
	v_fmaak_f32 v12, v9, v12, 0x409f6dae
	;; [unrolled: 1-line block ×3, first 2 shown]
	v_mul_f32_e32 v17, v7, v17
	v_fmaak_f32 v15, v9, v15, 0x44840e5d
	v_fmaak_f32 v20, v10, v20, 0xbf000004
	v_cmp_eq_u32_e64 s2, 0, v8
	v_fmaak_f32 v18, v7, v18, 0xbf000004
	v_fmac_f32_e32 v2, v2, v17
	v_fmaak_f32 v13, v9, v13, 0x40a25d18
	v_fmaak_f32 v15, v9, v15, 0x459bd349
	v_fma_f32 v10, v10, v20, 1.0
	v_fma_f32 v7, v7, v18, 1.0
	v_and_b32_e32 v3, 0x80000000, v3
	v_dual_fmaak_f32 v14, v9, v14, 0x40a39628 :: v_dual_add_nc_u32 v19, -1, v24
	v_fmaak_f32 v13, v9, v13, 0x410665cf
	v_fmaak_f32 v15, v9, v15, 0x46156947
	v_cndmask_b32_e64 v2, v7, v2, s2
	v_cmp_eq_u32_e64 s2, 0, v11
	v_fmaak_f32 v14, v9, v14, 0x4106c8e4
	v_fmaak_f32 v13, v9, v13, 0x40a6b6ea
	;; [unrolled: 1-line block ×3, first 2 shown]
	v_fma_f32 v7, -v19, v24, v16
	v_cndmask_b32_e64 v4, -v4, v10, s2
	v_fmaak_f32 v14, v9, v14, 0x40a6dd51
	v_fma_f32 v13, v9, v13, 1.0
	v_fmaak_f32 v15, v9, v15, 0x4530a316
	v_xor3_b32 v1, v1, v3, v2
	v_and_b32_e32 v6, 0x80000000, v6
	v_fma_f32 v14, v9, v14, 1.0
	s_delay_alu instid0(VALU_DEP_4) | instskip(NEXT) | instid1(VALU_DEP_3)
	v_fmaak_f32 v15, v9, v15, 0x43a80bfb
	v_xor_b32_e32 v4, v6, v4
	s_delay_alu instid0(VALU_DEP_3) | instskip(SKIP_1) | instid1(VALU_DEP_1)
	v_div_scale_f32 v27, vcc_lo, v14, v13, v14
	v_fmaak_f32 v12, v9, v12, 0x4297a5cd
	v_fmaak_f32 v12, v9, v12, 0x43b763ca
	s_delay_alu instid0(VALU_DEP_1) | instskip(NEXT) | instid1(VALU_DEP_1)
	v_fmaak_f32 v12, v9, v12, 0x4431b6ce
	v_fmaak_f32 v12, v9, v12, 0x44155f56
	s_delay_alu instid0(VALU_DEP_1) | instskip(NEXT) | instid1(VALU_DEP_1)
	v_fmaak_f32 v12, v9, v12, 0x4353b052
	v_fmaak_f32 v9, v9, v12, 0x41c9a7fa
	v_div_scale_f32 v12, null, v13, v13, v14
	s_delay_alu instid0(VALU_DEP_2) | instskip(NEXT) | instid1(VALU_DEP_2)
	v_div_scale_f32 v21, null, v15, v15, v9
	v_rcp_f32_e32 v22, v12
	s_delay_alu instid0(VALU_DEP_1) | instskip(SKIP_3) | instid1(VALU_DEP_2)
	v_rcp_f32_e32 v23, v21
	s_waitcnt_depctr 0xfff
	v_fma_f32 v25, -v12, v22, 1.0
	v_fma_f32 v26, -v21, v23, 1.0
	v_fmac_f32_e32 v22, v25, v22
	v_div_scale_f32 v25, s1, v9, v15, v9
	s_delay_alu instid0(VALU_DEP_3) | instskip(NEXT) | instid1(VALU_DEP_1)
	v_dual_fmac_f32 v23, v26, v23 :: v_dual_add_nc_u32 v26, 1, v24
	v_dual_mul_f32 v17, v27, v22 :: v_dual_mul_f32 v18, v25, v23
	s_delay_alu instid0(VALU_DEP_2) | instskip(NEXT) | instid1(VALU_DEP_2)
	v_fma_f32 v8, -v26, v24, v16
	v_fma_f32 v20, -v12, v17, v27
	s_delay_alu instid0(VALU_DEP_3) | instskip(NEXT) | instid1(VALU_DEP_2)
	v_fma_f32 v28, -v21, v18, v25
	v_fmac_f32_e32 v17, v20, v22
	s_delay_alu instid0(VALU_DEP_2) | instskip(NEXT) | instid1(VALU_DEP_2)
	v_fmac_f32_e32 v18, v28, v23
	v_fma_f32 v10, -v12, v17, v27
	s_delay_alu instid0(VALU_DEP_2) | instskip(NEXT) | instid1(VALU_DEP_2)
	v_fma_f32 v2, -v21, v18, v25
	v_div_fmas_f32 v3, v10, v22, v17
	s_mov_b32 vcc_lo, s1
	v_cmp_lt_f32_e64 s1, 0, v8
	s_delay_alu instid0(VALU_DEP_3)
	v_div_fmas_f32 v2, v2, v23, v18
	v_cmp_ge_f32_e32 vcc_lo, 0, v7
	v_div_fixup_f32 v3, v3, v13, v14
	v_cndmask_b32_e32 v6, v24, v19, vcc_lo
	v_cmp_class_f32_e64 vcc_lo, v0, 0x1f8
	v_div_fixup_f32 v0, v2, v15, v9
	s_delay_alu instid0(VALU_DEP_3) | instskip(SKIP_1) | instid1(VALU_DEP_3)
	v_cndmask_b32_e64 v2, v6, v26, s1
	v_cndmask_b32_e32 v4, 0x7fc00000, v4, vcc_lo
	v_dual_mul_f32 v0, v5, v0 :: v_dual_cndmask_b32 v1, 0x7fc00000, v1
	v_cmp_class_f32_e64 vcc_lo, v16, 0x260
	s_delay_alu instid0(VALU_DEP_2) | instskip(NEXT) | instid1(VALU_DEP_1)
	v_dual_mul_f32 v5, 0x37800000, v2 :: v_dual_mul_f32 v0, v0, v4
	v_cndmask_b32_e64 v2, v2, v5, s0
	s_delay_alu instid0(VALU_DEP_1) | instskip(NEXT) | instid1(VALU_DEP_1)
	v_dual_fmac_f32 v0, v3, v1 :: v_dual_cndmask_b32 v1, v2, v16
	v_mul_f32_e32 v0, 0x3f4c422a, v0
	s_delay_alu instid0(VALU_DEP_1) | instskip(NEXT) | instid1(VALU_DEP_1)
	v_div_scale_f32 v2, null, v1, v1, v0
	v_rcp_f32_e32 v3, v2
	s_waitcnt_depctr 0xfff
	v_fma_f32 v4, -v2, v3, 1.0
	s_delay_alu instid0(VALU_DEP_1) | instskip(SKIP_1) | instid1(VALU_DEP_1)
	v_fmac_f32_e32 v3, v4, v3
	v_div_scale_f32 v4, vcc_lo, v0, v1, v0
	v_mul_f32_e32 v5, v4, v3
	s_delay_alu instid0(VALU_DEP_1) | instskip(NEXT) | instid1(VALU_DEP_1)
	v_fma_f32 v6, -v2, v5, v4
	v_fmac_f32_e32 v5, v6, v3
	s_delay_alu instid0(VALU_DEP_1) | instskip(NEXT) | instid1(VALU_DEP_1)
	v_fma_f32 v2, -v2, v5, v4
	v_div_fmas_f32 v2, v2, v3, v5
	s_delay_alu instid0(VALU_DEP_1)
	v_div_fixup_f32 v56, v2, v1, v0
.LBB21_116:
	s_or_b32 exec_lo, exec_lo, s3
	global_load_b32 v41, v46, s[38:39]
                                        ; implicit-def: $vgpr0
	s_mov_b32 s0, exec_lo
	s_waitcnt vmcnt(0)
	v_cmpx_ge_f32_e32 0x40a00000, v41
	s_xor_b32 s35, exec_lo, s0
	s_cbranch_execz .LBB21_122
; %bb.117:
	v_mov_b32_e32 v0, 0xff800000
	s_mov_b32 s38, exec_lo
	v_cmpx_neq_f32_e32 0, v41
	s_cbranch_execz .LBB21_121
; %bb.118:
	v_mov_b32_e32 v0, 0x7fc00000
	s_mov_b32 s39, exec_lo
	v_cmpx_nge_f32_e32 0, v41
	s_cbranch_execz .LBB21_120
; %bb.119:
	v_mul_f32_e32 v0, v41, v41
	s_getpc_b64 s[0:1]
	s_add_u32 s0, s0, _Z17bessel_j1_forwardIfET_S0_@rel32@lo+4
	s_addc_u32 s1, s1, _Z17bessel_j1_forwardIfET_S0_@rel32@hi+12
	s_delay_alu instid0(VALU_DEP_1) | instskip(SKIP_1) | instid1(VALU_DEP_2)
	v_fmaak_f32 v1, 0, v0, 0x4414934d
	v_fmaak_f32 v2, 0, v0, 0x4e9695f3
	;; [unrolled: 1-line block ×3, first 2 shown]
	s_delay_alu instid0(VALU_DEP_2) | instskip(NEXT) | instid1(VALU_DEP_2)
	v_fmaak_f32 v2, v0, v2, 0xd316b96b
	v_fmaak_f32 v1, v0, v1, 0x4c8c277d
	s_delay_alu instid0(VALU_DEP_2) | instskip(NEXT) | instid1(VALU_DEP_2)
	v_fmaak_f32 v2, v0, v2, 0x56d04aa6
	v_fmaak_f32 v1, v0, v1, 0x508bc61d
	;; [unrolled: 3-line block ×5, first 2 shown]
	s_delay_alu instid0(VALU_DEP_1) | instskip(NEXT) | instid1(VALU_DEP_1)
	v_fmaak_f32 v0, v0, v1, 0x5e5c878d
	v_div_scale_f32 v1, null, v0, v0, v2
	v_div_scale_f32 v5, vcc_lo, v2, v0, v2
	s_delay_alu instid0(VALU_DEP_2) | instskip(SKIP_2) | instid1(VALU_DEP_1)
	v_rcp_f32_e32 v3, v1
	s_waitcnt_depctr 0xfff
	v_fma_f32 v4, -v1, v3, 1.0
	v_fmac_f32_e32 v3, v4, v3
	s_delay_alu instid0(VALU_DEP_1) | instskip(NEXT) | instid1(VALU_DEP_1)
	v_mul_f32_e32 v4, v5, v3
	v_fma_f32 v6, -v1, v4, v5
	s_delay_alu instid0(VALU_DEP_1) | instskip(NEXT) | instid1(VALU_DEP_1)
	v_fmac_f32_e32 v4, v6, v3
	v_fma_f32 v1, -v1, v4, v5
	s_delay_alu instid0(VALU_DEP_1) | instskip(NEXT) | instid1(VALU_DEP_1)
	v_div_fmas_f32 v1, v1, v3, v4
	v_div_fixup_f32 v46, v1, v0, v2
	v_mov_b32_e32 v0, v41
	s_swappc_b64 s[30:31], s[0:1]
	v_div_scale_f32 v1, null, v41, v41, -1.0
	v_cmp_gt_f32_e32 vcc_lo, 0x800000, v41
	v_div_scale_f32 v5, s0, -1.0, v41, -1.0
	s_delay_alu instid0(VALU_DEP_3) | instskip(SKIP_3) | instid1(VALU_DEP_1)
	v_rcp_f32_e32 v3, v1
	v_cndmask_b32_e64 v2, 1.0, 0x4f800000, vcc_lo
	s_waitcnt_depctr 0xfff
	v_fma_f32 v4, -v1, v3, 1.0
	v_dual_mul_f32 v2, v41, v2 :: v_dual_fmac_f32 v3, v4, v3
	s_delay_alu instid0(VALU_DEP_1) | instskip(SKIP_3) | instid1(VALU_DEP_2)
	v_log_f32_e32 v2, v2
	s_waitcnt_depctr 0xfff
	v_mul_f32_e32 v4, 0x3f317217, v2
	v_cmp_gt_f32_e64 s1, 0x7f800000, |v2|
	v_fma_f32 v7, 0x3f317217, v2, -v4
	s_delay_alu instid0(VALU_DEP_1) | instskip(NEXT) | instid1(VALU_DEP_1)
	v_dual_mul_f32 v6, v5, v3 :: v_dual_fmamk_f32 v7, v2, 0x3377d1cf, v7
	v_fma_f32 v8, -v1, v6, v5
	s_delay_alu instid0(VALU_DEP_2) | instskip(NEXT) | instid1(VALU_DEP_2)
	v_add_f32_e32 v4, v4, v7
	v_fmac_f32_e32 v6, v8, v3
	s_delay_alu instid0(VALU_DEP_2) | instskip(NEXT) | instid1(VALU_DEP_2)
	v_cndmask_b32_e64 v2, v2, v4, s1
	v_fma_f32 v1, -v1, v6, v5
	v_cndmask_b32_e64 v4, 0, 0x41b17218, vcc_lo
	s_mov_b32 vcc_lo, s0
	s_delay_alu instid0(VALU_DEP_2) | instskip(NEXT) | instid1(VALU_DEP_2)
	v_div_fmas_f32 v1, v1, v3, v6
	v_sub_f32_e32 v2, v2, v4
	s_delay_alu instid0(VALU_DEP_2) | instskip(NEXT) | instid1(VALU_DEP_1)
	v_div_fixup_f32 v1, v1, v41, -1.0
	v_fmac_f32_e32 v1, v2, v0
	s_delay_alu instid0(VALU_DEP_1) | instskip(NEXT) | instid1(VALU_DEP_1)
	v_mul_f32_e32 v0, 0x3f22f983, v1
	v_fmac_f32_e32 v0, v41, v46
.LBB21_120:
	s_or_b32 exec_lo, exec_lo, s39
.LBB21_121:
	s_delay_alu instid0(SALU_CYCLE_1)
	s_or_b32 exec_lo, exec_lo, s38
                                        ; implicit-def: $vgpr41
.LBB21_122:
	s_and_not1_saveexec_b32 s3, s35
	s_cbranch_execz .LBB21_132
; %bb.123:
	v_add_f32_e32 v0, 0xc016cbe4, v41
                                        ; implicit-def: $vgpr3
                                        ; implicit-def: $vgpr2
	s_delay_alu instid0(VALU_DEP_1) | instskip(SKIP_1) | instid1(VALU_DEP_2)
	v_and_b32_e32 v1, 0x7fffffff, v0
	v_cmp_ngt_f32_e64 s4, 0x48000000, |v0|
	v_lshrrev_b32_e32 v5, 23, v1
	s_delay_alu instid0(VALU_DEP_2) | instskip(NEXT) | instid1(SALU_CYCLE_1)
	s_and_saveexec_b32 s0, s4
	s_xor_b32 s5, exec_lo, s0
	s_cbranch_execz .LBB21_125
; %bb.124:
	s_mov_b32 s0, 0x7fffff
	v_mov_b32_e32 v4, 0
	v_and_or_b32 v13, v1, s0, 0x800000
	v_add_nc_u32_e32 v11, 0xffffff88, v5
	s_delay_alu instid0(VALU_DEP_2) | instskip(NEXT) | instid1(VALU_DEP_2)
	v_mad_u64_u32 v[2:3], null, 0xfe5163ab, v13, 0
	v_cmp_lt_u32_e32 vcc_lo, 63, v11
	v_cndmask_b32_e64 v12, 0, 0xffffffc0, vcc_lo
	s_delay_alu instid0(VALU_DEP_3) | instskip(NEXT) | instid1(VALU_DEP_1)
	v_mad_u64_u32 v[6:7], null, 0x3c439041, v13, v[3:4]
	v_dual_mov_b32 v3, v7 :: v_dual_add_nc_u32 v12, v12, v11
	s_delay_alu instid0(VALU_DEP_1) | instskip(NEXT) | instid1(VALU_DEP_2)
	v_cmp_lt_u32_e64 s0, 31, v12
	v_mad_u64_u32 v[7:8], null, 0xdb629599, v13, v[3:4]
	s_delay_alu instid0(VALU_DEP_2) | instskip(NEXT) | instid1(VALU_DEP_1)
	v_cndmask_b32_e64 v14, 0, 0xffffffe0, s0
	v_dual_mov_b32 v3, v8 :: v_dual_add_nc_u32 v14, v14, v12
	s_delay_alu instid0(VALU_DEP_3) | instskip(NEXT) | instid1(VALU_DEP_2)
	v_cndmask_b32_e32 v2, v7, v2, vcc_lo
	v_cmp_lt_u32_e64 s1, 31, v14
	s_delay_alu instid0(VALU_DEP_3) | instskip(NEXT) | instid1(VALU_DEP_1)
	v_mad_u64_u32 v[8:9], null, 0xf534ddc0, v13, v[3:4]
	v_dual_mov_b32 v3, v9 :: v_dual_cndmask_b32 v6, v8, v6
	s_delay_alu instid0(VALU_DEP_1) | instskip(NEXT) | instid1(VALU_DEP_2)
	v_mad_u64_u32 v[9:10], null, 0xfc2757d1, v13, v[3:4]
	v_cndmask_b32_e64 v2, v6, v2, s0
	s_delay_alu instid0(VALU_DEP_2) | instskip(NEXT) | instid1(VALU_DEP_1)
	v_mov_b32_e32 v3, v10
	v_mad_u64_u32 v[10:11], null, 0x4e441529, v13, v[3:4]
	s_delay_alu instid0(VALU_DEP_1) | instskip(NEXT) | instid1(VALU_DEP_1)
	v_mov_b32_e32 v3, v11
	v_mad_u64_u32 v[11:12], null, 0xa2f9836e, v13, v[3:4]
	v_cndmask_b32_e64 v3, 0, 0xffffffe0, s1
	s_delay_alu instid0(VALU_DEP_1) | instskip(NEXT) | instid1(VALU_DEP_3)
	v_dual_cndmask_b32 v4, v10, v8 :: v_dual_add_nc_u32 v3, v3, v14
	v_dual_cndmask_b32 v11, v11, v9 :: v_dual_cndmask_b32 v10, v12, v10
	v_cndmask_b32_e32 v9, v9, v7, vcc_lo
	s_delay_alu instid0(VALU_DEP_3) | instskip(NEXT) | instid1(VALU_DEP_3)
	v_cmp_eq_u32_e64 s2, 0, v3
	v_cndmask_b32_e64 v8, v11, v4, s0
	s_delay_alu instid0(VALU_DEP_4) | instskip(NEXT) | instid1(VALU_DEP_4)
	v_cndmask_b32_e64 v10, v10, v11, s0
	v_cndmask_b32_e64 v4, v4, v9, s0
	v_sub_nc_u32_e32 v11, 32, v3
	v_cndmask_b32_e64 v9, v9, v6, s0
	s_delay_alu instid0(VALU_DEP_4) | instskip(NEXT) | instid1(VALU_DEP_4)
	v_cndmask_b32_e64 v10, v10, v8, s1
	v_cndmask_b32_e64 v8, v8, v4, s1
	s_delay_alu instid0(VALU_DEP_3) | instskip(SKIP_1) | instid1(VALU_DEP_3)
	v_cndmask_b32_e64 v4, v4, v9, s1
	v_cndmask_b32_e64 v2, v9, v2, s1
	v_alignbit_b32 v12, v10, v8, v11
	s_delay_alu instid0(VALU_DEP_3) | instskip(NEXT) | instid1(VALU_DEP_3)
	v_alignbit_b32 v13, v8, v4, v11
	v_alignbit_b32 v11, v4, v2, v11
	s_delay_alu instid0(VALU_DEP_3) | instskip(NEXT) | instid1(VALU_DEP_3)
	v_cndmask_b32_e64 v3, v12, v10, s2
	v_cndmask_b32_e64 v7, v13, v8, s2
	s_delay_alu instid0(VALU_DEP_3) | instskip(NEXT) | instid1(VALU_DEP_3)
	v_cndmask_b32_e64 v4, v11, v4, s2
	v_bfe_u32 v8, v3, 29, 1
	s_delay_alu instid0(VALU_DEP_3) | instskip(NEXT) | instid1(VALU_DEP_3)
	v_alignbit_b32 v6, v3, v7, 30
	v_alignbit_b32 v7, v7, v4, 30
	;; [unrolled: 1-line block ×3, first 2 shown]
	s_delay_alu instid0(VALU_DEP_4) | instskip(NEXT) | instid1(VALU_DEP_1)
	v_sub_nc_u32_e32 v10, 0, v8
	v_xor_b32_e32 v9, v6, v10
	v_cmp_ne_u32_e32 vcc_lo, v6, v10
	v_xor_b32_e32 v4, v7, v10
	v_xor_b32_e32 v2, v2, v10
	s_delay_alu instid0(VALU_DEP_4) | instskip(NEXT) | instid1(VALU_DEP_1)
	v_clz_i32_u32_e32 v12, v9
	v_add_nc_u32_e32 v11, 1, v12
	s_delay_alu instid0(VALU_DEP_1) | instskip(NEXT) | instid1(VALU_DEP_1)
	v_cndmask_b32_e32 v6, 33, v11, vcc_lo
	v_sub_nc_u32_e32 v7, 32, v6
	s_delay_alu instid0(VALU_DEP_1) | instskip(SKIP_3) | instid1(VALU_DEP_3)
	v_alignbit_b32 v9, v9, v4, v7
	v_alignbit_b32 v2, v4, v2, v7
	v_lshrrev_b32_e32 v4, 29, v3
	v_lshrrev_b32_e32 v3, 30, v3
	v_alignbit_b32 v7, v9, v2, 9
	s_delay_alu instid0(VALU_DEP_3) | instskip(SKIP_1) | instid1(VALU_DEP_4)
	v_lshlrev_b32_e32 v4, 31, v4
	v_alignbit_b32 v9, v6, v9, 9
	v_add_nc_u32_e32 v3, v8, v3
	s_delay_alu instid0(VALU_DEP_4) | instskip(NEXT) | instid1(VALU_DEP_3)
	v_clz_i32_u32_e32 v10, v7
	v_or_b32_e32 v9, v9, v4
	v_or_b32_e32 v4, 0x33800000, v4
	s_delay_alu instid0(VALU_DEP_3) | instskip(NEXT) | instid1(VALU_DEP_3)
	v_min_u32_e32 v10, 32, v10
	v_xor_b32_e32 v9, 1.0, v9
	s_delay_alu instid0(VALU_DEP_2) | instskip(SKIP_1) | instid1(VALU_DEP_3)
	v_sub_nc_u32_e32 v11, 31, v10
	v_add_lshl_u32 v6, v10, v6, 23
	v_mul_f32_e32 v10, 0x3fc90fda, v9
	s_delay_alu instid0(VALU_DEP_3) | instskip(NEXT) | instid1(VALU_DEP_3)
	v_alignbit_b32 v2, v7, v2, v11
	v_sub_nc_u32_e32 v4, v4, v6
	s_delay_alu instid0(VALU_DEP_3) | instskip(NEXT) | instid1(VALU_DEP_3)
	v_fma_f32 v6, 0x3fc90fda, v9, -v10
	v_lshrrev_b32_e32 v2, 9, v2
	s_delay_alu instid0(VALU_DEP_2) | instskip(NEXT) | instid1(VALU_DEP_2)
	v_fmamk_f32 v6, v9, 0x33a22168, v6
	v_or_b32_e32 v2, v4, v2
	s_delay_alu instid0(VALU_DEP_1) | instskip(NEXT) | instid1(VALU_DEP_1)
	v_fmac_f32_e32 v6, 0x3fc90fda, v2
	v_add_f32_e32 v2, v10, v6
	s_or_saveexec_b32 s0, s5
	v_mul_f32_e64 v7, 0x3f22f983, |v0|
	s_xor_b32 exec_lo, exec_lo, s0
	s_branch .LBB21_126
.LBB21_125:
	s_or_saveexec_b32 s0, s5
	v_mul_f32_e64 v7, 0x3f22f983, |v0|
	s_xor_b32 exec_lo, exec_lo, s0
.LBB21_126:
	s_delay_alu instid0(VALU_DEP_1) | instskip(NEXT) | instid1(VALU_DEP_1)
	v_rndne_f32_e32 v3, v7
	v_fma_f32 v2, 0xbfc90fda, v3, |v0|
	s_delay_alu instid0(VALU_DEP_1) | instskip(NEXT) | instid1(VALU_DEP_1)
	v_fmamk_f32 v2, v3, 0xb3a22168, v2
	v_fmamk_f32 v2, v3, 0xa7c234c4, v2
	v_cvt_i32_f32_e32 v3, v3
; %bb.127:
	s_or_b32 exec_lo, exec_lo, s0
                                        ; implicit-def: $vgpr6
                                        ; implicit-def: $vgpr4
	s_and_saveexec_b32 s0, s4
	s_delay_alu instid0(SALU_CYCLE_1)
	s_xor_b32 s4, exec_lo, s0
	s_cbranch_execz .LBB21_129
; %bb.128:
	s_mov_b32 s0, 0x7fffff
	v_mov_b32_e32 v8, 0
	v_and_or_b32 v15, v1, s0, 0x800000
	s_delay_alu instid0(VALU_DEP_1) | instskip(NEXT) | instid1(VALU_DEP_1)
	v_mad_u64_u32 v[6:7], null, 0xfe5163ab, v15, 0
	v_mad_u64_u32 v[9:10], null, 0x3c439041, v15, v[7:8]
	s_delay_alu instid0(VALU_DEP_1) | instskip(NEXT) | instid1(VALU_DEP_1)
	v_mov_b32_e32 v7, v10
	v_mad_u64_u32 v[10:11], null, 0xdb629599, v15, v[7:8]
	s_delay_alu instid0(VALU_DEP_1) | instskip(NEXT) | instid1(VALU_DEP_1)
	v_mov_b32_e32 v7, v11
	v_mad_u64_u32 v[11:12], null, 0xf534ddc0, v15, v[7:8]
	s_delay_alu instid0(VALU_DEP_1) | instskip(NEXT) | instid1(VALU_DEP_1)
	v_dual_mov_b32 v7, v12 :: v_dual_add_nc_u32 v12, 0xffffff88, v5
	v_mad_u64_u32 v[4:5], null, 0xfc2757d1, v15, v[7:8]
	s_delay_alu instid0(VALU_DEP_2) | instskip(SKIP_1) | instid1(VALU_DEP_3)
	v_cmp_lt_u32_e32 vcc_lo, 63, v12
	v_cndmask_b32_e64 v13, 0, 0xffffffc0, vcc_lo
	v_dual_mov_b32 v7, v5 :: v_dual_cndmask_b32 v6, v10, v6
	s_delay_alu instid0(VALU_DEP_2) | instskip(NEXT) | instid1(VALU_DEP_2)
	v_add_nc_u32_e32 v5, v13, v12
	v_mad_u64_u32 v[12:13], null, 0x4e441529, v15, v[7:8]
	s_delay_alu instid0(VALU_DEP_2) | instskip(NEXT) | instid1(VALU_DEP_2)
	v_cmp_lt_u32_e64 s0, 31, v5
	v_mov_b32_e32 v7, v13
	s_delay_alu instid0(VALU_DEP_2) | instskip(NEXT) | instid1(VALU_DEP_1)
	v_cndmask_b32_e64 v14, 0, 0xffffffe0, s0
	v_add_nc_u32_e32 v5, v14, v5
	s_delay_alu instid0(VALU_DEP_3) | instskip(SKIP_1) | instid1(VALU_DEP_3)
	v_mad_u64_u32 v[13:14], null, 0xa2f9836e, v15, v[7:8]
	v_cndmask_b32_e32 v8, v12, v11, vcc_lo
	v_cmp_lt_u32_e64 s1, 31, v5
	s_delay_alu instid0(VALU_DEP_3) | instskip(NEXT) | instid1(VALU_DEP_2)
	v_cndmask_b32_e32 v13, v13, v4, vcc_lo
	v_cndmask_b32_e64 v7, 0, 0xffffffe0, s1
	v_cndmask_b32_e32 v12, v14, v12, vcc_lo
	s_delay_alu instid0(VALU_DEP_2) | instskip(SKIP_2) | instid1(VALU_DEP_4)
	v_dual_cndmask_b32 v4, v4, v10 :: v_dual_add_nc_u32 v5, v7, v5
	v_cndmask_b32_e32 v7, v11, v9, vcc_lo
	v_cndmask_b32_e64 v9, v13, v8, s0
	v_cndmask_b32_e64 v11, v12, v13, s0
	s_delay_alu instid0(VALU_DEP_4)
	v_cndmask_b32_e64 v8, v8, v4, s0
	v_sub_nc_u32_e32 v12, 32, v5
	v_cndmask_b32_e64 v4, v4, v7, s0
	v_cmp_eq_u32_e64 s2, 0, v5
	v_cndmask_b32_e64 v11, v11, v9, s1
	v_cndmask_b32_e64 v9, v9, v8, s1
	;; [unrolled: 1-line block ×4, first 2 shown]
	s_delay_alu instid0(VALU_DEP_3) | instskip(NEXT) | instid1(VALU_DEP_3)
	v_alignbit_b32 v13, v11, v9, v12
	v_cndmask_b32_e64 v4, v4, v6, s1
	s_delay_alu instid0(VALU_DEP_3) | instskip(NEXT) | instid1(VALU_DEP_3)
	v_alignbit_b32 v14, v9, v8, v12
	v_cndmask_b32_e64 v5, v13, v11, s2
	;; [unrolled: 3-line block ×3, first 2 shown]
	s_delay_alu instid0(VALU_DEP_3) | instskip(NEXT) | instid1(VALU_DEP_3)
	v_bfe_u32 v10, v5, 29, 1
	v_cndmask_b32_e64 v8, v12, v8, s2
	s_delay_alu instid0(VALU_DEP_3) | instskip(NEXT) | instid1(VALU_DEP_3)
	v_alignbit_b32 v7, v5, v9, 30
	v_sub_nc_u32_e32 v11, 0, v10
	s_delay_alu instid0(VALU_DEP_3) | instskip(SKIP_1) | instid1(VALU_DEP_3)
	v_alignbit_b32 v9, v9, v8, 30
	v_alignbit_b32 v4, v8, v4, 30
	v_xor_b32_e32 v6, v7, v11
	v_cmp_ne_u32_e32 vcc_lo, v7, v11
	s_delay_alu instid0(VALU_DEP_4) | instskip(NEXT) | instid1(VALU_DEP_4)
	v_xor_b32_e32 v8, v9, v11
	v_xor_b32_e32 v4, v4, v11
	s_delay_alu instid0(VALU_DEP_4) | instskip(NEXT) | instid1(VALU_DEP_1)
	v_clz_i32_u32_e32 v13, v6
	v_add_nc_u32_e32 v12, 1, v13
	s_delay_alu instid0(VALU_DEP_1) | instskip(NEXT) | instid1(VALU_DEP_1)
	v_cndmask_b32_e32 v7, 33, v12, vcc_lo
	v_sub_nc_u32_e32 v9, 32, v7
	s_delay_alu instid0(VALU_DEP_1) | instskip(SKIP_3) | instid1(VALU_DEP_3)
	v_alignbit_b32 v6, v6, v8, v9
	v_alignbit_b32 v4, v8, v4, v9
	v_lshrrev_b32_e32 v8, 29, v5
	v_lshrrev_b32_e32 v5, 30, v5
	v_alignbit_b32 v9, v6, v4, 9
	s_delay_alu instid0(VALU_DEP_3) | instskip(SKIP_1) | instid1(VALU_DEP_3)
	v_lshlrev_b32_e32 v8, 31, v8
	v_alignbit_b32 v6, v7, v6, 9
	v_clz_i32_u32_e32 v11, v9
	s_delay_alu instid0(VALU_DEP_2) | instskip(SKIP_1) | instid1(VALU_DEP_3)
	v_or_b32_e32 v6, v6, v8
	v_or_b32_e32 v8, 0x33800000, v8
	v_min_u32_e32 v11, 32, v11
	s_delay_alu instid0(VALU_DEP_3) | instskip(NEXT) | instid1(VALU_DEP_2)
	v_xor_b32_e32 v6, 1.0, v6
	v_sub_nc_u32_e32 v12, 31, v11
	v_add_lshl_u32 v7, v11, v7, 23
	s_delay_alu instid0(VALU_DEP_3) | instskip(NEXT) | instid1(VALU_DEP_3)
	v_mul_f32_e32 v11, 0x3fc90fda, v6
	v_alignbit_b32 v4, v9, v4, v12
	s_delay_alu instid0(VALU_DEP_3) | instskip(NEXT) | instid1(VALU_DEP_3)
	v_sub_nc_u32_e32 v7, v8, v7
	v_fma_f32 v8, 0x3fc90fda, v6, -v11
	s_delay_alu instid0(VALU_DEP_3) | instskip(NEXT) | instid1(VALU_DEP_2)
	v_lshrrev_b32_e32 v4, 9, v4
	v_fmamk_f32 v6, v6, 0x33a22168, v8
	s_delay_alu instid0(VALU_DEP_2) | instskip(NEXT) | instid1(VALU_DEP_1)
	v_or_b32_e32 v4, v7, v4
                                        ; implicit-def: $vgpr7
	v_fmac_f32_e32 v6, 0x3fc90fda, v4
	s_delay_alu instid0(VALU_DEP_1)
	v_add_f32_e32 v4, v11, v6
	v_add_nc_u32_e32 v6, v10, v5
	s_and_not1_saveexec_b32 s0, s4
	s_cbranch_execnz .LBB21_130
	s_branch .LBB21_131
.LBB21_129:
	s_and_not1_saveexec_b32 s0, s4
.LBB21_130:
	v_rndne_f32_e32 v5, v7
	s_delay_alu instid0(VALU_DEP_1) | instskip(SKIP_1) | instid1(VALU_DEP_2)
	v_fma_f32 v4, 0xbfc90fda, v5, |v0|
	v_cvt_i32_f32_e32 v6, v5
	v_fmamk_f32 v4, v5, 0xb3a22168, v4
	s_delay_alu instid0(VALU_DEP_1)
	v_fmamk_f32 v4, v5, 0xa7c234c4, v4
.LBB21_131:
	s_or_b32 exec_lo, exec_lo, s0
	v_div_scale_f32 v5, null, v41, v41, 0x40a00000
	v_div_scale_f32 v9, vcc_lo, 0x40a00000, v41, 0x40a00000
	s_mov_b32 s0, 0xb94c1982
	s_delay_alu instid0(VALU_DEP_2) | instskip(SKIP_4) | instid1(VALU_DEP_1)
	v_rcp_f32_e32 v7, v5
	s_mov_b32 s1, 0x37d75334
	v_xor_b32_e32 v1, v1, v0
	s_waitcnt_depctr 0xfff
	v_fma_f32 v8, -v5, v7, 1.0
	v_fmac_f32_e32 v7, v8, v7
	s_delay_alu instid0(VALU_DEP_1) | instskip(NEXT) | instid1(VALU_DEP_1)
	v_mul_f32_e32 v8, v9, v7
	v_fma_f32 v10, -v5, v8, v9
	s_delay_alu instid0(VALU_DEP_1) | instskip(SKIP_1) | instid1(VALU_DEP_2)
	v_fmac_f32_e32 v8, v10, v7
	v_mul_f32_e32 v10, v4, v4
	v_fma_f32 v5, -v5, v8, v9
	s_delay_alu instid0(VALU_DEP_2) | instskip(SKIP_1) | instid1(VALU_DEP_3)
	v_fmaak_f32 v19, s0, v10, 0x3c0881c4
	v_fmaak_f32 v20, s1, v10, 0xbab64f3b
	v_div_fmas_f32 v5, v5, v7, v8
	v_mul_f32_e32 v7, v2, v2
	s_delay_alu instid0(VALU_DEP_4)
	v_fmaak_f32 v19, v10, v19, 0xbe2aaa9d
	v_mul_f32_e32 v16, 0x4f800000, v41
	v_fmaak_f32 v20, v10, v20, 0x3d2aabf7
	v_div_fixup_f32 v5, v5, v41, 0x40a00000
	v_fmaak_f32 v17, s0, v7, 0x3c0881c4
	v_cmp_gt_f32_e64 s0, 0xf800000, v41
	v_fmaak_f32 v18, s1, v7, 0xbab64f3b
	v_mul_f32_e32 v19, v10, v19
	v_dual_mul_f32 v9, v5, v5 :: v_dual_and_b32 v8, 1, v3
	v_lshlrev_b32_e32 v3, 30, v3
	v_and_b32_e32 v11, 1, v6
	v_cndmask_b32_e64 v16, v41, v16, s0
	s_delay_alu instid0(VALU_DEP_4) | instskip(SKIP_3) | instid1(VALU_DEP_4)
	v_fmaak_f32 v14, 0, v9, 0x3a47c962
	v_fmaak_f32 v13, 0, v9, 0x3a15c4d9
	;; [unrolled: 1-line block ×3, first 2 shown]
	v_dual_fmaak_f32 v15, 0, v9, 0x42947983 :: v_dual_lshlrev_b32 v6, 30, v6
	v_fmaak_f32 v14, v9, v14, 0x3d95ca45
	s_delay_alu instid0(VALU_DEP_4) | instskip(SKIP_2) | instid1(VALU_DEP_3)
	v_dual_fmaak_f32 v13, v9, v13, 0x3d8cfeeb :: v_dual_fmac_f32 v4, v4, v19
	v_sqrt_f32_e32 v24, v16
	v_fmaak_f32 v17, v7, v17, 0xbe2aaa9d
	v_fmaak_f32 v14, v9, v14, 0x3f9047f6
	s_delay_alu instid0(VALU_DEP_3)
	v_fmaak_f32 v13, v9, v13, 0x3f8d754e
	v_fmaak_f32 v12, v9, v12, 0x409f6dae
	;; [unrolled: 1-line block ×3, first 2 shown]
	v_mul_f32_e32 v17, v7, v17
	v_fmaak_f32 v15, v9, v15, 0x44840e5d
	v_fmaak_f32 v20, v10, v20, 0xbf000004
	v_cmp_eq_u32_e64 s2, 0, v8
	v_fmaak_f32 v18, v7, v18, 0xbf000004
	v_fmac_f32_e32 v2, v2, v17
	v_fmaak_f32 v13, v9, v13, 0x40a25d18
	v_fmaak_f32 v15, v9, v15, 0x459bd349
	v_fma_f32 v10, v10, v20, 1.0
	v_fma_f32 v7, v7, v18, 1.0
	v_and_b32_e32 v3, 0x80000000, v3
	v_dual_fmaak_f32 v14, v9, v14, 0x40a39628 :: v_dual_add_nc_u32 v19, -1, v24
	v_fmaak_f32 v13, v9, v13, 0x410665cf
	v_fmaak_f32 v15, v9, v15, 0x46156947
	v_cndmask_b32_e64 v2, v7, v2, s2
	v_cmp_eq_u32_e64 s2, 0, v11
	v_fmaak_f32 v14, v9, v14, 0x4106c8e4
	v_fmaak_f32 v13, v9, v13, 0x40a6b6ea
	;; [unrolled: 1-line block ×3, first 2 shown]
	v_fma_f32 v7, -v19, v24, v16
	v_cndmask_b32_e64 v4, -v4, v10, s2
	v_fmaak_f32 v14, v9, v14, 0x40a6dd51
	v_fma_f32 v13, v9, v13, 1.0
	v_fmaak_f32 v15, v9, v15, 0x4530a316
	v_xor3_b32 v1, v1, v3, v2
	v_and_b32_e32 v6, 0x80000000, v6
	v_fma_f32 v14, v9, v14, 1.0
	s_delay_alu instid0(VALU_DEP_4) | instskip(NEXT) | instid1(VALU_DEP_3)
	v_fmaak_f32 v15, v9, v15, 0x43a80bfb
	v_xor_b32_e32 v4, v6, v4
	s_delay_alu instid0(VALU_DEP_3) | instskip(SKIP_1) | instid1(VALU_DEP_1)
	v_div_scale_f32 v27, vcc_lo, v14, v13, v14
	v_fmaak_f32 v12, v9, v12, 0x4297a5cd
	v_fmaak_f32 v12, v9, v12, 0x43b763ca
	s_delay_alu instid0(VALU_DEP_1) | instskip(NEXT) | instid1(VALU_DEP_1)
	v_fmaak_f32 v12, v9, v12, 0x4431b6ce
	v_fmaak_f32 v12, v9, v12, 0x44155f56
	s_delay_alu instid0(VALU_DEP_1) | instskip(NEXT) | instid1(VALU_DEP_1)
	v_fmaak_f32 v12, v9, v12, 0x4353b052
	v_fmaak_f32 v9, v9, v12, 0x41c9a7fa
	v_div_scale_f32 v12, null, v13, v13, v14
	s_delay_alu instid0(VALU_DEP_2) | instskip(NEXT) | instid1(VALU_DEP_2)
	v_div_scale_f32 v21, null, v15, v15, v9
	v_rcp_f32_e32 v22, v12
	s_delay_alu instid0(VALU_DEP_1) | instskip(SKIP_3) | instid1(VALU_DEP_2)
	v_rcp_f32_e32 v23, v21
	s_waitcnt_depctr 0xfff
	v_fma_f32 v25, -v12, v22, 1.0
	v_fma_f32 v26, -v21, v23, 1.0
	v_fmac_f32_e32 v22, v25, v22
	v_div_scale_f32 v25, s1, v9, v15, v9
	s_delay_alu instid0(VALU_DEP_3) | instskip(NEXT) | instid1(VALU_DEP_1)
	v_dual_fmac_f32 v23, v26, v23 :: v_dual_add_nc_u32 v26, 1, v24
	v_dual_mul_f32 v17, v27, v22 :: v_dual_mul_f32 v18, v25, v23
	s_delay_alu instid0(VALU_DEP_2) | instskip(NEXT) | instid1(VALU_DEP_2)
	v_fma_f32 v8, -v26, v24, v16
	v_fma_f32 v20, -v12, v17, v27
	s_delay_alu instid0(VALU_DEP_3) | instskip(NEXT) | instid1(VALU_DEP_2)
	v_fma_f32 v28, -v21, v18, v25
	v_fmac_f32_e32 v17, v20, v22
	s_delay_alu instid0(VALU_DEP_2) | instskip(NEXT) | instid1(VALU_DEP_2)
	v_fmac_f32_e32 v18, v28, v23
	v_fma_f32 v10, -v12, v17, v27
	s_delay_alu instid0(VALU_DEP_2) | instskip(NEXT) | instid1(VALU_DEP_2)
	v_fma_f32 v2, -v21, v18, v25
	v_div_fmas_f32 v3, v10, v22, v17
	s_mov_b32 vcc_lo, s1
	v_cmp_lt_f32_e64 s1, 0, v8
	s_delay_alu instid0(VALU_DEP_3)
	v_div_fmas_f32 v2, v2, v23, v18
	v_cmp_ge_f32_e32 vcc_lo, 0, v7
	v_div_fixup_f32 v3, v3, v13, v14
	v_cndmask_b32_e32 v6, v24, v19, vcc_lo
	v_cmp_class_f32_e64 vcc_lo, v0, 0x1f8
	v_div_fixup_f32 v0, v2, v15, v9
	s_delay_alu instid0(VALU_DEP_3) | instskip(SKIP_1) | instid1(VALU_DEP_3)
	v_cndmask_b32_e64 v2, v6, v26, s1
	v_cndmask_b32_e32 v4, 0x7fc00000, v4, vcc_lo
	v_dual_mul_f32 v0, v5, v0 :: v_dual_cndmask_b32 v1, 0x7fc00000, v1
	v_cmp_class_f32_e64 vcc_lo, v16, 0x260
	s_delay_alu instid0(VALU_DEP_2) | instskip(NEXT) | instid1(VALU_DEP_1)
	v_dual_mul_f32 v5, 0x37800000, v2 :: v_dual_mul_f32 v0, v0, v4
	v_cndmask_b32_e64 v2, v2, v5, s0
	s_delay_alu instid0(VALU_DEP_1) | instskip(NEXT) | instid1(VALU_DEP_1)
	v_dual_fmac_f32 v0, v3, v1 :: v_dual_cndmask_b32 v1, v2, v16
	v_mul_f32_e32 v0, 0x3f4c422a, v0
	s_delay_alu instid0(VALU_DEP_1) | instskip(NEXT) | instid1(VALU_DEP_1)
	v_div_scale_f32 v2, null, v1, v1, v0
	v_rcp_f32_e32 v3, v2
	s_waitcnt_depctr 0xfff
	v_fma_f32 v4, -v2, v3, 1.0
	s_delay_alu instid0(VALU_DEP_1) | instskip(SKIP_1) | instid1(VALU_DEP_1)
	v_fmac_f32_e32 v3, v4, v3
	v_div_scale_f32 v4, vcc_lo, v0, v1, v0
	v_mul_f32_e32 v5, v4, v3
	s_delay_alu instid0(VALU_DEP_1) | instskip(NEXT) | instid1(VALU_DEP_1)
	v_fma_f32 v6, -v2, v5, v4
	v_fmac_f32_e32 v5, v6, v3
	s_delay_alu instid0(VALU_DEP_1) | instskip(NEXT) | instid1(VALU_DEP_1)
	v_fma_f32 v2, -v2, v5, v4
	v_div_fmas_f32 v2, v2, v3, v5
	s_delay_alu instid0(VALU_DEP_1)
	v_div_fixup_f32 v0, v2, v1, v0
.LBB21_132:
	s_or_b32 exec_lo, exec_lo, s3
	s_clause 0x3
	global_store_b32 v42, v47, s[36:37]
	global_store_b32 v43, v57, s[36:37]
	;; [unrolled: 1-line block ×4, first 2 shown]
	s_endpgm
.LBB21_133:
	v_dual_mov_b32 v1, v44 :: v_dual_mov_b32 v0, 0
.LBB21_134:
	s_and_b32 s8, s8, 3
	s_delay_alu instid0(SALU_CYCLE_1)
	s_cmp_eq_u32 s8, 0
	s_cbranch_scc1 .LBB21_137
; %bb.135:
	s_lshl_b32 s2, s7, 3
	s_mul_i32 s4, s7, 12
	s_add_u32 s2, s2, s0
	s_addc_u32 s3, s1, 0
	s_add_u32 s2, s2, 0xc4
	s_addc_u32 s3, s3, 0
	;; [unrolled: 2-line block ×3, first 2 shown]
	.p2align	6
.LBB21_136:                             ; =>This Inner Loop Header: Depth=1
	s_clause 0x1
	s_load_b64 s[10:11], s[4:5], 0x4
	s_load_b32 s7, s[4:5], 0xc
	s_load_b64 s[12:13], s[2:3], 0x0
	s_add_u32 s4, s4, 12
	s_addc_u32 s5, s5, 0
	s_add_u32 s2, s2, 8
	s_addc_u32 s3, s3, 0
	s_add_i32 s8, s8, -1
	s_delay_alu instid0(SALU_CYCLE_1) | instskip(SKIP_2) | instid1(VALU_DEP_1)
	s_cmp_lg_u32 s8, 0
	s_waitcnt lgkmcnt(0)
	v_mul_hi_u32 v2, s11, v1
	v_add_nc_u32_e32 v2, v1, v2
	s_delay_alu instid0(VALU_DEP_1) | instskip(NEXT) | instid1(VALU_DEP_1)
	v_lshrrev_b32_e32 v5, s7, v2
	v_mul_lo_u32 v2, v5, s10
	s_delay_alu instid0(VALU_DEP_1) | instskip(NEXT) | instid1(VALU_DEP_1)
	v_sub_nc_u32_e32 v1, v1, v2
	v_mad_u64_u32 v[2:3], null, v1, s12, v[42:43]
	v_mad_u64_u32 v[3:4], null, v1, s13, v[0:1]
	s_delay_alu instid0(VALU_DEP_2) | instskip(NEXT) | instid1(VALU_DEP_2)
	v_dual_mov_b32 v1, v5 :: v_dual_mov_b32 v42, v2
	v_mov_b32_e32 v0, v3
	s_cbranch_scc1 .LBB21_136
.LBB21_137:
	s_and_not1_b32 vcc_lo, exec_lo, s6
	s_cbranch_vccnz .LBB21_140
; %bb.138:
	s_waitcnt lgkmcnt(0)
	v_mul_hi_u32 v0, s45, v44
	s_and_not1_b32 vcc_lo, exec_lo, s57
	s_delay_alu instid0(VALU_DEP_1) | instskip(NEXT) | instid1(VALU_DEP_1)
	v_add_nc_u32_e32 v0, v44, v0
	v_lshrrev_b32_e32 v1, s46, v0
	s_delay_alu instid0(VALU_DEP_1) | instskip(NEXT) | instid1(VALU_DEP_1)
	v_mul_lo_u32 v0, v1, s44
	v_sub_nc_u32_e32 v0, v44, v0
	s_delay_alu instid0(VALU_DEP_1)
	v_mul_lo_u32 v42, v0, s40
	v_mul_lo_u32 v0, v0, s41
	s_cbranch_vccnz .LBB21_140
; %bb.139:
	v_mul_hi_u32 v2, s48, v1
	s_delay_alu instid0(VALU_DEP_1) | instskip(NEXT) | instid1(VALU_DEP_1)
	v_add_nc_u32_e32 v2, v1, v2
	v_lshrrev_b32_e32 v2, s49, v2
	s_delay_alu instid0(VALU_DEP_1) | instskip(NEXT) | instid1(VALU_DEP_1)
	v_mul_lo_u32 v2, v2, s47
	v_sub_nc_u32_e32 v4, v1, v2
	s_delay_alu instid0(VALU_DEP_1) | instskip(NEXT) | instid1(VALU_DEP_1)
	v_mad_u64_u32 v[1:2], null, v4, s42, v[42:43]
	v_mad_u64_u32 v[2:3], null, v4, s43, v[0:1]
	v_mov_b32_e32 v42, v1
	s_delay_alu instid0(VALU_DEP_2)
	v_mov_b32_e32 v0, v2
.LBB21_140:
	s_waitcnt lgkmcnt(0)
	global_load_b32 v41, v0, s[38:39]
                                        ; implicit-def: $vgpr0
	s_mov_b32 s2, exec_lo
	s_waitcnt vmcnt(0)
	v_cmpx_ge_f32_e32 0x40a00000, v41
	s_xor_b32 s62, exec_lo, s2
	s_cbranch_execz .LBB21_146
; %bb.141:
	v_mov_b32_e32 v0, 0xff800000
	s_mov_b32 s63, exec_lo
	v_cmpx_neq_f32_e32 0, v41
	s_cbranch_execz .LBB21_145
; %bb.142:
	v_mov_b32_e32 v0, 0x7fc00000
	s_mov_b32 s64, exec_lo
	v_cmpx_nge_f32_e32 0, v41
	s_cbranch_execz .LBB21_144
; %bb.143:
	v_mul_f32_e32 v0, v41, v41
	s_getpc_b64 s[2:3]
	s_add_u32 s2, s2, _Z17bessel_j1_forwardIfET_S0_@rel32@lo+4
	s_addc_u32 s3, s3, _Z17bessel_j1_forwardIfET_S0_@rel32@hi+12
	s_mov_b64 s[52:53], s[0:1]
	v_fmaak_f32 v1, 0, v0, 0x4414934d
	v_fmaak_f32 v2, 0, v0, 0x4e9695f3
	s_delay_alu instid0(VALU_DEP_2) | instskip(NEXT) | instid1(VALU_DEP_2)
	v_fmaak_f32 v1, v0, v1, 0x48660b06
	v_fmaak_f32 v2, v0, v2, 0xd316b96b
	s_delay_alu instid0(VALU_DEP_2) | instskip(NEXT) | instid1(VALU_DEP_2)
	;; [unrolled: 3-line block ×5, first 2 shown]
	v_fmaak_f32 v1, v0, v1, 0x580d1937
	v_fmaak_f32 v2, v0, v2, 0xdd2cf20b
	s_delay_alu instid0(VALU_DEP_2) | instskip(NEXT) | instid1(VALU_DEP_1)
	v_fmaak_f32 v1, v0, v1, 0x5b741f1e
	v_fmaak_f32 v0, v0, v1, 0x5e5c878d
	s_delay_alu instid0(VALU_DEP_1) | instskip(SKIP_1) | instid1(VALU_DEP_2)
	v_div_scale_f32 v1, null, v0, v0, v2
	v_div_scale_f32 v5, vcc_lo, v2, v0, v2
	v_rcp_f32_e32 v3, v1
	s_waitcnt_depctr 0xfff
	v_fma_f32 v4, -v1, v3, 1.0
	s_delay_alu instid0(VALU_DEP_1) | instskip(NEXT) | instid1(VALU_DEP_1)
	v_fmac_f32_e32 v3, v4, v3
	v_mul_f32_e32 v4, v5, v3
	s_delay_alu instid0(VALU_DEP_1) | instskip(NEXT) | instid1(VALU_DEP_1)
	v_fma_f32 v6, -v1, v4, v5
	v_fmac_f32_e32 v4, v6, v3
	s_delay_alu instid0(VALU_DEP_1) | instskip(NEXT) | instid1(VALU_DEP_1)
	v_fma_f32 v1, -v1, v4, v5
	v_div_fmas_f32 v1, v1, v3, v4
	s_delay_alu instid0(VALU_DEP_1)
	v_div_fixup_f32 v43, v1, v0, v2
	v_mov_b32_e32 v0, v41
	s_swappc_b64 s[30:31], s[2:3]
	v_div_scale_f32 v1, null, v41, v41, -1.0
	v_cmp_gt_f32_e32 vcc_lo, 0x800000, v41
	v_div_scale_f32 v5, s2, -1.0, v41, -1.0
	s_delay_alu instid0(VALU_DEP_3) | instskip(SKIP_4) | instid1(VALU_DEP_1)
	v_rcp_f32_e32 v3, v1
	s_mov_b64 s[0:1], s[52:53]
	v_cndmask_b32_e64 v2, 1.0, 0x4f800000, vcc_lo
	s_waitcnt_depctr 0xfff
	v_fma_f32 v4, -v1, v3, 1.0
	v_dual_mul_f32 v2, v41, v2 :: v_dual_fmac_f32 v3, v4, v3
	s_delay_alu instid0(VALU_DEP_1) | instskip(SKIP_3) | instid1(VALU_DEP_2)
	v_log_f32_e32 v2, v2
	s_waitcnt_depctr 0xfff
	v_mul_f32_e32 v4, 0x3f317217, v2
	v_cmp_gt_f32_e64 s3, 0x7f800000, |v2|
	v_fma_f32 v7, 0x3f317217, v2, -v4
	s_delay_alu instid0(VALU_DEP_1) | instskip(NEXT) | instid1(VALU_DEP_1)
	v_dual_mul_f32 v6, v5, v3 :: v_dual_fmamk_f32 v7, v2, 0x3377d1cf, v7
	v_fma_f32 v8, -v1, v6, v5
	s_delay_alu instid0(VALU_DEP_2) | instskip(NEXT) | instid1(VALU_DEP_2)
	v_add_f32_e32 v4, v4, v7
	v_fmac_f32_e32 v6, v8, v3
	s_delay_alu instid0(VALU_DEP_2) | instskip(NEXT) | instid1(VALU_DEP_2)
	v_cndmask_b32_e64 v2, v2, v4, s3
	v_fma_f32 v1, -v1, v6, v5
	v_cndmask_b32_e64 v4, 0, 0x41b17218, vcc_lo
	s_mov_b32 vcc_lo, s2
	s_delay_alu instid0(VALU_DEP_2) | instskip(NEXT) | instid1(VALU_DEP_2)
	v_div_fmas_f32 v1, v1, v3, v6
	v_sub_f32_e32 v2, v2, v4
	s_delay_alu instid0(VALU_DEP_2) | instskip(NEXT) | instid1(VALU_DEP_1)
	v_div_fixup_f32 v1, v1, v41, -1.0
	v_fmac_f32_e32 v1, v2, v0
	s_delay_alu instid0(VALU_DEP_1) | instskip(NEXT) | instid1(VALU_DEP_1)
	v_mul_f32_e32 v0, 0x3f22f983, v1
	v_fmac_f32_e32 v0, v41, v43
.LBB21_144:
	s_or_b32 exec_lo, exec_lo, s64
.LBB21_145:
	s_delay_alu instid0(SALU_CYCLE_1)
	s_or_b32 exec_lo, exec_lo, s63
                                        ; implicit-def: $vgpr41
.LBB21_146:
	s_and_not1_saveexec_b32 s5, s62
	s_cbranch_execz .LBB21_156
; %bb.147:
	v_add_f32_e32 v0, 0xc016cbe4, v41
                                        ; implicit-def: $vgpr3
                                        ; implicit-def: $vgpr2
	s_delay_alu instid0(VALU_DEP_1) | instskip(SKIP_1) | instid1(VALU_DEP_1)
	v_and_b32_e32 v1, 0x7fffffff, v0
	v_cmp_ngt_f32_e64 s6, 0x48000000, |v0|
	s_and_saveexec_b32 s2, s6
	s_delay_alu instid0(SALU_CYCLE_1)
	s_xor_b32 s7, exec_lo, s2
	s_cbranch_execz .LBB21_149
; %bb.148:
	s_mov_b32 s2, 0x7fffff
	v_mov_b32_e32 v4, 0
	v_and_or_b32 v12, v1, s2, 0x800000
	v_lshrrev_b32_e32 v9, 23, v1
	s_delay_alu instid0(VALU_DEP_2) | instskip(NEXT) | instid1(VALU_DEP_2)
	v_mad_u64_u32 v[2:3], null, 0xfe5163ab, v12, 0
	v_add_nc_u32_e32 v10, 0xffffff88, v9
	s_delay_alu instid0(VALU_DEP_1) | instskip(NEXT) | instid1(VALU_DEP_3)
	v_cmp_lt_u32_e32 vcc_lo, 63, v10
	v_mad_u64_u32 v[5:6], null, 0x3c439041, v12, v[3:4]
	v_cndmask_b32_e64 v11, 0, 0xffffffc0, vcc_lo
	s_delay_alu instid0(VALU_DEP_2) | instskip(NEXT) | instid1(VALU_DEP_2)
	v_mov_b32_e32 v3, v6
	v_add_nc_u32_e32 v11, v11, v10
	s_delay_alu instid0(VALU_DEP_2) | instskip(NEXT) | instid1(VALU_DEP_2)
	v_mad_u64_u32 v[6:7], null, 0xdb629599, v12, v[3:4]
	v_cmp_lt_u32_e64 s2, 31, v11
	s_delay_alu instid0(VALU_DEP_1) | instskip(NEXT) | instid1(VALU_DEP_3)
	v_cndmask_b32_e64 v13, 0, 0xffffffe0, s2
	v_dual_mov_b32 v3, v7 :: v_dual_cndmask_b32 v2, v6, v2
	s_delay_alu instid0(VALU_DEP_2) | instskip(NEXT) | instid1(VALU_DEP_2)
	v_add_nc_u32_e32 v13, v13, v11
	v_mad_u64_u32 v[7:8], null, 0xf534ddc0, v12, v[3:4]
	s_delay_alu instid0(VALU_DEP_2) | instskip(NEXT) | instid1(VALU_DEP_2)
	v_cmp_lt_u32_e64 s3, 31, v13
	v_mov_b32_e32 v3, v8
	s_delay_alu instid0(VALU_DEP_3) | instskip(NEXT) | instid1(VALU_DEP_2)
	v_cndmask_b32_e32 v5, v7, v5, vcc_lo
	v_mad_u64_u32 v[8:9], null, 0xfc2757d1, v12, v[3:4]
	s_delay_alu instid0(VALU_DEP_2) | instskip(NEXT) | instid1(VALU_DEP_2)
	v_cndmask_b32_e64 v2, v5, v2, s2
	v_mov_b32_e32 v3, v9
	s_delay_alu instid0(VALU_DEP_1) | instskip(NEXT) | instid1(VALU_DEP_1)
	v_mad_u64_u32 v[9:10], null, 0x4e441529, v12, v[3:4]
	v_mov_b32_e32 v3, v10
	s_delay_alu instid0(VALU_DEP_1) | instskip(SKIP_1) | instid1(VALU_DEP_1)
	v_mad_u64_u32 v[10:11], null, 0xa2f9836e, v12, v[3:4]
	v_cndmask_b32_e64 v3, 0, 0xffffffe0, s3
	v_dual_cndmask_b32 v4, v9, v7 :: v_dual_add_nc_u32 v3, v3, v13
	s_delay_alu instid0(VALU_DEP_3) | instskip(NEXT) | instid1(VALU_DEP_4)
	v_cndmask_b32_e32 v10, v10, v8, vcc_lo
	v_dual_cndmask_b32 v8, v8, v6 :: v_dual_cndmask_b32 v9, v11, v9
	s_delay_alu instid0(VALU_DEP_3) | instskip(NEXT) | instid1(VALU_DEP_3)
	v_cmp_eq_u32_e64 s4, 0, v3
	v_cndmask_b32_e64 v7, v10, v4, s2
	s_delay_alu instid0(VALU_DEP_3) | instskip(NEXT) | instid1(VALU_DEP_4)
	v_cndmask_b32_e64 v4, v4, v8, s2
	v_cndmask_b32_e64 v9, v9, v10, s2
	v_sub_nc_u32_e32 v10, 32, v3
	v_cndmask_b32_e64 v8, v8, v5, s2
	s_delay_alu instid0(VALU_DEP_3) | instskip(SKIP_1) | instid1(VALU_DEP_3)
	v_cndmask_b32_e64 v9, v9, v7, s3
	v_cndmask_b32_e64 v7, v7, v4, s3
	;; [unrolled: 1-line block ×4, first 2 shown]
	s_delay_alu instid0(VALU_DEP_3) | instskip(NEXT) | instid1(VALU_DEP_3)
	v_alignbit_b32 v11, v9, v7, v10
	v_alignbit_b32 v12, v7, v4, v10
	s_delay_alu instid0(VALU_DEP_3) | instskip(NEXT) | instid1(VALU_DEP_3)
	v_alignbit_b32 v10, v4, v2, v10
	v_cndmask_b32_e64 v3, v11, v9, s4
	s_delay_alu instid0(VALU_DEP_3) | instskip(NEXT) | instid1(VALU_DEP_3)
	v_cndmask_b32_e64 v6, v12, v7, s4
	v_cndmask_b32_e64 v4, v10, v4, s4
	s_delay_alu instid0(VALU_DEP_3) | instskip(NEXT) | instid1(VALU_DEP_3)
	v_bfe_u32 v7, v3, 29, 1
	v_alignbit_b32 v5, v3, v6, 30
	s_delay_alu instid0(VALU_DEP_3) | instskip(SKIP_1) | instid1(VALU_DEP_4)
	v_alignbit_b32 v6, v6, v4, 30
	v_alignbit_b32 v2, v4, v2, 30
	v_sub_nc_u32_e32 v9, 0, v7
	s_delay_alu instid0(VALU_DEP_1) | instskip(SKIP_3) | instid1(VALU_DEP_4)
	v_xor_b32_e32 v8, v5, v9
	v_cmp_ne_u32_e32 vcc_lo, v5, v9
	v_xor_b32_e32 v4, v6, v9
	v_xor_b32_e32 v2, v2, v9
	v_clz_i32_u32_e32 v11, v8
	s_delay_alu instid0(VALU_DEP_1) | instskip(NEXT) | instid1(VALU_DEP_1)
	v_add_nc_u32_e32 v10, 1, v11
	v_cndmask_b32_e32 v5, 33, v10, vcc_lo
	s_delay_alu instid0(VALU_DEP_1) | instskip(NEXT) | instid1(VALU_DEP_1)
	v_sub_nc_u32_e32 v6, 32, v5
	v_alignbit_b32 v8, v8, v4, v6
	v_alignbit_b32 v2, v4, v2, v6
	v_lshrrev_b32_e32 v4, 29, v3
	v_lshrrev_b32_e32 v3, 30, v3
	s_delay_alu instid0(VALU_DEP_3) | instskip(NEXT) | instid1(VALU_DEP_3)
	v_alignbit_b32 v6, v8, v2, 9
	v_lshlrev_b32_e32 v4, 31, v4
	v_alignbit_b32 v8, v5, v8, 9
	s_delay_alu instid0(VALU_DEP_4) | instskip(NEXT) | instid1(VALU_DEP_4)
	v_add_nc_u32_e32 v3, v7, v3
	v_clz_i32_u32_e32 v9, v6
	s_delay_alu instid0(VALU_DEP_3) | instskip(SKIP_1) | instid1(VALU_DEP_3)
	v_or_b32_e32 v8, v8, v4
	v_or_b32_e32 v4, 0x33800000, v4
	v_min_u32_e32 v9, 32, v9
	s_delay_alu instid0(VALU_DEP_3) | instskip(NEXT) | instid1(VALU_DEP_2)
	v_xor_b32_e32 v8, 1.0, v8
	v_sub_nc_u32_e32 v10, 31, v9
	v_add_lshl_u32 v5, v9, v5, 23
	s_delay_alu instid0(VALU_DEP_3) | instskip(NEXT) | instid1(VALU_DEP_3)
	v_mul_f32_e32 v9, 0x3fc90fda, v8
	v_alignbit_b32 v2, v6, v2, v10
	s_delay_alu instid0(VALU_DEP_3) | instskip(NEXT) | instid1(VALU_DEP_3)
	v_sub_nc_u32_e32 v4, v4, v5
	v_fma_f32 v5, 0x3fc90fda, v8, -v9
	s_delay_alu instid0(VALU_DEP_3) | instskip(NEXT) | instid1(VALU_DEP_2)
	v_lshrrev_b32_e32 v2, 9, v2
	v_fmamk_f32 v5, v8, 0x33a22168, v5
	s_delay_alu instid0(VALU_DEP_2) | instskip(NEXT) | instid1(VALU_DEP_1)
	v_or_b32_e32 v2, v4, v2
	v_fmac_f32_e32 v5, 0x3fc90fda, v2
	s_delay_alu instid0(VALU_DEP_1)
	v_add_f32_e32 v2, v9, v5
	s_and_not1_saveexec_b32 s2, s7
	s_branch .LBB21_150
.LBB21_149:
	s_and_not1_saveexec_b32 s2, s7
.LBB21_150:
	v_mul_f32_e64 v2, 0x3f22f983, |v0|
	s_delay_alu instid0(VALU_DEP_1) | instskip(NEXT) | instid1(VALU_DEP_1)
	v_rndne_f32_e32 v3, v2
	v_fma_f32 v2, 0xbfc90fda, v3, |v0|
	s_delay_alu instid0(VALU_DEP_1) | instskip(NEXT) | instid1(VALU_DEP_1)
	v_fmamk_f32 v2, v3, 0xb3a22168, v2
	v_fmamk_f32 v2, v3, 0xa7c234c4, v2
	v_cvt_i32_f32_e32 v3, v3
; %bb.151:
	s_or_b32 exec_lo, exec_lo, s2
                                        ; implicit-def: $vgpr5
                                        ; implicit-def: $vgpr4
	s_and_saveexec_b32 s2, s6
	s_delay_alu instid0(SALU_CYCLE_1)
	s_xor_b32 s6, exec_lo, s2
	s_cbranch_execz .LBB21_153
; %bb.152:
	s_mov_b32 s2, 0x7fffff
	v_mov_b32_e32 v6, 0
	v_and_or_b32 v14, v1, s2, 0x800000
	v_lshrrev_b32_e32 v11, 23, v1
	s_delay_alu instid0(VALU_DEP_2) | instskip(NEXT) | instid1(VALU_DEP_2)
	v_mad_u64_u32 v[4:5], null, 0xfe5163ab, v14, 0
	v_add_nc_u32_e32 v12, 0xffffff88, v11
	s_delay_alu instid0(VALU_DEP_1) | instskip(NEXT) | instid1(VALU_DEP_3)
	v_cmp_lt_u32_e32 vcc_lo, 63, v12
	v_mad_u64_u32 v[7:8], null, 0x3c439041, v14, v[5:6]
	v_cndmask_b32_e64 v13, 0, 0xffffffc0, vcc_lo
	s_delay_alu instid0(VALU_DEP_2) | instskip(NEXT) | instid1(VALU_DEP_2)
	v_mov_b32_e32 v5, v8
	v_add_nc_u32_e32 v13, v13, v12
	s_delay_alu instid0(VALU_DEP_2) | instskip(NEXT) | instid1(VALU_DEP_2)
	v_mad_u64_u32 v[8:9], null, 0xdb629599, v14, v[5:6]
	v_cmp_lt_u32_e64 s2, 31, v13
	s_delay_alu instid0(VALU_DEP_1) | instskip(NEXT) | instid1(VALU_DEP_3)
	v_cndmask_b32_e64 v15, 0, 0xffffffe0, s2
	v_dual_mov_b32 v5, v9 :: v_dual_cndmask_b32 v4, v8, v4
	s_delay_alu instid0(VALU_DEP_2) | instskip(NEXT) | instid1(VALU_DEP_2)
	v_add_nc_u32_e32 v15, v15, v13
	v_mad_u64_u32 v[9:10], null, 0xf534ddc0, v14, v[5:6]
	s_delay_alu instid0(VALU_DEP_2) | instskip(NEXT) | instid1(VALU_DEP_2)
	v_cmp_lt_u32_e64 s3, 31, v15
	v_mov_b32_e32 v5, v10
	s_delay_alu instid0(VALU_DEP_3) | instskip(NEXT) | instid1(VALU_DEP_2)
	v_cndmask_b32_e32 v7, v9, v7, vcc_lo
	v_mad_u64_u32 v[10:11], null, 0xfc2757d1, v14, v[5:6]
	s_delay_alu instid0(VALU_DEP_2) | instskip(NEXT) | instid1(VALU_DEP_2)
	v_cndmask_b32_e64 v4, v7, v4, s2
	v_mov_b32_e32 v5, v11
	s_delay_alu instid0(VALU_DEP_1) | instskip(NEXT) | instid1(VALU_DEP_1)
	v_mad_u64_u32 v[11:12], null, 0x4e441529, v14, v[5:6]
	v_mov_b32_e32 v5, v12
	s_delay_alu instid0(VALU_DEP_1) | instskip(SKIP_1) | instid1(VALU_DEP_1)
	v_mad_u64_u32 v[12:13], null, 0xa2f9836e, v14, v[5:6]
	v_cndmask_b32_e64 v5, 0, 0xffffffe0, s3
	v_dual_cndmask_b32 v6, v11, v9 :: v_dual_add_nc_u32 v5, v5, v15
	s_delay_alu instid0(VALU_DEP_3) | instskip(NEXT) | instid1(VALU_DEP_4)
	v_cndmask_b32_e32 v12, v12, v10, vcc_lo
	v_dual_cndmask_b32 v10, v10, v8 :: v_dual_cndmask_b32 v11, v13, v11
	s_delay_alu instid0(VALU_DEP_3) | instskip(NEXT) | instid1(VALU_DEP_3)
	v_cmp_eq_u32_e64 s4, 0, v5
	v_cndmask_b32_e64 v9, v12, v6, s2
	s_delay_alu instid0(VALU_DEP_3) | instskip(NEXT) | instid1(VALU_DEP_4)
	v_cndmask_b32_e64 v6, v6, v10, s2
	v_cndmask_b32_e64 v11, v11, v12, s2
	v_sub_nc_u32_e32 v12, 32, v5
	v_cndmask_b32_e64 v10, v10, v7, s2
	s_delay_alu instid0(VALU_DEP_3) | instskip(SKIP_1) | instid1(VALU_DEP_3)
	v_cndmask_b32_e64 v11, v11, v9, s3
	v_cndmask_b32_e64 v9, v9, v6, s3
	;; [unrolled: 1-line block ×4, first 2 shown]
	s_delay_alu instid0(VALU_DEP_3) | instskip(NEXT) | instid1(VALU_DEP_3)
	v_alignbit_b32 v13, v11, v9, v12
	v_alignbit_b32 v14, v9, v6, v12
	s_delay_alu instid0(VALU_DEP_3) | instskip(NEXT) | instid1(VALU_DEP_3)
	v_alignbit_b32 v12, v6, v4, v12
	v_cndmask_b32_e64 v5, v13, v11, s4
	s_delay_alu instid0(VALU_DEP_3) | instskip(NEXT) | instid1(VALU_DEP_3)
	v_cndmask_b32_e64 v8, v14, v9, s4
	v_cndmask_b32_e64 v6, v12, v6, s4
	s_delay_alu instid0(VALU_DEP_3) | instskip(NEXT) | instid1(VALU_DEP_3)
	v_bfe_u32 v9, v5, 29, 1
	v_alignbit_b32 v7, v5, v8, 30
	s_delay_alu instid0(VALU_DEP_3) | instskip(SKIP_1) | instid1(VALU_DEP_4)
	v_alignbit_b32 v8, v8, v6, 30
	v_alignbit_b32 v4, v6, v4, 30
	v_sub_nc_u32_e32 v11, 0, v9
	s_delay_alu instid0(VALU_DEP_1) | instskip(SKIP_3) | instid1(VALU_DEP_4)
	v_xor_b32_e32 v10, v7, v11
	v_cmp_ne_u32_e32 vcc_lo, v7, v11
	v_xor_b32_e32 v6, v8, v11
	v_xor_b32_e32 v4, v4, v11
	v_clz_i32_u32_e32 v13, v10
	s_delay_alu instid0(VALU_DEP_1) | instskip(NEXT) | instid1(VALU_DEP_1)
	v_add_nc_u32_e32 v12, 1, v13
	v_cndmask_b32_e32 v7, 33, v12, vcc_lo
	s_delay_alu instid0(VALU_DEP_1) | instskip(NEXT) | instid1(VALU_DEP_1)
	v_sub_nc_u32_e32 v8, 32, v7
	v_alignbit_b32 v10, v10, v6, v8
	v_alignbit_b32 v4, v6, v4, v8
	v_lshrrev_b32_e32 v6, 29, v5
	v_lshrrev_b32_e32 v5, 30, v5
	s_delay_alu instid0(VALU_DEP_3) | instskip(NEXT) | instid1(VALU_DEP_3)
	v_alignbit_b32 v8, v10, v4, 9
	v_lshlrev_b32_e32 v6, 31, v6
	v_alignbit_b32 v10, v7, v10, 9
	s_delay_alu instid0(VALU_DEP_4) | instskip(NEXT) | instid1(VALU_DEP_4)
	v_add_nc_u32_e32 v5, v9, v5
	v_clz_i32_u32_e32 v11, v8
	s_delay_alu instid0(VALU_DEP_3) | instskip(SKIP_1) | instid1(VALU_DEP_3)
	v_or_b32_e32 v10, v10, v6
	v_or_b32_e32 v6, 0x33800000, v6
	v_min_u32_e32 v11, 32, v11
	s_delay_alu instid0(VALU_DEP_3) | instskip(NEXT) | instid1(VALU_DEP_2)
	v_xor_b32_e32 v10, 1.0, v10
	v_sub_nc_u32_e32 v12, 31, v11
	v_add_lshl_u32 v7, v11, v7, 23
	s_delay_alu instid0(VALU_DEP_3) | instskip(NEXT) | instid1(VALU_DEP_3)
	v_mul_f32_e32 v11, 0x3fc90fda, v10
	v_alignbit_b32 v4, v8, v4, v12
	s_delay_alu instid0(VALU_DEP_3) | instskip(NEXT) | instid1(VALU_DEP_3)
	v_sub_nc_u32_e32 v6, v6, v7
	v_fma_f32 v7, 0x3fc90fda, v10, -v11
	s_delay_alu instid0(VALU_DEP_3) | instskip(NEXT) | instid1(VALU_DEP_2)
	v_lshrrev_b32_e32 v4, 9, v4
	v_fmamk_f32 v7, v10, 0x33a22168, v7
	s_delay_alu instid0(VALU_DEP_2) | instskip(NEXT) | instid1(VALU_DEP_1)
	v_or_b32_e32 v4, v6, v4
	v_fmac_f32_e32 v7, 0x3fc90fda, v4
	s_delay_alu instid0(VALU_DEP_1)
	v_add_f32_e32 v4, v11, v7
	s_and_not1_saveexec_b32 s2, s6
	s_cbranch_execnz .LBB21_154
	s_branch .LBB21_155
.LBB21_153:
	s_and_not1_saveexec_b32 s2, s6
.LBB21_154:
	v_mul_f32_e64 v4, 0x3f22f983, |v0|
	s_delay_alu instid0(VALU_DEP_1) | instskip(NEXT) | instid1(VALU_DEP_1)
	v_rndne_f32_e32 v5, v4
	v_fma_f32 v4, 0xbfc90fda, v5, |v0|
	s_delay_alu instid0(VALU_DEP_1) | instskip(NEXT) | instid1(VALU_DEP_1)
	v_fmamk_f32 v4, v5, 0xb3a22168, v4
	v_fmamk_f32 v4, v5, 0xa7c234c4, v4
	v_cvt_i32_f32_e32 v5, v5
.LBB21_155:
	s_or_b32 exec_lo, exec_lo, s2
	v_div_scale_f32 v6, null, v41, v41, 0x40a00000
	v_div_scale_f32 v9, vcc_lo, 0x40a00000, v41, 0x40a00000
	s_mov_b32 s2, 0xb94c1982
	s_delay_alu instid0(VALU_DEP_2)
	v_rcp_f32_e32 v7, v6
	s_mov_b32 s3, 0x37d75334
	v_xor_b32_e32 v1, v1, v0
	v_and_b32_e32 v11, 1, v5
	s_waitcnt_depctr 0xfff
	v_fma_f32 v8, -v6, v7, 1.0
	s_delay_alu instid0(VALU_DEP_1) | instskip(NEXT) | instid1(VALU_DEP_1)
	v_fmac_f32_e32 v7, v8, v7
	v_mul_f32_e32 v8, v9, v7
	s_delay_alu instid0(VALU_DEP_1) | instskip(NEXT) | instid1(VALU_DEP_1)
	v_fma_f32 v10, -v6, v8, v9
	v_fmac_f32_e32 v8, v10, v7
	v_mul_f32_e32 v10, v4, v4
	s_delay_alu instid0(VALU_DEP_2) | instskip(NEXT) | instid1(VALU_DEP_2)
	v_fma_f32 v6, -v6, v8, v9
	v_fmaak_f32 v19, s2, v10, 0x3c0881c4
	v_fmaak_f32 v20, s3, v10, 0xbab64f3b
	s_delay_alu instid0(VALU_DEP_3) | instskip(SKIP_1) | instid1(VALU_DEP_4)
	v_div_fmas_f32 v6, v6, v7, v8
	v_mul_f32_e32 v7, v2, v2
	v_fmaak_f32 v19, v10, v19, 0xbe2aaa9d
	s_delay_alu instid0(VALU_DEP_4) | instskip(NEXT) | instid1(VALU_DEP_4)
	v_fmaak_f32 v20, v10, v20, 0x3d2aabf7
	v_div_fixup_f32 v6, v6, v41, 0x40a00000
	v_and_b32_e32 v8, 1, v3
	v_lshlrev_b32_e32 v3, 30, v3
	v_fmaak_f32 v17, s2, v7, 0x3c0881c4
	s_delay_alu instid0(VALU_DEP_4) | instskip(SKIP_2) | instid1(VALU_DEP_4)
	v_dual_fmaak_f32 v18, s3, v7, 0xbab64f3b :: v_dual_mul_f32 v9, v6, v6
	v_cmp_gt_f32_e64 s2, 0xf800000, v41
	v_cmp_eq_u32_e64 s4, 0, v8
	v_fmaak_f32 v17, v7, v17, 0xbe2aaa9d
	s_delay_alu instid0(VALU_DEP_4) | instskip(SKIP_2) | instid1(VALU_DEP_4)
	v_fmaak_f32 v18, v7, v18, 0x3d2aabf7
	v_fmaak_f32 v13, 0, v9, 0x3a15c4d9
	v_dual_fmaak_f32 v14, 0, v9, 0x3a47c962 :: v_dual_mul_f32 v19, v10, v19
	v_mul_f32_e32 v17, v7, v17
	v_fmaak_f32 v12, 0, v9, 0x3d513fd3
	s_delay_alu instid0(VALU_DEP_4) | instskip(NEXT) | instid1(VALU_DEP_4)
	v_fmaak_f32 v13, v9, v13, 0x3d8cfeeb
	v_dual_fmaak_f32 v14, v9, v14, 0x3d95ca45 :: v_dual_lshlrev_b32 v5, 30, v5
	v_dual_fmaak_f32 v15, 0, v9, 0x42947983 :: v_dual_fmac_f32 v4, v4, v19
	s_delay_alu instid0(VALU_DEP_3) | instskip(NEXT) | instid1(VALU_DEP_3)
	v_fmaak_f32 v13, v9, v13, 0x3f8d754e
	v_fmaak_f32 v14, v9, v14, 0x3f9047f6
	;; [unrolled: 1-line block ×3, first 2 shown]
	s_delay_alu instid0(VALU_DEP_4) | instskip(NEXT) | instid1(VALU_DEP_4)
	v_dual_fmaak_f32 v15, v9, v15, 0x44840e5d :: v_dual_fmac_f32 v2, v2, v17
	v_fmaak_f32 v13, v9, v13, 0x40a25d18
	s_delay_alu instid0(VALU_DEP_4) | instskip(SKIP_1) | instid1(VALU_DEP_4)
	v_fmaak_f32 v14, v9, v14, 0x40a39628
	v_fmaak_f32 v18, v7, v18, 0xbf000004
	;; [unrolled: 1-line block ×6, first 2 shown]
	v_fma_f32 v7, v7, v18, 1.0
	v_fmaak_f32 v15, v9, v15, 0x46156947
	v_fma_f32 v10, v10, v20, 1.0
	v_fmaak_f32 v13, v9, v13, 0x40a6b6ea
	v_fmaak_f32 v14, v9, v14, 0x40a6dd51
	v_cndmask_b32_e64 v2, v7, v2, s4
	v_fmaak_f32 v15, v9, v15, 0x45f9e855
	v_cmp_eq_u32_e64 s4, 0, v11
	v_fma_f32 v13, v9, v13, 1.0
	v_fma_f32 v14, v9, v14, 1.0
	v_and_b32_e32 v3, 0x80000000, v3
	v_fmaak_f32 v15, v9, v15, 0x4530a316
	v_cndmask_b32_e64 v4, -v4, v10, s4
	v_and_b32_e32 v5, 0x80000000, v5
	v_div_scale_f32 v27, vcc_lo, v14, v13, v14
	v_fmaak_f32 v12, v9, v12, 0x4297a5cd
	v_fmaak_f32 v15, v9, v15, 0x43a80bfb
	v_xor3_b32 v1, v1, v3, v2
	v_xor_b32_e32 v4, v5, v4
	s_delay_alu instid0(VALU_DEP_4) | instskip(NEXT) | instid1(VALU_DEP_1)
	v_fmaak_f32 v12, v9, v12, 0x43b763ca
	v_fmaak_f32 v12, v9, v12, 0x4431b6ce
	s_delay_alu instid0(VALU_DEP_1) | instskip(NEXT) | instid1(VALU_DEP_1)
	v_fmaak_f32 v12, v9, v12, 0x44155f56
	v_fmaak_f32 v12, v9, v12, 0x4353b052
	s_delay_alu instid0(VALU_DEP_1) | instskip(SKIP_1) | instid1(VALU_DEP_2)
	v_fmaak_f32 v9, v9, v12, 0x41c9a7fa
	v_div_scale_f32 v12, null, v13, v13, v14
	v_div_scale_f32 v21, null, v15, v15, v9
	s_delay_alu instid0(VALU_DEP_2) | instskip(NEXT) | instid1(VALU_DEP_1)
	v_rcp_f32_e32 v22, v12
	v_rcp_f32_e32 v23, v21
	s_waitcnt_depctr 0xfff
	v_fma_f32 v25, -v12, v22, 1.0
	v_fma_f32 v26, -v21, v23, 1.0
	v_mul_f32_e32 v16, 0x4f800000, v41
	s_delay_alu instid0(VALU_DEP_3) | instskip(SKIP_1) | instid1(VALU_DEP_4)
	v_fmac_f32_e32 v22, v25, v22
	v_div_scale_f32 v25, s3, v9, v15, v9
	v_fmac_f32_e32 v23, v26, v23
	s_delay_alu instid0(VALU_DEP_4) | instskip(NEXT) | instid1(VALU_DEP_2)
	v_cndmask_b32_e64 v16, v41, v16, s2
	v_dual_mul_f32 v17, v27, v22 :: v_dual_mul_f32 v18, v25, v23
	s_delay_alu instid0(VALU_DEP_2) | instskip(NEXT) | instid1(VALU_DEP_1)
	v_sqrt_f32_e32 v24, v16
	v_fma_f32 v20, -v12, v17, v27
	s_delay_alu instid0(VALU_DEP_2) | instskip(NEXT) | instid1(VALU_DEP_2)
	v_fma_f32 v28, -v21, v18, v25
	v_fmac_f32_e32 v17, v20, v22
	s_waitcnt_depctr 0xfff
	v_dual_fmac_f32 v18, v28, v23 :: v_dual_add_nc_u32 v19, -1, v24
	v_fma_f32 v10, -v12, v17, v27
	v_add_nc_u32_e32 v26, 1, v24
	s_delay_alu instid0(VALU_DEP_3) | instskip(NEXT) | instid1(VALU_DEP_4)
	v_fma_f32 v2, -v21, v18, v25
	v_fma_f32 v7, -v19, v24, v16
	s_delay_alu instid0(VALU_DEP_4)
	v_div_fmas_f32 v3, v10, v22, v17
	s_mov_b32 vcc_lo, s3
	v_fma_f32 v8, -v26, v24, v16
	v_div_fmas_f32 v2, v2, v23, v18
	v_cmp_ge_f32_e32 vcc_lo, 0, v7
	v_div_fixup_f32 v3, v3, v13, v14
	s_delay_alu instid0(VALU_DEP_4) | instskip(SKIP_3) | instid1(VALU_DEP_3)
	v_cmp_lt_f32_e64 s3, 0, v8
	v_cndmask_b32_e32 v5, v24, v19, vcc_lo
	v_cmp_class_f32_e64 vcc_lo, v0, 0x1f8
	v_div_fixup_f32 v0, v2, v15, v9
	v_cndmask_b32_e64 v2, v5, v26, s3
	v_cndmask_b32_e32 v4, 0x7fc00000, v4, vcc_lo
	s_delay_alu instid0(VALU_DEP_3) | instskip(SKIP_1) | instid1(VALU_DEP_2)
	v_dual_mul_f32 v0, v6, v0 :: v_dual_cndmask_b32 v1, 0x7fc00000, v1
	v_cmp_class_f32_e64 vcc_lo, v16, 0x260
	v_dual_mul_f32 v5, 0x37800000, v2 :: v_dual_mul_f32 v0, v0, v4
	s_delay_alu instid0(VALU_DEP_1) | instskip(NEXT) | instid1(VALU_DEP_1)
	v_cndmask_b32_e64 v2, v2, v5, s2
	v_dual_fmac_f32 v0, v3, v1 :: v_dual_cndmask_b32 v1, v2, v16
	s_delay_alu instid0(VALU_DEP_1) | instskip(NEXT) | instid1(VALU_DEP_1)
	v_mul_f32_e32 v0, 0x3f4c422a, v0
	v_div_scale_f32 v2, null, v1, v1, v0
	s_delay_alu instid0(VALU_DEP_1) | instskip(SKIP_2) | instid1(VALU_DEP_1)
	v_rcp_f32_e32 v3, v2
	s_waitcnt_depctr 0xfff
	v_fma_f32 v4, -v2, v3, 1.0
	v_fmac_f32_e32 v3, v4, v3
	v_div_scale_f32 v4, vcc_lo, v0, v1, v0
	s_delay_alu instid0(VALU_DEP_1) | instskip(NEXT) | instid1(VALU_DEP_1)
	v_mul_f32_e32 v5, v4, v3
	v_fma_f32 v6, -v2, v5, v4
	s_delay_alu instid0(VALU_DEP_1) | instskip(NEXT) | instid1(VALU_DEP_1)
	v_fmac_f32_e32 v5, v6, v3
	v_fma_f32 v2, -v2, v5, v4
	s_delay_alu instid0(VALU_DEP_1) | instskip(NEXT) | instid1(VALU_DEP_1)
	v_div_fmas_f32 v2, v2, v3, v5
	v_div_fixup_f32 v0, v2, v1, v0
.LBB21_156:
	s_or_b32 exec_lo, exec_lo, s5
	v_add_nc_u32_e32 v44, 0x80, v44
	global_store_b32 v42, v0, s[36:37]
	s_or_b32 exec_lo, exec_lo, s61
	s_delay_alu instid0(SALU_CYCLE_1)
	s_mov_b32 s61, exec_lo
	v_cmpx_gt_i32_e64 s58, v44
	s_cbranch_execnz .LBB21_15
.LBB21_157:
	s_or_b32 exec_lo, exec_lo, s61
	s_delay_alu instid0(SALU_CYCLE_1)
	s_mov_b32 s61, exec_lo
	v_cmpx_gt_i32_e64 s58, v44
	s_cbranch_execz .LBB21_188
.LBB21_158:
	s_and_not1_b32 vcc_lo, exec_lo, s55
	s_cbranch_vccnz .LBB21_163
; %bb.159:
	v_mov_b32_e32 v42, 0
	v_mov_b32_e32 v0, 0
	s_and_not1_b32 vcc_lo, exec_lo, s60
	s_mov_b32 s6, 0
	s_cbranch_vccnz .LBB21_195
; %bb.160:
	v_mov_b32_e32 v42, 0
	s_add_i32 s8, s59, 1
	s_cmp_eq_u32 s54, 2
	s_mov_b32 s7, 0
	s_cbranch_scc1 .LBB21_191
; %bb.161:
	v_dual_mov_b32 v0, 0 :: v_dual_mov_b32 v1, v44
	v_mov_b32_e32 v42, 0
	s_and_b32 s7, s8, 28
	s_mov_b32 s9, 0
	s_mov_b64 s[2:3], s[50:51]
	s_mov_b64 s[4:5], s[0:1]
.LBB21_162:                             ; =>This Inner Loop Header: Depth=1
	s_clause 0x1
	s_load_b256 s[12:19], s[4:5], 0x4
	s_load_b128 s[28:31], s[4:5], 0x24
	s_load_b256 s[20:27], s[2:3], 0x0
	s_add_u32 s4, s4, 48
	s_addc_u32 s5, s5, 0
	s_add_i32 s9, s9, 4
	s_add_u32 s2, s2, 32
	s_addc_u32 s3, s3, 0
	s_cmp_eq_u32 s7, s9
	s_waitcnt lgkmcnt(0)
	v_mul_hi_u32 v2, s13, v1
	s_delay_alu instid0(VALU_DEP_1) | instskip(NEXT) | instid1(VALU_DEP_1)
	v_add_nc_u32_e32 v2, v1, v2
	v_lshrrev_b32_e32 v2, s14, v2
	s_delay_alu instid0(VALU_DEP_1) | instskip(SKIP_1) | instid1(VALU_DEP_2)
	v_mul_hi_u32 v3, s16, v2
	v_mul_lo_u32 v5, v2, s12
	v_add_nc_u32_e32 v3, v2, v3
	s_delay_alu instid0(VALU_DEP_2) | instskip(NEXT) | instid1(VALU_DEP_2)
	v_sub_nc_u32_e32 v1, v1, v5
	v_lshrrev_b32_e32 v3, s17, v3
	s_delay_alu instid0(VALU_DEP_2) | instskip(SKIP_1) | instid1(VALU_DEP_3)
	v_mul_lo_u32 v5, v1, s20
	v_mul_lo_u32 v7, v1, s21
	v_mul_hi_u32 v4, s19, v3
	s_delay_alu instid0(VALU_DEP_1) | instskip(NEXT) | instid1(VALU_DEP_1)
	v_add_nc_u32_e32 v4, v3, v4
	v_lshrrev_b32_e32 v4, s28, v4
	s_delay_alu instid0(VALU_DEP_1) | instskip(SKIP_1) | instid1(VALU_DEP_2)
	v_mul_hi_u32 v6, s30, v4
	v_mul_lo_u32 v8, v4, s18
	v_add_nc_u32_e32 v1, v4, v6
	v_mul_lo_u32 v6, v3, s15
	s_delay_alu instid0(VALU_DEP_3) | instskip(NEXT) | instid1(VALU_DEP_3)
	v_sub_nc_u32_e32 v3, v3, v8
	v_lshrrev_b32_e32 v1, s31, v1
	s_delay_alu instid0(VALU_DEP_2) | instskip(SKIP_2) | instid1(VALU_DEP_4)
	v_mul_lo_u32 v8, v3, s24
	v_mul_lo_u32 v3, v3, s25
	v_sub_nc_u32_e32 v2, v2, v6
	v_mul_lo_u32 v9, v1, s29
	s_delay_alu instid0(VALU_DEP_2) | instskip(SKIP_1) | instid1(VALU_DEP_3)
	v_mul_lo_u32 v6, v2, s22
	v_mul_lo_u32 v2, v2, s23
	v_sub_nc_u32_e32 v4, v4, v9
	s_delay_alu instid0(VALU_DEP_3) | instskip(NEXT) | instid1(VALU_DEP_2)
	v_add3_u32 v5, v5, v42, v6
	v_mul_lo_u32 v9, v4, s26
	v_mul_lo_u32 v4, v4, s27
	v_add3_u32 v0, v7, v0, v2
	s_delay_alu instid0(VALU_DEP_3) | instskip(NEXT) | instid1(VALU_DEP_2)
	v_add3_u32 v42, v8, v5, v9
	v_add3_u32 v0, v3, v0, v4
	s_cbranch_scc0 .LBB21_162
	s_branch .LBB21_192
.LBB21_163:
	s_mov_b32 s6, -1
                                        ; implicit-def: $vgpr42
                                        ; implicit-def: $vgpr0
	s_branch .LBB21_195
.LBB21_164:
	v_dual_mov_b32 v1, v44 :: v_dual_mov_b32 v0, 0
.LBB21_165:
	s_and_b32 s8, s8, 3
	s_delay_alu instid0(SALU_CYCLE_1)
	s_cmp_eq_u32 s8, 0
	s_cbranch_scc1 .LBB21_168
; %bb.166:
	s_lshl_b32 s2, s7, 3
	s_mul_i32 s4, s7, 12
	s_add_u32 s2, s2, s0
	s_addc_u32 s3, s1, 0
	s_add_u32 s2, s2, 0xc4
	s_addc_u32 s3, s3, 0
	;; [unrolled: 2-line block ×3, first 2 shown]
	.p2align	6
.LBB21_167:                             ; =>This Inner Loop Header: Depth=1
	s_clause 0x1
	s_load_b64 s[10:11], s[4:5], 0x4
	s_load_b32 s7, s[4:5], 0xc
	s_load_b64 s[12:13], s[2:3], 0x0
	s_add_u32 s4, s4, 12
	s_addc_u32 s5, s5, 0
	s_add_u32 s2, s2, 8
	s_addc_u32 s3, s3, 0
	s_add_i32 s8, s8, -1
	s_delay_alu instid0(SALU_CYCLE_1) | instskip(SKIP_2) | instid1(VALU_DEP_1)
	s_cmp_lg_u32 s8, 0
	s_waitcnt lgkmcnt(0)
	v_mul_hi_u32 v2, s11, v1
	v_add_nc_u32_e32 v2, v1, v2
	s_delay_alu instid0(VALU_DEP_1) | instskip(NEXT) | instid1(VALU_DEP_1)
	v_lshrrev_b32_e32 v5, s7, v2
	v_mul_lo_u32 v2, v5, s10
	s_delay_alu instid0(VALU_DEP_1) | instskip(NEXT) | instid1(VALU_DEP_1)
	v_sub_nc_u32_e32 v1, v1, v2
	v_mad_u64_u32 v[2:3], null, v1, s12, v[42:43]
	v_mad_u64_u32 v[3:4], null, v1, s13, v[0:1]
	s_delay_alu instid0(VALU_DEP_2) | instskip(NEXT) | instid1(VALU_DEP_2)
	v_dual_mov_b32 v1, v5 :: v_dual_mov_b32 v42, v2
	v_mov_b32_e32 v0, v3
	s_cbranch_scc1 .LBB21_167
.LBB21_168:
	s_and_not1_b32 vcc_lo, exec_lo, s6
	s_cbranch_vccnz .LBB21_171
; %bb.169:
	s_waitcnt lgkmcnt(0)
	v_mul_hi_u32 v0, s45, v44
	s_and_not1_b32 vcc_lo, exec_lo, s57
	s_delay_alu instid0(VALU_DEP_1) | instskip(NEXT) | instid1(VALU_DEP_1)
	v_add_nc_u32_e32 v0, v44, v0
	v_lshrrev_b32_e32 v1, s46, v0
	s_delay_alu instid0(VALU_DEP_1) | instskip(NEXT) | instid1(VALU_DEP_1)
	v_mul_lo_u32 v0, v1, s44
	v_sub_nc_u32_e32 v0, v44, v0
	s_delay_alu instid0(VALU_DEP_1)
	v_mul_lo_u32 v42, v0, s40
	v_mul_lo_u32 v0, v0, s41
	s_cbranch_vccnz .LBB21_171
; %bb.170:
	v_mul_hi_u32 v2, s48, v1
	s_delay_alu instid0(VALU_DEP_1) | instskip(NEXT) | instid1(VALU_DEP_1)
	v_add_nc_u32_e32 v2, v1, v2
	v_lshrrev_b32_e32 v2, s49, v2
	s_delay_alu instid0(VALU_DEP_1) | instskip(NEXT) | instid1(VALU_DEP_1)
	v_mul_lo_u32 v2, v2, s47
	v_sub_nc_u32_e32 v4, v1, v2
	s_delay_alu instid0(VALU_DEP_1) | instskip(NEXT) | instid1(VALU_DEP_1)
	v_mad_u64_u32 v[1:2], null, v4, s42, v[42:43]
	v_mad_u64_u32 v[2:3], null, v4, s43, v[0:1]
	v_mov_b32_e32 v42, v1
	s_delay_alu instid0(VALU_DEP_2)
	v_mov_b32_e32 v0, v2
.LBB21_171:
	s_waitcnt lgkmcnt(0)
	global_load_b32 v41, v0, s[38:39]
                                        ; implicit-def: $vgpr0
	s_mov_b32 s2, exec_lo
	s_waitcnt vmcnt(0)
	v_cmpx_ge_f32_e32 0x40a00000, v41
	s_xor_b32 s62, exec_lo, s2
	s_cbranch_execz .LBB21_177
; %bb.172:
	v_mov_b32_e32 v0, 0xff800000
	s_mov_b32 s63, exec_lo
	v_cmpx_neq_f32_e32 0, v41
	s_cbranch_execz .LBB21_176
; %bb.173:
	v_mov_b32_e32 v0, 0x7fc00000
	s_mov_b32 s64, exec_lo
	v_cmpx_nge_f32_e32 0, v41
	s_cbranch_execz .LBB21_175
; %bb.174:
	v_mul_f32_e32 v0, v41, v41
	s_getpc_b64 s[2:3]
	s_add_u32 s2, s2, _Z17bessel_j1_forwardIfET_S0_@rel32@lo+4
	s_addc_u32 s3, s3, _Z17bessel_j1_forwardIfET_S0_@rel32@hi+12
	s_mov_b64 s[52:53], s[0:1]
	v_fmaak_f32 v1, 0, v0, 0x4414934d
	v_fmaak_f32 v2, 0, v0, 0x4e9695f3
	s_delay_alu instid0(VALU_DEP_2) | instskip(NEXT) | instid1(VALU_DEP_2)
	v_fmaak_f32 v1, v0, v1, 0x48660b06
	v_fmaak_f32 v2, v0, v2, 0xd316b96b
	s_delay_alu instid0(VALU_DEP_2) | instskip(NEXT) | instid1(VALU_DEP_2)
	;; [unrolled: 3-line block ×5, first 2 shown]
	v_fmaak_f32 v1, v0, v1, 0x580d1937
	v_fmaak_f32 v2, v0, v2, 0xdd2cf20b
	s_delay_alu instid0(VALU_DEP_2) | instskip(NEXT) | instid1(VALU_DEP_1)
	v_fmaak_f32 v1, v0, v1, 0x5b741f1e
	v_fmaak_f32 v0, v0, v1, 0x5e5c878d
	s_delay_alu instid0(VALU_DEP_1) | instskip(SKIP_1) | instid1(VALU_DEP_2)
	v_div_scale_f32 v1, null, v0, v0, v2
	v_div_scale_f32 v5, vcc_lo, v2, v0, v2
	v_rcp_f32_e32 v3, v1
	s_waitcnt_depctr 0xfff
	v_fma_f32 v4, -v1, v3, 1.0
	s_delay_alu instid0(VALU_DEP_1) | instskip(NEXT) | instid1(VALU_DEP_1)
	v_fmac_f32_e32 v3, v4, v3
	v_mul_f32_e32 v4, v5, v3
	s_delay_alu instid0(VALU_DEP_1) | instskip(NEXT) | instid1(VALU_DEP_1)
	v_fma_f32 v6, -v1, v4, v5
	v_fmac_f32_e32 v4, v6, v3
	s_delay_alu instid0(VALU_DEP_1) | instskip(NEXT) | instid1(VALU_DEP_1)
	v_fma_f32 v1, -v1, v4, v5
	v_div_fmas_f32 v1, v1, v3, v4
	s_delay_alu instid0(VALU_DEP_1)
	v_div_fixup_f32 v43, v1, v0, v2
	v_mov_b32_e32 v0, v41
	s_swappc_b64 s[30:31], s[2:3]
	v_div_scale_f32 v1, null, v41, v41, -1.0
	v_cmp_gt_f32_e32 vcc_lo, 0x800000, v41
	v_div_scale_f32 v5, s2, -1.0, v41, -1.0
	s_delay_alu instid0(VALU_DEP_3) | instskip(SKIP_4) | instid1(VALU_DEP_1)
	v_rcp_f32_e32 v3, v1
	s_mov_b64 s[0:1], s[52:53]
	v_cndmask_b32_e64 v2, 1.0, 0x4f800000, vcc_lo
	s_waitcnt_depctr 0xfff
	v_fma_f32 v4, -v1, v3, 1.0
	v_dual_mul_f32 v2, v41, v2 :: v_dual_fmac_f32 v3, v4, v3
	s_delay_alu instid0(VALU_DEP_1) | instskip(SKIP_3) | instid1(VALU_DEP_2)
	v_log_f32_e32 v2, v2
	s_waitcnt_depctr 0xfff
	v_mul_f32_e32 v4, 0x3f317217, v2
	v_cmp_gt_f32_e64 s3, 0x7f800000, |v2|
	v_fma_f32 v7, 0x3f317217, v2, -v4
	s_delay_alu instid0(VALU_DEP_1) | instskip(NEXT) | instid1(VALU_DEP_1)
	v_dual_mul_f32 v6, v5, v3 :: v_dual_fmamk_f32 v7, v2, 0x3377d1cf, v7
	v_fma_f32 v8, -v1, v6, v5
	s_delay_alu instid0(VALU_DEP_2) | instskip(NEXT) | instid1(VALU_DEP_2)
	v_add_f32_e32 v4, v4, v7
	v_fmac_f32_e32 v6, v8, v3
	s_delay_alu instid0(VALU_DEP_2) | instskip(NEXT) | instid1(VALU_DEP_2)
	v_cndmask_b32_e64 v2, v2, v4, s3
	v_fma_f32 v1, -v1, v6, v5
	v_cndmask_b32_e64 v4, 0, 0x41b17218, vcc_lo
	s_mov_b32 vcc_lo, s2
	s_delay_alu instid0(VALU_DEP_2) | instskip(NEXT) | instid1(VALU_DEP_2)
	v_div_fmas_f32 v1, v1, v3, v6
	v_sub_f32_e32 v2, v2, v4
	s_delay_alu instid0(VALU_DEP_2) | instskip(NEXT) | instid1(VALU_DEP_1)
	v_div_fixup_f32 v1, v1, v41, -1.0
	v_fmac_f32_e32 v1, v2, v0
	s_delay_alu instid0(VALU_DEP_1) | instskip(NEXT) | instid1(VALU_DEP_1)
	v_mul_f32_e32 v0, 0x3f22f983, v1
	v_fmac_f32_e32 v0, v41, v43
.LBB21_175:
	s_or_b32 exec_lo, exec_lo, s64
.LBB21_176:
	s_delay_alu instid0(SALU_CYCLE_1)
	s_or_b32 exec_lo, exec_lo, s63
                                        ; implicit-def: $vgpr41
.LBB21_177:
	s_and_not1_saveexec_b32 s5, s62
	s_cbranch_execz .LBB21_187
; %bb.178:
	v_add_f32_e32 v0, 0xc016cbe4, v41
                                        ; implicit-def: $vgpr3
                                        ; implicit-def: $vgpr2
	s_delay_alu instid0(VALU_DEP_1) | instskip(SKIP_1) | instid1(VALU_DEP_1)
	v_and_b32_e32 v1, 0x7fffffff, v0
	v_cmp_ngt_f32_e64 s6, 0x48000000, |v0|
	s_and_saveexec_b32 s2, s6
	s_delay_alu instid0(SALU_CYCLE_1)
	s_xor_b32 s7, exec_lo, s2
	s_cbranch_execz .LBB21_180
; %bb.179:
	s_mov_b32 s2, 0x7fffff
	v_mov_b32_e32 v4, 0
	v_and_or_b32 v12, v1, s2, 0x800000
	v_lshrrev_b32_e32 v9, 23, v1
	s_delay_alu instid0(VALU_DEP_2) | instskip(NEXT) | instid1(VALU_DEP_2)
	v_mad_u64_u32 v[2:3], null, 0xfe5163ab, v12, 0
	v_add_nc_u32_e32 v10, 0xffffff88, v9
	s_delay_alu instid0(VALU_DEP_1) | instskip(NEXT) | instid1(VALU_DEP_3)
	v_cmp_lt_u32_e32 vcc_lo, 63, v10
	v_mad_u64_u32 v[5:6], null, 0x3c439041, v12, v[3:4]
	v_cndmask_b32_e64 v11, 0, 0xffffffc0, vcc_lo
	s_delay_alu instid0(VALU_DEP_2) | instskip(NEXT) | instid1(VALU_DEP_2)
	v_mov_b32_e32 v3, v6
	v_add_nc_u32_e32 v11, v11, v10
	s_delay_alu instid0(VALU_DEP_2) | instskip(NEXT) | instid1(VALU_DEP_2)
	v_mad_u64_u32 v[6:7], null, 0xdb629599, v12, v[3:4]
	v_cmp_lt_u32_e64 s2, 31, v11
	s_delay_alu instid0(VALU_DEP_1) | instskip(NEXT) | instid1(VALU_DEP_3)
	v_cndmask_b32_e64 v13, 0, 0xffffffe0, s2
	v_dual_mov_b32 v3, v7 :: v_dual_cndmask_b32 v2, v6, v2
	s_delay_alu instid0(VALU_DEP_2) | instskip(NEXT) | instid1(VALU_DEP_2)
	v_add_nc_u32_e32 v13, v13, v11
	v_mad_u64_u32 v[7:8], null, 0xf534ddc0, v12, v[3:4]
	s_delay_alu instid0(VALU_DEP_2) | instskip(NEXT) | instid1(VALU_DEP_2)
	v_cmp_lt_u32_e64 s3, 31, v13
	v_mov_b32_e32 v3, v8
	s_delay_alu instid0(VALU_DEP_3) | instskip(NEXT) | instid1(VALU_DEP_2)
	v_cndmask_b32_e32 v5, v7, v5, vcc_lo
	v_mad_u64_u32 v[8:9], null, 0xfc2757d1, v12, v[3:4]
	s_delay_alu instid0(VALU_DEP_2) | instskip(NEXT) | instid1(VALU_DEP_2)
	v_cndmask_b32_e64 v2, v5, v2, s2
	v_mov_b32_e32 v3, v9
	s_delay_alu instid0(VALU_DEP_1) | instskip(NEXT) | instid1(VALU_DEP_1)
	v_mad_u64_u32 v[9:10], null, 0x4e441529, v12, v[3:4]
	v_mov_b32_e32 v3, v10
	s_delay_alu instid0(VALU_DEP_1) | instskip(SKIP_1) | instid1(VALU_DEP_1)
	v_mad_u64_u32 v[10:11], null, 0xa2f9836e, v12, v[3:4]
	v_cndmask_b32_e64 v3, 0, 0xffffffe0, s3
	v_dual_cndmask_b32 v4, v9, v7 :: v_dual_add_nc_u32 v3, v3, v13
	s_delay_alu instid0(VALU_DEP_3) | instskip(NEXT) | instid1(VALU_DEP_4)
	v_cndmask_b32_e32 v10, v10, v8, vcc_lo
	v_dual_cndmask_b32 v8, v8, v6 :: v_dual_cndmask_b32 v9, v11, v9
	s_delay_alu instid0(VALU_DEP_3) | instskip(NEXT) | instid1(VALU_DEP_3)
	v_cmp_eq_u32_e64 s4, 0, v3
	v_cndmask_b32_e64 v7, v10, v4, s2
	s_delay_alu instid0(VALU_DEP_3) | instskip(NEXT) | instid1(VALU_DEP_4)
	v_cndmask_b32_e64 v4, v4, v8, s2
	v_cndmask_b32_e64 v9, v9, v10, s2
	v_sub_nc_u32_e32 v10, 32, v3
	v_cndmask_b32_e64 v8, v8, v5, s2
	s_delay_alu instid0(VALU_DEP_3) | instskip(SKIP_1) | instid1(VALU_DEP_3)
	v_cndmask_b32_e64 v9, v9, v7, s3
	v_cndmask_b32_e64 v7, v7, v4, s3
	;; [unrolled: 1-line block ×4, first 2 shown]
	s_delay_alu instid0(VALU_DEP_3) | instskip(NEXT) | instid1(VALU_DEP_3)
	v_alignbit_b32 v11, v9, v7, v10
	v_alignbit_b32 v12, v7, v4, v10
	s_delay_alu instid0(VALU_DEP_3) | instskip(NEXT) | instid1(VALU_DEP_3)
	v_alignbit_b32 v10, v4, v2, v10
	v_cndmask_b32_e64 v3, v11, v9, s4
	s_delay_alu instid0(VALU_DEP_3) | instskip(NEXT) | instid1(VALU_DEP_3)
	v_cndmask_b32_e64 v6, v12, v7, s4
	v_cndmask_b32_e64 v4, v10, v4, s4
	s_delay_alu instid0(VALU_DEP_3) | instskip(NEXT) | instid1(VALU_DEP_3)
	v_bfe_u32 v7, v3, 29, 1
	v_alignbit_b32 v5, v3, v6, 30
	s_delay_alu instid0(VALU_DEP_3) | instskip(SKIP_1) | instid1(VALU_DEP_4)
	v_alignbit_b32 v6, v6, v4, 30
	v_alignbit_b32 v2, v4, v2, 30
	v_sub_nc_u32_e32 v9, 0, v7
	s_delay_alu instid0(VALU_DEP_1) | instskip(SKIP_3) | instid1(VALU_DEP_4)
	v_xor_b32_e32 v8, v5, v9
	v_cmp_ne_u32_e32 vcc_lo, v5, v9
	v_xor_b32_e32 v4, v6, v9
	v_xor_b32_e32 v2, v2, v9
	v_clz_i32_u32_e32 v11, v8
	s_delay_alu instid0(VALU_DEP_1) | instskip(NEXT) | instid1(VALU_DEP_1)
	v_add_nc_u32_e32 v10, 1, v11
	v_cndmask_b32_e32 v5, 33, v10, vcc_lo
	s_delay_alu instid0(VALU_DEP_1) | instskip(NEXT) | instid1(VALU_DEP_1)
	v_sub_nc_u32_e32 v6, 32, v5
	v_alignbit_b32 v8, v8, v4, v6
	v_alignbit_b32 v2, v4, v2, v6
	v_lshrrev_b32_e32 v4, 29, v3
	v_lshrrev_b32_e32 v3, 30, v3
	s_delay_alu instid0(VALU_DEP_3) | instskip(NEXT) | instid1(VALU_DEP_3)
	v_alignbit_b32 v6, v8, v2, 9
	v_lshlrev_b32_e32 v4, 31, v4
	v_alignbit_b32 v8, v5, v8, 9
	s_delay_alu instid0(VALU_DEP_4) | instskip(NEXT) | instid1(VALU_DEP_4)
	v_add_nc_u32_e32 v3, v7, v3
	v_clz_i32_u32_e32 v9, v6
	s_delay_alu instid0(VALU_DEP_3) | instskip(SKIP_1) | instid1(VALU_DEP_3)
	v_or_b32_e32 v8, v8, v4
	v_or_b32_e32 v4, 0x33800000, v4
	v_min_u32_e32 v9, 32, v9
	s_delay_alu instid0(VALU_DEP_3) | instskip(NEXT) | instid1(VALU_DEP_2)
	v_xor_b32_e32 v8, 1.0, v8
	v_sub_nc_u32_e32 v10, 31, v9
	v_add_lshl_u32 v5, v9, v5, 23
	s_delay_alu instid0(VALU_DEP_3) | instskip(NEXT) | instid1(VALU_DEP_3)
	v_mul_f32_e32 v9, 0x3fc90fda, v8
	v_alignbit_b32 v2, v6, v2, v10
	s_delay_alu instid0(VALU_DEP_3) | instskip(NEXT) | instid1(VALU_DEP_3)
	v_sub_nc_u32_e32 v4, v4, v5
	v_fma_f32 v5, 0x3fc90fda, v8, -v9
	s_delay_alu instid0(VALU_DEP_3) | instskip(NEXT) | instid1(VALU_DEP_2)
	v_lshrrev_b32_e32 v2, 9, v2
	v_fmamk_f32 v5, v8, 0x33a22168, v5
	s_delay_alu instid0(VALU_DEP_2) | instskip(NEXT) | instid1(VALU_DEP_1)
	v_or_b32_e32 v2, v4, v2
	v_fmac_f32_e32 v5, 0x3fc90fda, v2
	s_delay_alu instid0(VALU_DEP_1)
	v_add_f32_e32 v2, v9, v5
	s_and_not1_saveexec_b32 s2, s7
	s_branch .LBB21_181
.LBB21_180:
	s_and_not1_saveexec_b32 s2, s7
.LBB21_181:
	v_mul_f32_e64 v2, 0x3f22f983, |v0|
	s_delay_alu instid0(VALU_DEP_1) | instskip(NEXT) | instid1(VALU_DEP_1)
	v_rndne_f32_e32 v3, v2
	v_fma_f32 v2, 0xbfc90fda, v3, |v0|
	s_delay_alu instid0(VALU_DEP_1) | instskip(NEXT) | instid1(VALU_DEP_1)
	v_fmamk_f32 v2, v3, 0xb3a22168, v2
	v_fmamk_f32 v2, v3, 0xa7c234c4, v2
	v_cvt_i32_f32_e32 v3, v3
; %bb.182:
	s_or_b32 exec_lo, exec_lo, s2
                                        ; implicit-def: $vgpr5
                                        ; implicit-def: $vgpr4
	s_and_saveexec_b32 s2, s6
	s_delay_alu instid0(SALU_CYCLE_1)
	s_xor_b32 s6, exec_lo, s2
	s_cbranch_execz .LBB21_184
; %bb.183:
	s_mov_b32 s2, 0x7fffff
	v_mov_b32_e32 v6, 0
	v_and_or_b32 v14, v1, s2, 0x800000
	v_lshrrev_b32_e32 v11, 23, v1
	s_delay_alu instid0(VALU_DEP_2) | instskip(NEXT) | instid1(VALU_DEP_2)
	v_mad_u64_u32 v[4:5], null, 0xfe5163ab, v14, 0
	v_add_nc_u32_e32 v12, 0xffffff88, v11
	s_delay_alu instid0(VALU_DEP_1) | instskip(NEXT) | instid1(VALU_DEP_3)
	v_cmp_lt_u32_e32 vcc_lo, 63, v12
	v_mad_u64_u32 v[7:8], null, 0x3c439041, v14, v[5:6]
	v_cndmask_b32_e64 v13, 0, 0xffffffc0, vcc_lo
	s_delay_alu instid0(VALU_DEP_2) | instskip(NEXT) | instid1(VALU_DEP_2)
	v_mov_b32_e32 v5, v8
	v_add_nc_u32_e32 v13, v13, v12
	s_delay_alu instid0(VALU_DEP_2) | instskip(NEXT) | instid1(VALU_DEP_2)
	v_mad_u64_u32 v[8:9], null, 0xdb629599, v14, v[5:6]
	v_cmp_lt_u32_e64 s2, 31, v13
	s_delay_alu instid0(VALU_DEP_1) | instskip(NEXT) | instid1(VALU_DEP_3)
	v_cndmask_b32_e64 v15, 0, 0xffffffe0, s2
	v_dual_mov_b32 v5, v9 :: v_dual_cndmask_b32 v4, v8, v4
	s_delay_alu instid0(VALU_DEP_2) | instskip(NEXT) | instid1(VALU_DEP_2)
	v_add_nc_u32_e32 v15, v15, v13
	v_mad_u64_u32 v[9:10], null, 0xf534ddc0, v14, v[5:6]
	s_delay_alu instid0(VALU_DEP_2) | instskip(NEXT) | instid1(VALU_DEP_2)
	v_cmp_lt_u32_e64 s3, 31, v15
	v_mov_b32_e32 v5, v10
	s_delay_alu instid0(VALU_DEP_3) | instskip(NEXT) | instid1(VALU_DEP_2)
	v_cndmask_b32_e32 v7, v9, v7, vcc_lo
	v_mad_u64_u32 v[10:11], null, 0xfc2757d1, v14, v[5:6]
	s_delay_alu instid0(VALU_DEP_2) | instskip(NEXT) | instid1(VALU_DEP_2)
	v_cndmask_b32_e64 v4, v7, v4, s2
	v_mov_b32_e32 v5, v11
	s_delay_alu instid0(VALU_DEP_1) | instskip(NEXT) | instid1(VALU_DEP_1)
	v_mad_u64_u32 v[11:12], null, 0x4e441529, v14, v[5:6]
	v_mov_b32_e32 v5, v12
	s_delay_alu instid0(VALU_DEP_1) | instskip(SKIP_1) | instid1(VALU_DEP_1)
	v_mad_u64_u32 v[12:13], null, 0xa2f9836e, v14, v[5:6]
	v_cndmask_b32_e64 v5, 0, 0xffffffe0, s3
	v_dual_cndmask_b32 v6, v11, v9 :: v_dual_add_nc_u32 v5, v5, v15
	s_delay_alu instid0(VALU_DEP_3) | instskip(NEXT) | instid1(VALU_DEP_4)
	v_cndmask_b32_e32 v12, v12, v10, vcc_lo
	v_dual_cndmask_b32 v10, v10, v8 :: v_dual_cndmask_b32 v11, v13, v11
	s_delay_alu instid0(VALU_DEP_3) | instskip(NEXT) | instid1(VALU_DEP_3)
	v_cmp_eq_u32_e64 s4, 0, v5
	v_cndmask_b32_e64 v9, v12, v6, s2
	s_delay_alu instid0(VALU_DEP_3) | instskip(NEXT) | instid1(VALU_DEP_4)
	v_cndmask_b32_e64 v6, v6, v10, s2
	v_cndmask_b32_e64 v11, v11, v12, s2
	v_sub_nc_u32_e32 v12, 32, v5
	v_cndmask_b32_e64 v10, v10, v7, s2
	s_delay_alu instid0(VALU_DEP_3) | instskip(SKIP_1) | instid1(VALU_DEP_3)
	v_cndmask_b32_e64 v11, v11, v9, s3
	v_cndmask_b32_e64 v9, v9, v6, s3
	;; [unrolled: 1-line block ×4, first 2 shown]
	s_delay_alu instid0(VALU_DEP_3) | instskip(NEXT) | instid1(VALU_DEP_3)
	v_alignbit_b32 v13, v11, v9, v12
	v_alignbit_b32 v14, v9, v6, v12
	s_delay_alu instid0(VALU_DEP_3) | instskip(NEXT) | instid1(VALU_DEP_3)
	v_alignbit_b32 v12, v6, v4, v12
	v_cndmask_b32_e64 v5, v13, v11, s4
	s_delay_alu instid0(VALU_DEP_3) | instskip(NEXT) | instid1(VALU_DEP_3)
	v_cndmask_b32_e64 v8, v14, v9, s4
	v_cndmask_b32_e64 v6, v12, v6, s4
	s_delay_alu instid0(VALU_DEP_3) | instskip(NEXT) | instid1(VALU_DEP_3)
	v_bfe_u32 v9, v5, 29, 1
	v_alignbit_b32 v7, v5, v8, 30
	s_delay_alu instid0(VALU_DEP_3) | instskip(SKIP_1) | instid1(VALU_DEP_4)
	v_alignbit_b32 v8, v8, v6, 30
	v_alignbit_b32 v4, v6, v4, 30
	v_sub_nc_u32_e32 v11, 0, v9
	s_delay_alu instid0(VALU_DEP_1) | instskip(SKIP_3) | instid1(VALU_DEP_4)
	v_xor_b32_e32 v10, v7, v11
	v_cmp_ne_u32_e32 vcc_lo, v7, v11
	v_xor_b32_e32 v6, v8, v11
	v_xor_b32_e32 v4, v4, v11
	v_clz_i32_u32_e32 v13, v10
	s_delay_alu instid0(VALU_DEP_1) | instskip(NEXT) | instid1(VALU_DEP_1)
	v_add_nc_u32_e32 v12, 1, v13
	v_cndmask_b32_e32 v7, 33, v12, vcc_lo
	s_delay_alu instid0(VALU_DEP_1) | instskip(NEXT) | instid1(VALU_DEP_1)
	v_sub_nc_u32_e32 v8, 32, v7
	v_alignbit_b32 v10, v10, v6, v8
	v_alignbit_b32 v4, v6, v4, v8
	v_lshrrev_b32_e32 v6, 29, v5
	v_lshrrev_b32_e32 v5, 30, v5
	s_delay_alu instid0(VALU_DEP_3) | instskip(NEXT) | instid1(VALU_DEP_3)
	v_alignbit_b32 v8, v10, v4, 9
	v_lshlrev_b32_e32 v6, 31, v6
	v_alignbit_b32 v10, v7, v10, 9
	s_delay_alu instid0(VALU_DEP_4) | instskip(NEXT) | instid1(VALU_DEP_4)
	v_add_nc_u32_e32 v5, v9, v5
	v_clz_i32_u32_e32 v11, v8
	s_delay_alu instid0(VALU_DEP_3) | instskip(SKIP_1) | instid1(VALU_DEP_3)
	v_or_b32_e32 v10, v10, v6
	v_or_b32_e32 v6, 0x33800000, v6
	v_min_u32_e32 v11, 32, v11
	s_delay_alu instid0(VALU_DEP_3) | instskip(NEXT) | instid1(VALU_DEP_2)
	v_xor_b32_e32 v10, 1.0, v10
	v_sub_nc_u32_e32 v12, 31, v11
	v_add_lshl_u32 v7, v11, v7, 23
	s_delay_alu instid0(VALU_DEP_3) | instskip(NEXT) | instid1(VALU_DEP_3)
	v_mul_f32_e32 v11, 0x3fc90fda, v10
	v_alignbit_b32 v4, v8, v4, v12
	s_delay_alu instid0(VALU_DEP_3) | instskip(NEXT) | instid1(VALU_DEP_3)
	v_sub_nc_u32_e32 v6, v6, v7
	v_fma_f32 v7, 0x3fc90fda, v10, -v11
	s_delay_alu instid0(VALU_DEP_3) | instskip(NEXT) | instid1(VALU_DEP_2)
	v_lshrrev_b32_e32 v4, 9, v4
	v_fmamk_f32 v7, v10, 0x33a22168, v7
	s_delay_alu instid0(VALU_DEP_2) | instskip(NEXT) | instid1(VALU_DEP_1)
	v_or_b32_e32 v4, v6, v4
	v_fmac_f32_e32 v7, 0x3fc90fda, v4
	s_delay_alu instid0(VALU_DEP_1)
	v_add_f32_e32 v4, v11, v7
	s_and_not1_saveexec_b32 s2, s6
	s_cbranch_execnz .LBB21_185
	s_branch .LBB21_186
.LBB21_184:
	s_and_not1_saveexec_b32 s2, s6
.LBB21_185:
	v_mul_f32_e64 v4, 0x3f22f983, |v0|
	s_delay_alu instid0(VALU_DEP_1) | instskip(NEXT) | instid1(VALU_DEP_1)
	v_rndne_f32_e32 v5, v4
	v_fma_f32 v4, 0xbfc90fda, v5, |v0|
	s_delay_alu instid0(VALU_DEP_1) | instskip(NEXT) | instid1(VALU_DEP_1)
	v_fmamk_f32 v4, v5, 0xb3a22168, v4
	v_fmamk_f32 v4, v5, 0xa7c234c4, v4
	v_cvt_i32_f32_e32 v5, v5
.LBB21_186:
	s_or_b32 exec_lo, exec_lo, s2
	v_div_scale_f32 v6, null, v41, v41, 0x40a00000
	v_div_scale_f32 v9, vcc_lo, 0x40a00000, v41, 0x40a00000
	s_mov_b32 s2, 0xb94c1982
	s_delay_alu instid0(VALU_DEP_2)
	v_rcp_f32_e32 v7, v6
	s_mov_b32 s3, 0x37d75334
	v_xor_b32_e32 v1, v1, v0
	v_and_b32_e32 v11, 1, v5
	s_waitcnt_depctr 0xfff
	v_fma_f32 v8, -v6, v7, 1.0
	s_delay_alu instid0(VALU_DEP_1) | instskip(NEXT) | instid1(VALU_DEP_1)
	v_fmac_f32_e32 v7, v8, v7
	v_mul_f32_e32 v8, v9, v7
	s_delay_alu instid0(VALU_DEP_1) | instskip(NEXT) | instid1(VALU_DEP_1)
	v_fma_f32 v10, -v6, v8, v9
	v_fmac_f32_e32 v8, v10, v7
	v_mul_f32_e32 v10, v4, v4
	s_delay_alu instid0(VALU_DEP_2) | instskip(NEXT) | instid1(VALU_DEP_2)
	v_fma_f32 v6, -v6, v8, v9
	v_fmaak_f32 v19, s2, v10, 0x3c0881c4
	v_fmaak_f32 v20, s3, v10, 0xbab64f3b
	s_delay_alu instid0(VALU_DEP_3) | instskip(SKIP_1) | instid1(VALU_DEP_4)
	v_div_fmas_f32 v6, v6, v7, v8
	v_mul_f32_e32 v7, v2, v2
	v_fmaak_f32 v19, v10, v19, 0xbe2aaa9d
	s_delay_alu instid0(VALU_DEP_4) | instskip(NEXT) | instid1(VALU_DEP_4)
	v_fmaak_f32 v20, v10, v20, 0x3d2aabf7
	v_div_fixup_f32 v6, v6, v41, 0x40a00000
	v_and_b32_e32 v8, 1, v3
	v_lshlrev_b32_e32 v3, 30, v3
	v_fmaak_f32 v17, s2, v7, 0x3c0881c4
	s_delay_alu instid0(VALU_DEP_4) | instskip(SKIP_2) | instid1(VALU_DEP_4)
	v_dual_fmaak_f32 v18, s3, v7, 0xbab64f3b :: v_dual_mul_f32 v9, v6, v6
	v_cmp_gt_f32_e64 s2, 0xf800000, v41
	v_cmp_eq_u32_e64 s4, 0, v8
	v_fmaak_f32 v17, v7, v17, 0xbe2aaa9d
	s_delay_alu instid0(VALU_DEP_4) | instskip(SKIP_2) | instid1(VALU_DEP_4)
	v_fmaak_f32 v18, v7, v18, 0x3d2aabf7
	v_fmaak_f32 v13, 0, v9, 0x3a15c4d9
	v_dual_fmaak_f32 v14, 0, v9, 0x3a47c962 :: v_dual_mul_f32 v19, v10, v19
	v_mul_f32_e32 v17, v7, v17
	v_fmaak_f32 v12, 0, v9, 0x3d513fd3
	s_delay_alu instid0(VALU_DEP_4) | instskip(NEXT) | instid1(VALU_DEP_4)
	v_fmaak_f32 v13, v9, v13, 0x3d8cfeeb
	v_dual_fmaak_f32 v14, v9, v14, 0x3d95ca45 :: v_dual_lshlrev_b32 v5, 30, v5
	v_dual_fmaak_f32 v15, 0, v9, 0x42947983 :: v_dual_fmac_f32 v4, v4, v19
	s_delay_alu instid0(VALU_DEP_3) | instskip(NEXT) | instid1(VALU_DEP_3)
	v_fmaak_f32 v13, v9, v13, 0x3f8d754e
	v_fmaak_f32 v14, v9, v14, 0x3f9047f6
	;; [unrolled: 1-line block ×3, first 2 shown]
	s_delay_alu instid0(VALU_DEP_4) | instskip(NEXT) | instid1(VALU_DEP_4)
	v_dual_fmaak_f32 v15, v9, v15, 0x44840e5d :: v_dual_fmac_f32 v2, v2, v17
	v_fmaak_f32 v13, v9, v13, 0x40a25d18
	s_delay_alu instid0(VALU_DEP_4) | instskip(SKIP_1) | instid1(VALU_DEP_4)
	v_fmaak_f32 v14, v9, v14, 0x40a39628
	v_fmaak_f32 v18, v7, v18, 0xbf000004
	;; [unrolled: 1-line block ×6, first 2 shown]
	v_fma_f32 v7, v7, v18, 1.0
	v_fmaak_f32 v15, v9, v15, 0x46156947
	v_fma_f32 v10, v10, v20, 1.0
	v_fmaak_f32 v13, v9, v13, 0x40a6b6ea
	v_fmaak_f32 v14, v9, v14, 0x40a6dd51
	v_cndmask_b32_e64 v2, v7, v2, s4
	v_fmaak_f32 v15, v9, v15, 0x45f9e855
	v_cmp_eq_u32_e64 s4, 0, v11
	v_fma_f32 v13, v9, v13, 1.0
	v_fma_f32 v14, v9, v14, 1.0
	v_and_b32_e32 v3, 0x80000000, v3
	v_fmaak_f32 v15, v9, v15, 0x4530a316
	v_cndmask_b32_e64 v4, -v4, v10, s4
	v_and_b32_e32 v5, 0x80000000, v5
	v_div_scale_f32 v27, vcc_lo, v14, v13, v14
	v_fmaak_f32 v12, v9, v12, 0x4297a5cd
	v_fmaak_f32 v15, v9, v15, 0x43a80bfb
	v_xor3_b32 v1, v1, v3, v2
	v_xor_b32_e32 v4, v5, v4
	s_delay_alu instid0(VALU_DEP_4) | instskip(NEXT) | instid1(VALU_DEP_1)
	v_fmaak_f32 v12, v9, v12, 0x43b763ca
	v_fmaak_f32 v12, v9, v12, 0x4431b6ce
	s_delay_alu instid0(VALU_DEP_1) | instskip(NEXT) | instid1(VALU_DEP_1)
	v_fmaak_f32 v12, v9, v12, 0x44155f56
	v_fmaak_f32 v12, v9, v12, 0x4353b052
	s_delay_alu instid0(VALU_DEP_1) | instskip(SKIP_1) | instid1(VALU_DEP_2)
	v_fmaak_f32 v9, v9, v12, 0x41c9a7fa
	v_div_scale_f32 v12, null, v13, v13, v14
	v_div_scale_f32 v21, null, v15, v15, v9
	s_delay_alu instid0(VALU_DEP_2) | instskip(NEXT) | instid1(VALU_DEP_1)
	v_rcp_f32_e32 v22, v12
	v_rcp_f32_e32 v23, v21
	s_waitcnt_depctr 0xfff
	v_fma_f32 v25, -v12, v22, 1.0
	v_fma_f32 v26, -v21, v23, 1.0
	v_mul_f32_e32 v16, 0x4f800000, v41
	s_delay_alu instid0(VALU_DEP_3) | instskip(SKIP_1) | instid1(VALU_DEP_4)
	v_fmac_f32_e32 v22, v25, v22
	v_div_scale_f32 v25, s3, v9, v15, v9
	v_fmac_f32_e32 v23, v26, v23
	s_delay_alu instid0(VALU_DEP_4) | instskip(NEXT) | instid1(VALU_DEP_2)
	v_cndmask_b32_e64 v16, v41, v16, s2
	v_dual_mul_f32 v17, v27, v22 :: v_dual_mul_f32 v18, v25, v23
	s_delay_alu instid0(VALU_DEP_2) | instskip(NEXT) | instid1(VALU_DEP_1)
	v_sqrt_f32_e32 v24, v16
	v_fma_f32 v20, -v12, v17, v27
	s_delay_alu instid0(VALU_DEP_2) | instskip(NEXT) | instid1(VALU_DEP_2)
	v_fma_f32 v28, -v21, v18, v25
	v_fmac_f32_e32 v17, v20, v22
	s_waitcnt_depctr 0xfff
	v_dual_fmac_f32 v18, v28, v23 :: v_dual_add_nc_u32 v19, -1, v24
	v_fma_f32 v10, -v12, v17, v27
	v_add_nc_u32_e32 v26, 1, v24
	s_delay_alu instid0(VALU_DEP_3) | instskip(NEXT) | instid1(VALU_DEP_4)
	v_fma_f32 v2, -v21, v18, v25
	v_fma_f32 v7, -v19, v24, v16
	s_delay_alu instid0(VALU_DEP_4)
	v_div_fmas_f32 v3, v10, v22, v17
	s_mov_b32 vcc_lo, s3
	v_fma_f32 v8, -v26, v24, v16
	v_div_fmas_f32 v2, v2, v23, v18
	v_cmp_ge_f32_e32 vcc_lo, 0, v7
	v_div_fixup_f32 v3, v3, v13, v14
	s_delay_alu instid0(VALU_DEP_4) | instskip(SKIP_3) | instid1(VALU_DEP_3)
	v_cmp_lt_f32_e64 s3, 0, v8
	v_cndmask_b32_e32 v5, v24, v19, vcc_lo
	v_cmp_class_f32_e64 vcc_lo, v0, 0x1f8
	v_div_fixup_f32 v0, v2, v15, v9
	v_cndmask_b32_e64 v2, v5, v26, s3
	v_cndmask_b32_e32 v4, 0x7fc00000, v4, vcc_lo
	s_delay_alu instid0(VALU_DEP_3) | instskip(SKIP_1) | instid1(VALU_DEP_2)
	v_dual_mul_f32 v0, v6, v0 :: v_dual_cndmask_b32 v1, 0x7fc00000, v1
	v_cmp_class_f32_e64 vcc_lo, v16, 0x260
	v_dual_mul_f32 v5, 0x37800000, v2 :: v_dual_mul_f32 v0, v0, v4
	s_delay_alu instid0(VALU_DEP_1) | instskip(NEXT) | instid1(VALU_DEP_1)
	v_cndmask_b32_e64 v2, v2, v5, s2
	v_dual_fmac_f32 v0, v3, v1 :: v_dual_cndmask_b32 v1, v2, v16
	s_delay_alu instid0(VALU_DEP_1) | instskip(NEXT) | instid1(VALU_DEP_1)
	v_mul_f32_e32 v0, 0x3f4c422a, v0
	v_div_scale_f32 v2, null, v1, v1, v0
	s_delay_alu instid0(VALU_DEP_1) | instskip(SKIP_2) | instid1(VALU_DEP_1)
	v_rcp_f32_e32 v3, v2
	s_waitcnt_depctr 0xfff
	v_fma_f32 v4, -v2, v3, 1.0
	v_fmac_f32_e32 v3, v4, v3
	v_div_scale_f32 v4, vcc_lo, v0, v1, v0
	s_delay_alu instid0(VALU_DEP_1) | instskip(NEXT) | instid1(VALU_DEP_1)
	v_mul_f32_e32 v5, v4, v3
	v_fma_f32 v6, -v2, v5, v4
	s_delay_alu instid0(VALU_DEP_1) | instskip(NEXT) | instid1(VALU_DEP_1)
	v_fmac_f32_e32 v5, v6, v3
	v_fma_f32 v2, -v2, v5, v4
	s_delay_alu instid0(VALU_DEP_1) | instskip(NEXT) | instid1(VALU_DEP_1)
	v_div_fmas_f32 v2, v2, v3, v5
	v_div_fixup_f32 v0, v2, v1, v0
.LBB21_187:
	s_or_b32 exec_lo, exec_lo, s5
	v_add_nc_u32_e32 v44, 0x80, v44
	global_store_b32 v42, v0, s[36:37]
	s_or_b32 exec_lo, exec_lo, s61
	s_delay_alu instid0(SALU_CYCLE_1)
	s_mov_b32 s61, exec_lo
	v_cmpx_gt_i32_e64 s58, v44
	s_cbranch_execnz .LBB21_158
.LBB21_188:
	s_or_b32 exec_lo, exec_lo, s61
	s_delay_alu instid0(SALU_CYCLE_1)
	s_mov_b32 s52, exec_lo
	v_cmpx_gt_i32_e64 s58, v44
	s_cbranch_execnz .LBB21_215
.LBB21_189:
	s_or_b32 exec_lo, exec_lo, s52
                                        ; implicit-def: $vgpr1
                                        ; implicit-def: $vgpr44
	s_and_not1_saveexec_b32 s2, s56
	s_cbranch_execnz .LBB21_8
.LBB21_190:
	s_endpgm
.LBB21_191:
	v_dual_mov_b32 v1, v44 :: v_dual_mov_b32 v0, 0
.LBB21_192:
	s_and_b32 s8, s8, 3
	s_delay_alu instid0(SALU_CYCLE_1)
	s_cmp_eq_u32 s8, 0
	s_cbranch_scc1 .LBB21_195
; %bb.193:
	s_lshl_b32 s2, s7, 3
	s_mul_i32 s4, s7, 12
	s_add_u32 s2, s2, s0
	s_addc_u32 s3, s1, 0
	s_add_u32 s2, s2, 0xc4
	s_addc_u32 s3, s3, 0
	;; [unrolled: 2-line block ×3, first 2 shown]
	.p2align	6
.LBB21_194:                             ; =>This Inner Loop Header: Depth=1
	s_clause 0x1
	s_load_b64 s[10:11], s[4:5], 0x4
	s_load_b32 s7, s[4:5], 0xc
	s_load_b64 s[12:13], s[2:3], 0x0
	s_add_u32 s4, s4, 12
	s_addc_u32 s5, s5, 0
	s_add_u32 s2, s2, 8
	s_addc_u32 s3, s3, 0
	s_add_i32 s8, s8, -1
	s_delay_alu instid0(SALU_CYCLE_1) | instskip(SKIP_2) | instid1(VALU_DEP_1)
	s_cmp_lg_u32 s8, 0
	s_waitcnt lgkmcnt(0)
	v_mul_hi_u32 v2, s11, v1
	v_add_nc_u32_e32 v2, v1, v2
	s_delay_alu instid0(VALU_DEP_1) | instskip(NEXT) | instid1(VALU_DEP_1)
	v_lshrrev_b32_e32 v5, s7, v2
	v_mul_lo_u32 v2, v5, s10
	s_delay_alu instid0(VALU_DEP_1) | instskip(NEXT) | instid1(VALU_DEP_1)
	v_sub_nc_u32_e32 v1, v1, v2
	v_mad_u64_u32 v[2:3], null, v1, s12, v[42:43]
	v_mad_u64_u32 v[3:4], null, v1, s13, v[0:1]
	s_delay_alu instid0(VALU_DEP_2) | instskip(NEXT) | instid1(VALU_DEP_2)
	v_dual_mov_b32 v1, v5 :: v_dual_mov_b32 v42, v2
	v_mov_b32_e32 v0, v3
	s_cbranch_scc1 .LBB21_194
.LBB21_195:
	s_and_not1_b32 vcc_lo, exec_lo, s6
	s_cbranch_vccnz .LBB21_198
; %bb.196:
	s_waitcnt lgkmcnt(0)
	v_mul_hi_u32 v0, s45, v44
	s_and_not1_b32 vcc_lo, exec_lo, s57
	s_delay_alu instid0(VALU_DEP_1) | instskip(NEXT) | instid1(VALU_DEP_1)
	v_add_nc_u32_e32 v0, v44, v0
	v_lshrrev_b32_e32 v1, s46, v0
	s_delay_alu instid0(VALU_DEP_1) | instskip(NEXT) | instid1(VALU_DEP_1)
	v_mul_lo_u32 v0, v1, s44
	v_sub_nc_u32_e32 v0, v44, v0
	s_delay_alu instid0(VALU_DEP_1)
	v_mul_lo_u32 v42, v0, s40
	v_mul_lo_u32 v0, v0, s41
	s_cbranch_vccnz .LBB21_198
; %bb.197:
	v_mul_hi_u32 v2, s48, v1
	s_delay_alu instid0(VALU_DEP_1) | instskip(NEXT) | instid1(VALU_DEP_1)
	v_add_nc_u32_e32 v2, v1, v2
	v_lshrrev_b32_e32 v2, s49, v2
	s_delay_alu instid0(VALU_DEP_1) | instskip(NEXT) | instid1(VALU_DEP_1)
	v_mul_lo_u32 v2, v2, s47
	v_sub_nc_u32_e32 v4, v1, v2
	s_delay_alu instid0(VALU_DEP_1) | instskip(NEXT) | instid1(VALU_DEP_1)
	v_mad_u64_u32 v[1:2], null, v4, s42, v[42:43]
	v_mad_u64_u32 v[2:3], null, v4, s43, v[0:1]
	v_mov_b32_e32 v42, v1
	s_delay_alu instid0(VALU_DEP_2)
	v_mov_b32_e32 v0, v2
.LBB21_198:
	s_waitcnt lgkmcnt(0)
	global_load_b32 v41, v0, s[38:39]
                                        ; implicit-def: $vgpr0
	s_mov_b32 s2, exec_lo
	s_waitcnt vmcnt(0)
	v_cmpx_ge_f32_e32 0x40a00000, v41
	s_xor_b32 s62, exec_lo, s2
	s_cbranch_execz .LBB21_204
; %bb.199:
	v_mov_b32_e32 v0, 0xff800000
	s_mov_b32 s63, exec_lo
	v_cmpx_neq_f32_e32 0, v41
	s_cbranch_execz .LBB21_203
; %bb.200:
	v_mov_b32_e32 v0, 0x7fc00000
	s_mov_b32 s64, exec_lo
	v_cmpx_nge_f32_e32 0, v41
	s_cbranch_execz .LBB21_202
; %bb.201:
	v_mul_f32_e32 v0, v41, v41
	s_getpc_b64 s[2:3]
	s_add_u32 s2, s2, _Z17bessel_j1_forwardIfET_S0_@rel32@lo+4
	s_addc_u32 s3, s3, _Z17bessel_j1_forwardIfET_S0_@rel32@hi+12
	s_mov_b64 s[52:53], s[0:1]
	v_fmaak_f32 v1, 0, v0, 0x4414934d
	v_fmaak_f32 v2, 0, v0, 0x4e9695f3
	s_delay_alu instid0(VALU_DEP_2) | instskip(NEXT) | instid1(VALU_DEP_2)
	v_fmaak_f32 v1, v0, v1, 0x48660b06
	v_fmaak_f32 v2, v0, v2, 0xd316b96b
	s_delay_alu instid0(VALU_DEP_2) | instskip(NEXT) | instid1(VALU_DEP_2)
	;; [unrolled: 3-line block ×5, first 2 shown]
	v_fmaak_f32 v1, v0, v1, 0x580d1937
	v_fmaak_f32 v2, v0, v2, 0xdd2cf20b
	s_delay_alu instid0(VALU_DEP_2) | instskip(NEXT) | instid1(VALU_DEP_1)
	v_fmaak_f32 v1, v0, v1, 0x5b741f1e
	v_fmaak_f32 v0, v0, v1, 0x5e5c878d
	s_delay_alu instid0(VALU_DEP_1) | instskip(SKIP_1) | instid1(VALU_DEP_2)
	v_div_scale_f32 v1, null, v0, v0, v2
	v_div_scale_f32 v5, vcc_lo, v2, v0, v2
	v_rcp_f32_e32 v3, v1
	s_waitcnt_depctr 0xfff
	v_fma_f32 v4, -v1, v3, 1.0
	s_delay_alu instid0(VALU_DEP_1) | instskip(NEXT) | instid1(VALU_DEP_1)
	v_fmac_f32_e32 v3, v4, v3
	v_mul_f32_e32 v4, v5, v3
	s_delay_alu instid0(VALU_DEP_1) | instskip(NEXT) | instid1(VALU_DEP_1)
	v_fma_f32 v6, -v1, v4, v5
	v_fmac_f32_e32 v4, v6, v3
	s_delay_alu instid0(VALU_DEP_1) | instskip(NEXT) | instid1(VALU_DEP_1)
	v_fma_f32 v1, -v1, v4, v5
	v_div_fmas_f32 v1, v1, v3, v4
	s_delay_alu instid0(VALU_DEP_1)
	v_div_fixup_f32 v43, v1, v0, v2
	v_mov_b32_e32 v0, v41
	s_swappc_b64 s[30:31], s[2:3]
	v_div_scale_f32 v1, null, v41, v41, -1.0
	v_cmp_gt_f32_e32 vcc_lo, 0x800000, v41
	v_div_scale_f32 v5, s2, -1.0, v41, -1.0
	s_delay_alu instid0(VALU_DEP_3) | instskip(SKIP_4) | instid1(VALU_DEP_1)
	v_rcp_f32_e32 v3, v1
	s_mov_b64 s[0:1], s[52:53]
	v_cndmask_b32_e64 v2, 1.0, 0x4f800000, vcc_lo
	s_waitcnt_depctr 0xfff
	v_fma_f32 v4, -v1, v3, 1.0
	v_dual_mul_f32 v2, v41, v2 :: v_dual_fmac_f32 v3, v4, v3
	s_delay_alu instid0(VALU_DEP_1) | instskip(SKIP_3) | instid1(VALU_DEP_2)
	v_log_f32_e32 v2, v2
	s_waitcnt_depctr 0xfff
	v_mul_f32_e32 v4, 0x3f317217, v2
	v_cmp_gt_f32_e64 s3, 0x7f800000, |v2|
	v_fma_f32 v7, 0x3f317217, v2, -v4
	s_delay_alu instid0(VALU_DEP_1) | instskip(NEXT) | instid1(VALU_DEP_1)
	v_dual_mul_f32 v6, v5, v3 :: v_dual_fmamk_f32 v7, v2, 0x3377d1cf, v7
	v_fma_f32 v8, -v1, v6, v5
	s_delay_alu instid0(VALU_DEP_2) | instskip(NEXT) | instid1(VALU_DEP_2)
	v_add_f32_e32 v4, v4, v7
	v_fmac_f32_e32 v6, v8, v3
	s_delay_alu instid0(VALU_DEP_2) | instskip(NEXT) | instid1(VALU_DEP_2)
	v_cndmask_b32_e64 v2, v2, v4, s3
	v_fma_f32 v1, -v1, v6, v5
	v_cndmask_b32_e64 v4, 0, 0x41b17218, vcc_lo
	s_mov_b32 vcc_lo, s2
	s_delay_alu instid0(VALU_DEP_2) | instskip(NEXT) | instid1(VALU_DEP_2)
	v_div_fmas_f32 v1, v1, v3, v6
	v_sub_f32_e32 v2, v2, v4
	s_delay_alu instid0(VALU_DEP_2) | instskip(NEXT) | instid1(VALU_DEP_1)
	v_div_fixup_f32 v1, v1, v41, -1.0
	v_fmac_f32_e32 v1, v2, v0
	s_delay_alu instid0(VALU_DEP_1) | instskip(NEXT) | instid1(VALU_DEP_1)
	v_mul_f32_e32 v0, 0x3f22f983, v1
	v_fmac_f32_e32 v0, v41, v43
.LBB21_202:
	s_or_b32 exec_lo, exec_lo, s64
.LBB21_203:
	s_delay_alu instid0(SALU_CYCLE_1)
	s_or_b32 exec_lo, exec_lo, s63
                                        ; implicit-def: $vgpr41
.LBB21_204:
	s_and_not1_saveexec_b32 s5, s62
	s_cbranch_execz .LBB21_214
; %bb.205:
	v_add_f32_e32 v0, 0xc016cbe4, v41
                                        ; implicit-def: $vgpr3
                                        ; implicit-def: $vgpr2
	s_delay_alu instid0(VALU_DEP_1) | instskip(SKIP_1) | instid1(VALU_DEP_1)
	v_and_b32_e32 v1, 0x7fffffff, v0
	v_cmp_ngt_f32_e64 s6, 0x48000000, |v0|
	s_and_saveexec_b32 s2, s6
	s_delay_alu instid0(SALU_CYCLE_1)
	s_xor_b32 s7, exec_lo, s2
	s_cbranch_execz .LBB21_207
; %bb.206:
	s_mov_b32 s2, 0x7fffff
	v_mov_b32_e32 v4, 0
	v_and_or_b32 v12, v1, s2, 0x800000
	v_lshrrev_b32_e32 v9, 23, v1
	s_delay_alu instid0(VALU_DEP_2) | instskip(NEXT) | instid1(VALU_DEP_2)
	v_mad_u64_u32 v[2:3], null, 0xfe5163ab, v12, 0
	v_add_nc_u32_e32 v10, 0xffffff88, v9
	s_delay_alu instid0(VALU_DEP_1) | instskip(NEXT) | instid1(VALU_DEP_3)
	v_cmp_lt_u32_e32 vcc_lo, 63, v10
	v_mad_u64_u32 v[5:6], null, 0x3c439041, v12, v[3:4]
	v_cndmask_b32_e64 v11, 0, 0xffffffc0, vcc_lo
	s_delay_alu instid0(VALU_DEP_2) | instskip(NEXT) | instid1(VALU_DEP_2)
	v_mov_b32_e32 v3, v6
	v_add_nc_u32_e32 v11, v11, v10
	s_delay_alu instid0(VALU_DEP_2) | instskip(NEXT) | instid1(VALU_DEP_2)
	v_mad_u64_u32 v[6:7], null, 0xdb629599, v12, v[3:4]
	v_cmp_lt_u32_e64 s2, 31, v11
	s_delay_alu instid0(VALU_DEP_1) | instskip(NEXT) | instid1(VALU_DEP_3)
	v_cndmask_b32_e64 v13, 0, 0xffffffe0, s2
	v_dual_mov_b32 v3, v7 :: v_dual_cndmask_b32 v2, v6, v2
	s_delay_alu instid0(VALU_DEP_2) | instskip(NEXT) | instid1(VALU_DEP_2)
	v_add_nc_u32_e32 v13, v13, v11
	v_mad_u64_u32 v[7:8], null, 0xf534ddc0, v12, v[3:4]
	s_delay_alu instid0(VALU_DEP_2) | instskip(NEXT) | instid1(VALU_DEP_2)
	v_cmp_lt_u32_e64 s3, 31, v13
	v_mov_b32_e32 v3, v8
	s_delay_alu instid0(VALU_DEP_3) | instskip(NEXT) | instid1(VALU_DEP_2)
	v_cndmask_b32_e32 v5, v7, v5, vcc_lo
	v_mad_u64_u32 v[8:9], null, 0xfc2757d1, v12, v[3:4]
	s_delay_alu instid0(VALU_DEP_2) | instskip(NEXT) | instid1(VALU_DEP_2)
	v_cndmask_b32_e64 v2, v5, v2, s2
	v_mov_b32_e32 v3, v9
	s_delay_alu instid0(VALU_DEP_1) | instskip(NEXT) | instid1(VALU_DEP_1)
	v_mad_u64_u32 v[9:10], null, 0x4e441529, v12, v[3:4]
	v_mov_b32_e32 v3, v10
	s_delay_alu instid0(VALU_DEP_1) | instskip(SKIP_1) | instid1(VALU_DEP_1)
	v_mad_u64_u32 v[10:11], null, 0xa2f9836e, v12, v[3:4]
	v_cndmask_b32_e64 v3, 0, 0xffffffe0, s3
	v_dual_cndmask_b32 v4, v9, v7 :: v_dual_add_nc_u32 v3, v3, v13
	s_delay_alu instid0(VALU_DEP_3) | instskip(NEXT) | instid1(VALU_DEP_4)
	v_cndmask_b32_e32 v10, v10, v8, vcc_lo
	v_dual_cndmask_b32 v8, v8, v6 :: v_dual_cndmask_b32 v9, v11, v9
	s_delay_alu instid0(VALU_DEP_3) | instskip(NEXT) | instid1(VALU_DEP_3)
	v_cmp_eq_u32_e64 s4, 0, v3
	v_cndmask_b32_e64 v7, v10, v4, s2
	s_delay_alu instid0(VALU_DEP_3) | instskip(NEXT) | instid1(VALU_DEP_4)
	v_cndmask_b32_e64 v4, v4, v8, s2
	v_cndmask_b32_e64 v9, v9, v10, s2
	v_sub_nc_u32_e32 v10, 32, v3
	v_cndmask_b32_e64 v8, v8, v5, s2
	s_delay_alu instid0(VALU_DEP_3) | instskip(SKIP_1) | instid1(VALU_DEP_3)
	v_cndmask_b32_e64 v9, v9, v7, s3
	v_cndmask_b32_e64 v7, v7, v4, s3
	;; [unrolled: 1-line block ×4, first 2 shown]
	s_delay_alu instid0(VALU_DEP_3) | instskip(NEXT) | instid1(VALU_DEP_3)
	v_alignbit_b32 v11, v9, v7, v10
	v_alignbit_b32 v12, v7, v4, v10
	s_delay_alu instid0(VALU_DEP_3) | instskip(NEXT) | instid1(VALU_DEP_3)
	v_alignbit_b32 v10, v4, v2, v10
	v_cndmask_b32_e64 v3, v11, v9, s4
	s_delay_alu instid0(VALU_DEP_3) | instskip(NEXT) | instid1(VALU_DEP_3)
	v_cndmask_b32_e64 v6, v12, v7, s4
	v_cndmask_b32_e64 v4, v10, v4, s4
	s_delay_alu instid0(VALU_DEP_3) | instskip(NEXT) | instid1(VALU_DEP_3)
	v_bfe_u32 v7, v3, 29, 1
	v_alignbit_b32 v5, v3, v6, 30
	s_delay_alu instid0(VALU_DEP_3) | instskip(SKIP_1) | instid1(VALU_DEP_4)
	v_alignbit_b32 v6, v6, v4, 30
	v_alignbit_b32 v2, v4, v2, 30
	v_sub_nc_u32_e32 v9, 0, v7
	s_delay_alu instid0(VALU_DEP_1) | instskip(SKIP_3) | instid1(VALU_DEP_4)
	v_xor_b32_e32 v8, v5, v9
	v_cmp_ne_u32_e32 vcc_lo, v5, v9
	v_xor_b32_e32 v4, v6, v9
	v_xor_b32_e32 v2, v2, v9
	v_clz_i32_u32_e32 v11, v8
	s_delay_alu instid0(VALU_DEP_1) | instskip(NEXT) | instid1(VALU_DEP_1)
	v_add_nc_u32_e32 v10, 1, v11
	v_cndmask_b32_e32 v5, 33, v10, vcc_lo
	s_delay_alu instid0(VALU_DEP_1) | instskip(NEXT) | instid1(VALU_DEP_1)
	v_sub_nc_u32_e32 v6, 32, v5
	v_alignbit_b32 v8, v8, v4, v6
	v_alignbit_b32 v2, v4, v2, v6
	v_lshrrev_b32_e32 v4, 29, v3
	v_lshrrev_b32_e32 v3, 30, v3
	s_delay_alu instid0(VALU_DEP_3) | instskip(NEXT) | instid1(VALU_DEP_3)
	v_alignbit_b32 v6, v8, v2, 9
	v_lshlrev_b32_e32 v4, 31, v4
	v_alignbit_b32 v8, v5, v8, 9
	s_delay_alu instid0(VALU_DEP_4) | instskip(NEXT) | instid1(VALU_DEP_4)
	v_add_nc_u32_e32 v3, v7, v3
	v_clz_i32_u32_e32 v9, v6
	s_delay_alu instid0(VALU_DEP_3) | instskip(SKIP_1) | instid1(VALU_DEP_3)
	v_or_b32_e32 v8, v8, v4
	v_or_b32_e32 v4, 0x33800000, v4
	v_min_u32_e32 v9, 32, v9
	s_delay_alu instid0(VALU_DEP_3) | instskip(NEXT) | instid1(VALU_DEP_2)
	v_xor_b32_e32 v8, 1.0, v8
	v_sub_nc_u32_e32 v10, 31, v9
	v_add_lshl_u32 v5, v9, v5, 23
	s_delay_alu instid0(VALU_DEP_3) | instskip(NEXT) | instid1(VALU_DEP_3)
	v_mul_f32_e32 v9, 0x3fc90fda, v8
	v_alignbit_b32 v2, v6, v2, v10
	s_delay_alu instid0(VALU_DEP_3) | instskip(NEXT) | instid1(VALU_DEP_3)
	v_sub_nc_u32_e32 v4, v4, v5
	v_fma_f32 v5, 0x3fc90fda, v8, -v9
	s_delay_alu instid0(VALU_DEP_3) | instskip(NEXT) | instid1(VALU_DEP_2)
	v_lshrrev_b32_e32 v2, 9, v2
	v_fmamk_f32 v5, v8, 0x33a22168, v5
	s_delay_alu instid0(VALU_DEP_2) | instskip(NEXT) | instid1(VALU_DEP_1)
	v_or_b32_e32 v2, v4, v2
	v_fmac_f32_e32 v5, 0x3fc90fda, v2
	s_delay_alu instid0(VALU_DEP_1)
	v_add_f32_e32 v2, v9, v5
	s_and_not1_saveexec_b32 s2, s7
	s_branch .LBB21_208
.LBB21_207:
	s_and_not1_saveexec_b32 s2, s7
.LBB21_208:
	v_mul_f32_e64 v2, 0x3f22f983, |v0|
	s_delay_alu instid0(VALU_DEP_1) | instskip(NEXT) | instid1(VALU_DEP_1)
	v_rndne_f32_e32 v3, v2
	v_fma_f32 v2, 0xbfc90fda, v3, |v0|
	s_delay_alu instid0(VALU_DEP_1) | instskip(NEXT) | instid1(VALU_DEP_1)
	v_fmamk_f32 v2, v3, 0xb3a22168, v2
	v_fmamk_f32 v2, v3, 0xa7c234c4, v2
	v_cvt_i32_f32_e32 v3, v3
; %bb.209:
	s_or_b32 exec_lo, exec_lo, s2
                                        ; implicit-def: $vgpr5
                                        ; implicit-def: $vgpr4
	s_and_saveexec_b32 s2, s6
	s_delay_alu instid0(SALU_CYCLE_1)
	s_xor_b32 s6, exec_lo, s2
	s_cbranch_execz .LBB21_211
; %bb.210:
	s_mov_b32 s2, 0x7fffff
	v_mov_b32_e32 v6, 0
	v_and_or_b32 v14, v1, s2, 0x800000
	v_lshrrev_b32_e32 v11, 23, v1
	s_delay_alu instid0(VALU_DEP_2) | instskip(NEXT) | instid1(VALU_DEP_2)
	v_mad_u64_u32 v[4:5], null, 0xfe5163ab, v14, 0
	v_add_nc_u32_e32 v12, 0xffffff88, v11
	s_delay_alu instid0(VALU_DEP_1) | instskip(NEXT) | instid1(VALU_DEP_3)
	v_cmp_lt_u32_e32 vcc_lo, 63, v12
	v_mad_u64_u32 v[7:8], null, 0x3c439041, v14, v[5:6]
	v_cndmask_b32_e64 v13, 0, 0xffffffc0, vcc_lo
	s_delay_alu instid0(VALU_DEP_2) | instskip(NEXT) | instid1(VALU_DEP_2)
	v_mov_b32_e32 v5, v8
	v_add_nc_u32_e32 v13, v13, v12
	s_delay_alu instid0(VALU_DEP_2) | instskip(NEXT) | instid1(VALU_DEP_2)
	v_mad_u64_u32 v[8:9], null, 0xdb629599, v14, v[5:6]
	v_cmp_lt_u32_e64 s2, 31, v13
	s_delay_alu instid0(VALU_DEP_1) | instskip(NEXT) | instid1(VALU_DEP_3)
	v_cndmask_b32_e64 v15, 0, 0xffffffe0, s2
	v_dual_mov_b32 v5, v9 :: v_dual_cndmask_b32 v4, v8, v4
	s_delay_alu instid0(VALU_DEP_2) | instskip(NEXT) | instid1(VALU_DEP_2)
	v_add_nc_u32_e32 v15, v15, v13
	v_mad_u64_u32 v[9:10], null, 0xf534ddc0, v14, v[5:6]
	s_delay_alu instid0(VALU_DEP_2) | instskip(NEXT) | instid1(VALU_DEP_2)
	v_cmp_lt_u32_e64 s3, 31, v15
	v_mov_b32_e32 v5, v10
	s_delay_alu instid0(VALU_DEP_3) | instskip(NEXT) | instid1(VALU_DEP_2)
	v_cndmask_b32_e32 v7, v9, v7, vcc_lo
	v_mad_u64_u32 v[10:11], null, 0xfc2757d1, v14, v[5:6]
	s_delay_alu instid0(VALU_DEP_2) | instskip(NEXT) | instid1(VALU_DEP_2)
	v_cndmask_b32_e64 v4, v7, v4, s2
	v_mov_b32_e32 v5, v11
	s_delay_alu instid0(VALU_DEP_1) | instskip(NEXT) | instid1(VALU_DEP_1)
	v_mad_u64_u32 v[11:12], null, 0x4e441529, v14, v[5:6]
	v_mov_b32_e32 v5, v12
	s_delay_alu instid0(VALU_DEP_1) | instskip(SKIP_1) | instid1(VALU_DEP_1)
	v_mad_u64_u32 v[12:13], null, 0xa2f9836e, v14, v[5:6]
	v_cndmask_b32_e64 v5, 0, 0xffffffe0, s3
	v_dual_cndmask_b32 v6, v11, v9 :: v_dual_add_nc_u32 v5, v5, v15
	s_delay_alu instid0(VALU_DEP_3) | instskip(NEXT) | instid1(VALU_DEP_4)
	v_cndmask_b32_e32 v12, v12, v10, vcc_lo
	v_dual_cndmask_b32 v10, v10, v8 :: v_dual_cndmask_b32 v11, v13, v11
	s_delay_alu instid0(VALU_DEP_3) | instskip(NEXT) | instid1(VALU_DEP_3)
	v_cmp_eq_u32_e64 s4, 0, v5
	v_cndmask_b32_e64 v9, v12, v6, s2
	s_delay_alu instid0(VALU_DEP_3) | instskip(NEXT) | instid1(VALU_DEP_4)
	v_cndmask_b32_e64 v6, v6, v10, s2
	v_cndmask_b32_e64 v11, v11, v12, s2
	v_sub_nc_u32_e32 v12, 32, v5
	v_cndmask_b32_e64 v10, v10, v7, s2
	s_delay_alu instid0(VALU_DEP_3) | instskip(SKIP_1) | instid1(VALU_DEP_3)
	v_cndmask_b32_e64 v11, v11, v9, s3
	v_cndmask_b32_e64 v9, v9, v6, s3
	;; [unrolled: 1-line block ×4, first 2 shown]
	s_delay_alu instid0(VALU_DEP_3) | instskip(NEXT) | instid1(VALU_DEP_3)
	v_alignbit_b32 v13, v11, v9, v12
	v_alignbit_b32 v14, v9, v6, v12
	s_delay_alu instid0(VALU_DEP_3) | instskip(NEXT) | instid1(VALU_DEP_3)
	v_alignbit_b32 v12, v6, v4, v12
	v_cndmask_b32_e64 v5, v13, v11, s4
	s_delay_alu instid0(VALU_DEP_3) | instskip(NEXT) | instid1(VALU_DEP_3)
	v_cndmask_b32_e64 v8, v14, v9, s4
	v_cndmask_b32_e64 v6, v12, v6, s4
	s_delay_alu instid0(VALU_DEP_3) | instskip(NEXT) | instid1(VALU_DEP_3)
	v_bfe_u32 v9, v5, 29, 1
	v_alignbit_b32 v7, v5, v8, 30
	s_delay_alu instid0(VALU_DEP_3) | instskip(SKIP_1) | instid1(VALU_DEP_4)
	v_alignbit_b32 v8, v8, v6, 30
	v_alignbit_b32 v4, v6, v4, 30
	v_sub_nc_u32_e32 v11, 0, v9
	s_delay_alu instid0(VALU_DEP_1) | instskip(SKIP_3) | instid1(VALU_DEP_4)
	v_xor_b32_e32 v10, v7, v11
	v_cmp_ne_u32_e32 vcc_lo, v7, v11
	v_xor_b32_e32 v6, v8, v11
	v_xor_b32_e32 v4, v4, v11
	v_clz_i32_u32_e32 v13, v10
	s_delay_alu instid0(VALU_DEP_1) | instskip(NEXT) | instid1(VALU_DEP_1)
	v_add_nc_u32_e32 v12, 1, v13
	v_cndmask_b32_e32 v7, 33, v12, vcc_lo
	s_delay_alu instid0(VALU_DEP_1) | instskip(NEXT) | instid1(VALU_DEP_1)
	v_sub_nc_u32_e32 v8, 32, v7
	v_alignbit_b32 v10, v10, v6, v8
	v_alignbit_b32 v4, v6, v4, v8
	v_lshrrev_b32_e32 v6, 29, v5
	v_lshrrev_b32_e32 v5, 30, v5
	s_delay_alu instid0(VALU_DEP_3) | instskip(NEXT) | instid1(VALU_DEP_3)
	v_alignbit_b32 v8, v10, v4, 9
	v_lshlrev_b32_e32 v6, 31, v6
	v_alignbit_b32 v10, v7, v10, 9
	s_delay_alu instid0(VALU_DEP_4) | instskip(NEXT) | instid1(VALU_DEP_4)
	v_add_nc_u32_e32 v5, v9, v5
	v_clz_i32_u32_e32 v11, v8
	s_delay_alu instid0(VALU_DEP_3) | instskip(SKIP_1) | instid1(VALU_DEP_3)
	v_or_b32_e32 v10, v10, v6
	v_or_b32_e32 v6, 0x33800000, v6
	v_min_u32_e32 v11, 32, v11
	s_delay_alu instid0(VALU_DEP_3) | instskip(NEXT) | instid1(VALU_DEP_2)
	v_xor_b32_e32 v10, 1.0, v10
	v_sub_nc_u32_e32 v12, 31, v11
	v_add_lshl_u32 v7, v11, v7, 23
	s_delay_alu instid0(VALU_DEP_3) | instskip(NEXT) | instid1(VALU_DEP_3)
	v_mul_f32_e32 v11, 0x3fc90fda, v10
	v_alignbit_b32 v4, v8, v4, v12
	s_delay_alu instid0(VALU_DEP_3) | instskip(NEXT) | instid1(VALU_DEP_3)
	v_sub_nc_u32_e32 v6, v6, v7
	v_fma_f32 v7, 0x3fc90fda, v10, -v11
	s_delay_alu instid0(VALU_DEP_3) | instskip(NEXT) | instid1(VALU_DEP_2)
	v_lshrrev_b32_e32 v4, 9, v4
	v_fmamk_f32 v7, v10, 0x33a22168, v7
	s_delay_alu instid0(VALU_DEP_2) | instskip(NEXT) | instid1(VALU_DEP_1)
	v_or_b32_e32 v4, v6, v4
	v_fmac_f32_e32 v7, 0x3fc90fda, v4
	s_delay_alu instid0(VALU_DEP_1)
	v_add_f32_e32 v4, v11, v7
	s_and_not1_saveexec_b32 s2, s6
	s_cbranch_execnz .LBB21_212
	s_branch .LBB21_213
.LBB21_211:
	s_and_not1_saveexec_b32 s2, s6
.LBB21_212:
	v_mul_f32_e64 v4, 0x3f22f983, |v0|
	s_delay_alu instid0(VALU_DEP_1) | instskip(NEXT) | instid1(VALU_DEP_1)
	v_rndne_f32_e32 v5, v4
	v_fma_f32 v4, 0xbfc90fda, v5, |v0|
	s_delay_alu instid0(VALU_DEP_1) | instskip(NEXT) | instid1(VALU_DEP_1)
	v_fmamk_f32 v4, v5, 0xb3a22168, v4
	v_fmamk_f32 v4, v5, 0xa7c234c4, v4
	v_cvt_i32_f32_e32 v5, v5
.LBB21_213:
	s_or_b32 exec_lo, exec_lo, s2
	v_div_scale_f32 v6, null, v41, v41, 0x40a00000
	v_div_scale_f32 v9, vcc_lo, 0x40a00000, v41, 0x40a00000
	s_mov_b32 s2, 0xb94c1982
	s_delay_alu instid0(VALU_DEP_2)
	v_rcp_f32_e32 v7, v6
	s_mov_b32 s3, 0x37d75334
	v_xor_b32_e32 v1, v1, v0
	v_and_b32_e32 v11, 1, v5
	s_waitcnt_depctr 0xfff
	v_fma_f32 v8, -v6, v7, 1.0
	s_delay_alu instid0(VALU_DEP_1) | instskip(NEXT) | instid1(VALU_DEP_1)
	v_fmac_f32_e32 v7, v8, v7
	v_mul_f32_e32 v8, v9, v7
	s_delay_alu instid0(VALU_DEP_1) | instskip(NEXT) | instid1(VALU_DEP_1)
	v_fma_f32 v10, -v6, v8, v9
	v_fmac_f32_e32 v8, v10, v7
	v_mul_f32_e32 v10, v4, v4
	s_delay_alu instid0(VALU_DEP_2) | instskip(NEXT) | instid1(VALU_DEP_2)
	v_fma_f32 v6, -v6, v8, v9
	v_fmaak_f32 v19, s2, v10, 0x3c0881c4
	v_fmaak_f32 v20, s3, v10, 0xbab64f3b
	s_delay_alu instid0(VALU_DEP_3) | instskip(SKIP_1) | instid1(VALU_DEP_4)
	v_div_fmas_f32 v6, v6, v7, v8
	v_mul_f32_e32 v7, v2, v2
	v_fmaak_f32 v19, v10, v19, 0xbe2aaa9d
	s_delay_alu instid0(VALU_DEP_4) | instskip(NEXT) | instid1(VALU_DEP_4)
	v_fmaak_f32 v20, v10, v20, 0x3d2aabf7
	v_div_fixup_f32 v6, v6, v41, 0x40a00000
	v_and_b32_e32 v8, 1, v3
	v_lshlrev_b32_e32 v3, 30, v3
	v_fmaak_f32 v17, s2, v7, 0x3c0881c4
	s_delay_alu instid0(VALU_DEP_4) | instskip(SKIP_2) | instid1(VALU_DEP_4)
	v_dual_fmaak_f32 v18, s3, v7, 0xbab64f3b :: v_dual_mul_f32 v9, v6, v6
	v_cmp_gt_f32_e64 s2, 0xf800000, v41
	v_cmp_eq_u32_e64 s4, 0, v8
	v_fmaak_f32 v17, v7, v17, 0xbe2aaa9d
	s_delay_alu instid0(VALU_DEP_4) | instskip(SKIP_2) | instid1(VALU_DEP_4)
	v_fmaak_f32 v18, v7, v18, 0x3d2aabf7
	v_fmaak_f32 v13, 0, v9, 0x3a15c4d9
	v_dual_fmaak_f32 v14, 0, v9, 0x3a47c962 :: v_dual_mul_f32 v19, v10, v19
	v_mul_f32_e32 v17, v7, v17
	v_fmaak_f32 v12, 0, v9, 0x3d513fd3
	s_delay_alu instid0(VALU_DEP_4) | instskip(NEXT) | instid1(VALU_DEP_4)
	v_fmaak_f32 v13, v9, v13, 0x3d8cfeeb
	v_dual_fmaak_f32 v14, v9, v14, 0x3d95ca45 :: v_dual_lshlrev_b32 v5, 30, v5
	v_dual_fmaak_f32 v15, 0, v9, 0x42947983 :: v_dual_fmac_f32 v4, v4, v19
	s_delay_alu instid0(VALU_DEP_3) | instskip(NEXT) | instid1(VALU_DEP_3)
	v_fmaak_f32 v13, v9, v13, 0x3f8d754e
	v_fmaak_f32 v14, v9, v14, 0x3f9047f6
	;; [unrolled: 1-line block ×3, first 2 shown]
	s_delay_alu instid0(VALU_DEP_4) | instskip(NEXT) | instid1(VALU_DEP_4)
	v_dual_fmaak_f32 v15, v9, v15, 0x44840e5d :: v_dual_fmac_f32 v2, v2, v17
	v_fmaak_f32 v13, v9, v13, 0x40a25d18
	s_delay_alu instid0(VALU_DEP_4) | instskip(SKIP_1) | instid1(VALU_DEP_4)
	v_fmaak_f32 v14, v9, v14, 0x40a39628
	v_fmaak_f32 v18, v7, v18, 0xbf000004
	;; [unrolled: 1-line block ×6, first 2 shown]
	v_fma_f32 v7, v7, v18, 1.0
	v_fmaak_f32 v15, v9, v15, 0x46156947
	v_fma_f32 v10, v10, v20, 1.0
	v_fmaak_f32 v13, v9, v13, 0x40a6b6ea
	v_fmaak_f32 v14, v9, v14, 0x40a6dd51
	v_cndmask_b32_e64 v2, v7, v2, s4
	v_fmaak_f32 v15, v9, v15, 0x45f9e855
	v_cmp_eq_u32_e64 s4, 0, v11
	v_fma_f32 v13, v9, v13, 1.0
	v_fma_f32 v14, v9, v14, 1.0
	v_and_b32_e32 v3, 0x80000000, v3
	v_fmaak_f32 v15, v9, v15, 0x4530a316
	v_cndmask_b32_e64 v4, -v4, v10, s4
	v_and_b32_e32 v5, 0x80000000, v5
	v_div_scale_f32 v27, vcc_lo, v14, v13, v14
	v_fmaak_f32 v12, v9, v12, 0x4297a5cd
	v_fmaak_f32 v15, v9, v15, 0x43a80bfb
	v_xor3_b32 v1, v1, v3, v2
	v_xor_b32_e32 v4, v5, v4
	s_delay_alu instid0(VALU_DEP_4) | instskip(NEXT) | instid1(VALU_DEP_1)
	v_fmaak_f32 v12, v9, v12, 0x43b763ca
	v_fmaak_f32 v12, v9, v12, 0x4431b6ce
	s_delay_alu instid0(VALU_DEP_1) | instskip(NEXT) | instid1(VALU_DEP_1)
	v_fmaak_f32 v12, v9, v12, 0x44155f56
	v_fmaak_f32 v12, v9, v12, 0x4353b052
	s_delay_alu instid0(VALU_DEP_1) | instskip(SKIP_1) | instid1(VALU_DEP_2)
	v_fmaak_f32 v9, v9, v12, 0x41c9a7fa
	v_div_scale_f32 v12, null, v13, v13, v14
	v_div_scale_f32 v21, null, v15, v15, v9
	s_delay_alu instid0(VALU_DEP_2) | instskip(NEXT) | instid1(VALU_DEP_1)
	v_rcp_f32_e32 v22, v12
	v_rcp_f32_e32 v23, v21
	s_waitcnt_depctr 0xfff
	v_fma_f32 v25, -v12, v22, 1.0
	v_fma_f32 v26, -v21, v23, 1.0
	v_mul_f32_e32 v16, 0x4f800000, v41
	s_delay_alu instid0(VALU_DEP_3) | instskip(SKIP_1) | instid1(VALU_DEP_4)
	v_fmac_f32_e32 v22, v25, v22
	v_div_scale_f32 v25, s3, v9, v15, v9
	v_fmac_f32_e32 v23, v26, v23
	s_delay_alu instid0(VALU_DEP_4) | instskip(NEXT) | instid1(VALU_DEP_2)
	v_cndmask_b32_e64 v16, v41, v16, s2
	v_dual_mul_f32 v17, v27, v22 :: v_dual_mul_f32 v18, v25, v23
	s_delay_alu instid0(VALU_DEP_2) | instskip(NEXT) | instid1(VALU_DEP_1)
	v_sqrt_f32_e32 v24, v16
	v_fma_f32 v20, -v12, v17, v27
	s_delay_alu instid0(VALU_DEP_2) | instskip(NEXT) | instid1(VALU_DEP_2)
	v_fma_f32 v28, -v21, v18, v25
	v_fmac_f32_e32 v17, v20, v22
	s_waitcnt_depctr 0xfff
	v_dual_fmac_f32 v18, v28, v23 :: v_dual_add_nc_u32 v19, -1, v24
	v_fma_f32 v10, -v12, v17, v27
	v_add_nc_u32_e32 v26, 1, v24
	s_delay_alu instid0(VALU_DEP_3) | instskip(NEXT) | instid1(VALU_DEP_4)
	v_fma_f32 v2, -v21, v18, v25
	v_fma_f32 v7, -v19, v24, v16
	s_delay_alu instid0(VALU_DEP_4)
	v_div_fmas_f32 v3, v10, v22, v17
	s_mov_b32 vcc_lo, s3
	v_fma_f32 v8, -v26, v24, v16
	v_div_fmas_f32 v2, v2, v23, v18
	v_cmp_ge_f32_e32 vcc_lo, 0, v7
	v_div_fixup_f32 v3, v3, v13, v14
	s_delay_alu instid0(VALU_DEP_4) | instskip(SKIP_3) | instid1(VALU_DEP_3)
	v_cmp_lt_f32_e64 s3, 0, v8
	v_cndmask_b32_e32 v5, v24, v19, vcc_lo
	v_cmp_class_f32_e64 vcc_lo, v0, 0x1f8
	v_div_fixup_f32 v0, v2, v15, v9
	v_cndmask_b32_e64 v2, v5, v26, s3
	v_cndmask_b32_e32 v4, 0x7fc00000, v4, vcc_lo
	s_delay_alu instid0(VALU_DEP_3) | instskip(SKIP_1) | instid1(VALU_DEP_2)
	v_dual_mul_f32 v0, v6, v0 :: v_dual_cndmask_b32 v1, 0x7fc00000, v1
	v_cmp_class_f32_e64 vcc_lo, v16, 0x260
	v_dual_mul_f32 v5, 0x37800000, v2 :: v_dual_mul_f32 v0, v0, v4
	s_delay_alu instid0(VALU_DEP_1) | instskip(NEXT) | instid1(VALU_DEP_1)
	v_cndmask_b32_e64 v2, v2, v5, s2
	v_dual_fmac_f32 v0, v3, v1 :: v_dual_cndmask_b32 v1, v2, v16
	s_delay_alu instid0(VALU_DEP_1) | instskip(NEXT) | instid1(VALU_DEP_1)
	v_mul_f32_e32 v0, 0x3f4c422a, v0
	v_div_scale_f32 v2, null, v1, v1, v0
	s_delay_alu instid0(VALU_DEP_1) | instskip(SKIP_2) | instid1(VALU_DEP_1)
	v_rcp_f32_e32 v3, v2
	s_waitcnt_depctr 0xfff
	v_fma_f32 v4, -v2, v3, 1.0
	v_fmac_f32_e32 v3, v4, v3
	v_div_scale_f32 v4, vcc_lo, v0, v1, v0
	s_delay_alu instid0(VALU_DEP_1) | instskip(NEXT) | instid1(VALU_DEP_1)
	v_mul_f32_e32 v5, v4, v3
	v_fma_f32 v6, -v2, v5, v4
	s_delay_alu instid0(VALU_DEP_1) | instskip(NEXT) | instid1(VALU_DEP_1)
	v_fmac_f32_e32 v5, v6, v3
	v_fma_f32 v2, -v2, v5, v4
	s_delay_alu instid0(VALU_DEP_1) | instskip(NEXT) | instid1(VALU_DEP_1)
	v_div_fmas_f32 v2, v2, v3, v5
	v_div_fixup_f32 v0, v2, v1, v0
.LBB21_214:
	s_or_b32 exec_lo, exec_lo, s5
	v_add_nc_u32_e32 v44, 0x80, v44
	global_store_b32 v42, v0, s[36:37]
	s_or_b32 exec_lo, exec_lo, s61
	s_delay_alu instid0(SALU_CYCLE_1)
	s_mov_b32 s52, exec_lo
	v_cmpx_gt_i32_e64 s58, v44
	s_cbranch_execz .LBB21_189
.LBB21_215:
	s_and_not1_b32 vcc_lo, exec_lo, s55
	s_cbranch_vccnz .LBB21_220
; %bb.216:
	v_mov_b32_e32 v42, 0
	v_mov_b32_e32 v0, 0
	s_and_not1_b32 vcc_lo, exec_lo, s60
	s_mov_b32 s6, 0
	s_cbranch_vccnz .LBB21_225
; %bb.217:
	v_mov_b32_e32 v42, 0
	s_add_i32 s59, s59, 1
	s_cmp_eq_u32 s54, 2
	s_mov_b32 s4, 0
	s_cbranch_scc1 .LBB21_221
; %bb.218:
	v_dual_mov_b32 v0, 0 :: v_dual_mov_b32 v1, v44
	v_mov_b32_e32 v42, 0
	s_and_b32 s4, s59, 28
	s_mov_b32 s5, 0
	s_mov_b64 s[2:3], s[0:1]
.LBB21_219:                             ; =>This Inner Loop Header: Depth=1
	s_clause 0x1
	s_load_b256 s[8:15], s[2:3], 0x4
	s_load_b128 s[24:27], s[2:3], 0x24
	s_load_b256 s[16:23], s[50:51], 0x0
	s_add_u32 s2, s2, 48
	s_addc_u32 s3, s3, 0
	s_add_i32 s5, s5, 4
	s_add_u32 s50, s50, 32
	s_addc_u32 s51, s51, 0
	s_cmp_eq_u32 s4, s5
	s_waitcnt lgkmcnt(0)
	v_mul_hi_u32 v2, s9, v1
	s_delay_alu instid0(VALU_DEP_1) | instskip(NEXT) | instid1(VALU_DEP_1)
	v_add_nc_u32_e32 v2, v1, v2
	v_lshrrev_b32_e32 v2, s10, v2
	s_delay_alu instid0(VALU_DEP_1) | instskip(SKIP_1) | instid1(VALU_DEP_2)
	v_mul_hi_u32 v3, s12, v2
	v_mul_lo_u32 v5, v2, s8
	v_add_nc_u32_e32 v3, v2, v3
	s_delay_alu instid0(VALU_DEP_2) | instskip(NEXT) | instid1(VALU_DEP_2)
	v_sub_nc_u32_e32 v1, v1, v5
	v_lshrrev_b32_e32 v3, s13, v3
	s_delay_alu instid0(VALU_DEP_2) | instskip(SKIP_1) | instid1(VALU_DEP_3)
	v_mul_lo_u32 v5, v1, s16
	v_mul_lo_u32 v7, v1, s17
	v_mul_hi_u32 v4, s15, v3
	s_delay_alu instid0(VALU_DEP_1) | instskip(NEXT) | instid1(VALU_DEP_1)
	v_add_nc_u32_e32 v4, v3, v4
	v_lshrrev_b32_e32 v4, s24, v4
	s_delay_alu instid0(VALU_DEP_1) | instskip(SKIP_1) | instid1(VALU_DEP_2)
	v_mul_hi_u32 v6, s26, v4
	v_mul_lo_u32 v8, v4, s14
	v_add_nc_u32_e32 v1, v4, v6
	v_mul_lo_u32 v6, v3, s11
	s_delay_alu instid0(VALU_DEP_3) | instskip(NEXT) | instid1(VALU_DEP_3)
	v_sub_nc_u32_e32 v3, v3, v8
	v_lshrrev_b32_e32 v1, s27, v1
	s_delay_alu instid0(VALU_DEP_2) | instskip(SKIP_2) | instid1(VALU_DEP_4)
	v_mul_lo_u32 v8, v3, s20
	v_mul_lo_u32 v3, v3, s21
	v_sub_nc_u32_e32 v2, v2, v6
	v_mul_lo_u32 v9, v1, s25
	s_delay_alu instid0(VALU_DEP_2) | instskip(SKIP_1) | instid1(VALU_DEP_3)
	v_mul_lo_u32 v6, v2, s18
	v_mul_lo_u32 v2, v2, s19
	v_sub_nc_u32_e32 v4, v4, v9
	s_delay_alu instid0(VALU_DEP_3) | instskip(NEXT) | instid1(VALU_DEP_2)
	v_add3_u32 v5, v5, v42, v6
	v_mul_lo_u32 v9, v4, s22
	v_mul_lo_u32 v4, v4, s23
	v_add3_u32 v0, v7, v0, v2
	s_delay_alu instid0(VALU_DEP_3) | instskip(NEXT) | instid1(VALU_DEP_2)
	v_add3_u32 v42, v8, v5, v9
	v_add3_u32 v0, v3, v0, v4
	s_cbranch_scc0 .LBB21_219
	s_branch .LBB21_222
.LBB21_220:
	s_mov_b32 s6, -1
                                        ; implicit-def: $vgpr42
                                        ; implicit-def: $vgpr0
	s_branch .LBB21_225
.LBB21_221:
	v_dual_mov_b32 v1, v44 :: v_dual_mov_b32 v0, 0
.LBB21_222:
	s_and_b32 s7, s59, 3
	s_delay_alu instid0(SALU_CYCLE_1)
	s_cmp_eq_u32 s7, 0
	s_cbranch_scc1 .LBB21_225
; %bb.223:
	s_lshl_b32 s2, s4, 3
	s_mul_i32 s4, s4, 12
	s_add_u32 s2, s2, s0
	s_addc_u32 s3, s1, 0
	s_add_u32 s2, s2, 0xc4
	s_addc_u32 s3, s3, 0
	;; [unrolled: 2-line block ×3, first 2 shown]
	.p2align	6
.LBB21_224:                             ; =>This Inner Loop Header: Depth=1
	s_clause 0x1
	s_load_b64 s[8:9], s[4:5], 0x4
	s_load_b32 s12, s[4:5], 0xc
	s_load_b64 s[10:11], s[2:3], 0x0
	s_add_u32 s4, s4, 12
	s_addc_u32 s5, s5, 0
	s_add_u32 s2, s2, 8
	s_addc_u32 s3, s3, 0
	s_add_i32 s7, s7, -1
	s_delay_alu instid0(SALU_CYCLE_1) | instskip(SKIP_2) | instid1(VALU_DEP_1)
	s_cmp_lg_u32 s7, 0
	s_waitcnt lgkmcnt(0)
	v_mul_hi_u32 v2, s9, v1
	v_add_nc_u32_e32 v2, v1, v2
	s_delay_alu instid0(VALU_DEP_1) | instskip(NEXT) | instid1(VALU_DEP_1)
	v_lshrrev_b32_e32 v5, s12, v2
	v_mul_lo_u32 v2, v5, s8
	s_delay_alu instid0(VALU_DEP_1) | instskip(NEXT) | instid1(VALU_DEP_1)
	v_sub_nc_u32_e32 v1, v1, v2
	v_mad_u64_u32 v[2:3], null, v1, s10, v[42:43]
	v_mad_u64_u32 v[3:4], null, v1, s11, v[0:1]
	s_delay_alu instid0(VALU_DEP_2) | instskip(NEXT) | instid1(VALU_DEP_2)
	v_dual_mov_b32 v1, v5 :: v_dual_mov_b32 v42, v2
	v_mov_b32_e32 v0, v3
	s_cbranch_scc1 .LBB21_224
.LBB21_225:
	s_and_not1_b32 vcc_lo, exec_lo, s6
	s_cbranch_vccnz .LBB21_228
; %bb.226:
	s_waitcnt lgkmcnt(0)
	v_mul_hi_u32 v0, s45, v44
	s_and_not1_b32 vcc_lo, exec_lo, s57
	s_delay_alu instid0(VALU_DEP_1) | instskip(NEXT) | instid1(VALU_DEP_1)
	v_add_nc_u32_e32 v0, v44, v0
	v_lshrrev_b32_e32 v1, s46, v0
	s_delay_alu instid0(VALU_DEP_1) | instskip(NEXT) | instid1(VALU_DEP_1)
	v_mul_lo_u32 v0, v1, s44
	v_sub_nc_u32_e32 v0, v44, v0
	s_delay_alu instid0(VALU_DEP_1)
	v_mul_lo_u32 v42, v0, s40
	v_mul_lo_u32 v0, v0, s41
	s_cbranch_vccnz .LBB21_228
; %bb.227:
	v_mul_hi_u32 v2, s48, v1
	s_delay_alu instid0(VALU_DEP_1) | instskip(NEXT) | instid1(VALU_DEP_1)
	v_add_nc_u32_e32 v2, v1, v2
	v_lshrrev_b32_e32 v2, s49, v2
	s_delay_alu instid0(VALU_DEP_1) | instskip(NEXT) | instid1(VALU_DEP_1)
	v_mul_lo_u32 v2, v2, s47
	v_sub_nc_u32_e32 v4, v1, v2
	s_delay_alu instid0(VALU_DEP_1) | instskip(NEXT) | instid1(VALU_DEP_1)
	v_mad_u64_u32 v[1:2], null, v4, s42, v[42:43]
	v_mad_u64_u32 v[2:3], null, v4, s43, v[0:1]
	v_mov_b32_e32 v42, v1
	s_delay_alu instid0(VALU_DEP_2)
	v_mov_b32_e32 v0, v2
.LBB21_228:
	s_waitcnt lgkmcnt(0)
	global_load_b32 v41, v0, s[38:39]
                                        ; implicit-def: $vgpr0
	s_mov_b32 s2, exec_lo
	s_waitcnt vmcnt(0)
	v_cmpx_ge_f32_e32 0x40a00000, v41
	s_xor_b32 s40, exec_lo, s2
	s_cbranch_execz .LBB21_234
; %bb.229:
	v_mov_b32_e32 v0, 0xff800000
	s_mov_b32 s41, exec_lo
	v_cmpx_neq_f32_e32 0, v41
	s_cbranch_execz .LBB21_233
; %bb.230:
	v_mov_b32_e32 v0, 0x7fc00000
	s_mov_b32 s42, exec_lo
	v_cmpx_nge_f32_e32 0, v41
	s_cbranch_execz .LBB21_232
; %bb.231:
	v_mul_f32_e32 v0, v41, v41
	s_getpc_b64 s[2:3]
	s_add_u32 s2, s2, _Z17bessel_j1_forwardIfET_S0_@rel32@lo+4
	s_addc_u32 s3, s3, _Z17bessel_j1_forwardIfET_S0_@rel32@hi+12
	s_mov_b64 s[38:39], s[0:1]
	v_fmaak_f32 v1, 0, v0, 0x4414934d
	v_fmaak_f32 v2, 0, v0, 0x4e9695f3
	s_delay_alu instid0(VALU_DEP_2) | instskip(NEXT) | instid1(VALU_DEP_2)
	v_fmaak_f32 v1, v0, v1, 0x48660b06
	v_fmaak_f32 v2, v0, v2, 0xd316b96b
	s_delay_alu instid0(VALU_DEP_2) | instskip(NEXT) | instid1(VALU_DEP_2)
	;; [unrolled: 3-line block ×5, first 2 shown]
	v_fmaak_f32 v1, v0, v1, 0x580d1937
	v_fmaak_f32 v2, v0, v2, 0xdd2cf20b
	s_delay_alu instid0(VALU_DEP_2) | instskip(NEXT) | instid1(VALU_DEP_1)
	v_fmaak_f32 v1, v0, v1, 0x5b741f1e
	v_fmaak_f32 v0, v0, v1, 0x5e5c878d
	s_delay_alu instid0(VALU_DEP_1) | instskip(SKIP_1) | instid1(VALU_DEP_2)
	v_div_scale_f32 v1, null, v0, v0, v2
	v_div_scale_f32 v5, vcc_lo, v2, v0, v2
	v_rcp_f32_e32 v3, v1
	s_waitcnt_depctr 0xfff
	v_fma_f32 v4, -v1, v3, 1.0
	s_delay_alu instid0(VALU_DEP_1) | instskip(NEXT) | instid1(VALU_DEP_1)
	v_fmac_f32_e32 v3, v4, v3
	v_mul_f32_e32 v4, v5, v3
	s_delay_alu instid0(VALU_DEP_1) | instskip(NEXT) | instid1(VALU_DEP_1)
	v_fma_f32 v6, -v1, v4, v5
	v_fmac_f32_e32 v4, v6, v3
	s_delay_alu instid0(VALU_DEP_1) | instskip(NEXT) | instid1(VALU_DEP_1)
	v_fma_f32 v1, -v1, v4, v5
	v_div_fmas_f32 v1, v1, v3, v4
	s_delay_alu instid0(VALU_DEP_1)
	v_div_fixup_f32 v43, v1, v0, v2
	v_mov_b32_e32 v0, v41
	s_swappc_b64 s[30:31], s[2:3]
	v_div_scale_f32 v1, null, v41, v41, -1.0
	v_cmp_gt_f32_e32 vcc_lo, 0x800000, v41
	v_div_scale_f32 v5, s2, -1.0, v41, -1.0
	s_delay_alu instid0(VALU_DEP_3) | instskip(SKIP_4) | instid1(VALU_DEP_1)
	v_rcp_f32_e32 v3, v1
	s_mov_b64 s[0:1], s[38:39]
	v_cndmask_b32_e64 v2, 1.0, 0x4f800000, vcc_lo
	s_waitcnt_depctr 0xfff
	v_fma_f32 v4, -v1, v3, 1.0
	v_dual_mul_f32 v2, v41, v2 :: v_dual_fmac_f32 v3, v4, v3
	s_delay_alu instid0(VALU_DEP_1) | instskip(SKIP_3) | instid1(VALU_DEP_2)
	v_log_f32_e32 v2, v2
	s_waitcnt_depctr 0xfff
	v_mul_f32_e32 v4, 0x3f317217, v2
	v_cmp_gt_f32_e64 s3, 0x7f800000, |v2|
	v_fma_f32 v7, 0x3f317217, v2, -v4
	s_delay_alu instid0(VALU_DEP_1) | instskip(NEXT) | instid1(VALU_DEP_1)
	v_dual_mul_f32 v6, v5, v3 :: v_dual_fmamk_f32 v7, v2, 0x3377d1cf, v7
	v_fma_f32 v8, -v1, v6, v5
	s_delay_alu instid0(VALU_DEP_2) | instskip(NEXT) | instid1(VALU_DEP_2)
	v_add_f32_e32 v4, v4, v7
	v_fmac_f32_e32 v6, v8, v3
	s_delay_alu instid0(VALU_DEP_2) | instskip(NEXT) | instid1(VALU_DEP_2)
	v_cndmask_b32_e64 v2, v2, v4, s3
	v_fma_f32 v1, -v1, v6, v5
	v_cndmask_b32_e64 v4, 0, 0x41b17218, vcc_lo
	s_mov_b32 vcc_lo, s2
	s_delay_alu instid0(VALU_DEP_2) | instskip(NEXT) | instid1(VALU_DEP_2)
	v_div_fmas_f32 v1, v1, v3, v6
	v_sub_f32_e32 v2, v2, v4
	s_delay_alu instid0(VALU_DEP_2) | instskip(NEXT) | instid1(VALU_DEP_1)
	v_div_fixup_f32 v1, v1, v41, -1.0
	v_fmac_f32_e32 v1, v2, v0
	s_delay_alu instid0(VALU_DEP_1) | instskip(NEXT) | instid1(VALU_DEP_1)
	v_mul_f32_e32 v0, 0x3f22f983, v1
	v_fmac_f32_e32 v0, v41, v43
.LBB21_232:
	s_or_b32 exec_lo, exec_lo, s42
.LBB21_233:
	s_delay_alu instid0(SALU_CYCLE_1)
	s_or_b32 exec_lo, exec_lo, s41
                                        ; implicit-def: $vgpr41
.LBB21_234:
	s_and_not1_saveexec_b32 s5, s40
	s_cbranch_execz .LBB21_244
; %bb.235:
	v_add_f32_e32 v0, 0xc016cbe4, v41
                                        ; implicit-def: $vgpr3
                                        ; implicit-def: $vgpr2
	s_delay_alu instid0(VALU_DEP_1) | instskip(SKIP_1) | instid1(VALU_DEP_1)
	v_and_b32_e32 v1, 0x7fffffff, v0
	v_cmp_ngt_f32_e64 s6, 0x48000000, |v0|
	s_and_saveexec_b32 s2, s6
	s_delay_alu instid0(SALU_CYCLE_1)
	s_xor_b32 s7, exec_lo, s2
	s_cbranch_execz .LBB21_237
; %bb.236:
	s_mov_b32 s2, 0x7fffff
	v_mov_b32_e32 v4, 0
	v_and_or_b32 v12, v1, s2, 0x800000
	v_lshrrev_b32_e32 v9, 23, v1
	s_delay_alu instid0(VALU_DEP_2) | instskip(NEXT) | instid1(VALU_DEP_2)
	v_mad_u64_u32 v[2:3], null, 0xfe5163ab, v12, 0
	v_add_nc_u32_e32 v10, 0xffffff88, v9
	s_delay_alu instid0(VALU_DEP_1) | instskip(NEXT) | instid1(VALU_DEP_3)
	v_cmp_lt_u32_e32 vcc_lo, 63, v10
	v_mad_u64_u32 v[5:6], null, 0x3c439041, v12, v[3:4]
	v_cndmask_b32_e64 v11, 0, 0xffffffc0, vcc_lo
	s_delay_alu instid0(VALU_DEP_2) | instskip(NEXT) | instid1(VALU_DEP_2)
	v_mov_b32_e32 v3, v6
	v_add_nc_u32_e32 v11, v11, v10
	s_delay_alu instid0(VALU_DEP_2) | instskip(NEXT) | instid1(VALU_DEP_2)
	v_mad_u64_u32 v[6:7], null, 0xdb629599, v12, v[3:4]
	v_cmp_lt_u32_e64 s2, 31, v11
	s_delay_alu instid0(VALU_DEP_1) | instskip(NEXT) | instid1(VALU_DEP_3)
	v_cndmask_b32_e64 v13, 0, 0xffffffe0, s2
	v_dual_mov_b32 v3, v7 :: v_dual_cndmask_b32 v2, v6, v2
	s_delay_alu instid0(VALU_DEP_2) | instskip(NEXT) | instid1(VALU_DEP_2)
	v_add_nc_u32_e32 v13, v13, v11
	v_mad_u64_u32 v[7:8], null, 0xf534ddc0, v12, v[3:4]
	s_delay_alu instid0(VALU_DEP_2) | instskip(NEXT) | instid1(VALU_DEP_2)
	v_cmp_lt_u32_e64 s3, 31, v13
	v_mov_b32_e32 v3, v8
	s_delay_alu instid0(VALU_DEP_3) | instskip(NEXT) | instid1(VALU_DEP_2)
	v_cndmask_b32_e32 v5, v7, v5, vcc_lo
	v_mad_u64_u32 v[8:9], null, 0xfc2757d1, v12, v[3:4]
	s_delay_alu instid0(VALU_DEP_2) | instskip(NEXT) | instid1(VALU_DEP_2)
	v_cndmask_b32_e64 v2, v5, v2, s2
	v_mov_b32_e32 v3, v9
	s_delay_alu instid0(VALU_DEP_1) | instskip(NEXT) | instid1(VALU_DEP_1)
	v_mad_u64_u32 v[9:10], null, 0x4e441529, v12, v[3:4]
	v_mov_b32_e32 v3, v10
	s_delay_alu instid0(VALU_DEP_1) | instskip(SKIP_1) | instid1(VALU_DEP_1)
	v_mad_u64_u32 v[10:11], null, 0xa2f9836e, v12, v[3:4]
	v_cndmask_b32_e64 v3, 0, 0xffffffe0, s3
	v_dual_cndmask_b32 v4, v9, v7 :: v_dual_add_nc_u32 v3, v3, v13
	s_delay_alu instid0(VALU_DEP_3) | instskip(NEXT) | instid1(VALU_DEP_4)
	v_cndmask_b32_e32 v10, v10, v8, vcc_lo
	v_dual_cndmask_b32 v8, v8, v6 :: v_dual_cndmask_b32 v9, v11, v9
	s_delay_alu instid0(VALU_DEP_3) | instskip(NEXT) | instid1(VALU_DEP_3)
	v_cmp_eq_u32_e64 s4, 0, v3
	v_cndmask_b32_e64 v7, v10, v4, s2
	s_delay_alu instid0(VALU_DEP_3) | instskip(NEXT) | instid1(VALU_DEP_4)
	v_cndmask_b32_e64 v4, v4, v8, s2
	v_cndmask_b32_e64 v9, v9, v10, s2
	v_sub_nc_u32_e32 v10, 32, v3
	v_cndmask_b32_e64 v8, v8, v5, s2
	s_delay_alu instid0(VALU_DEP_3) | instskip(SKIP_1) | instid1(VALU_DEP_3)
	v_cndmask_b32_e64 v9, v9, v7, s3
	v_cndmask_b32_e64 v7, v7, v4, s3
	;; [unrolled: 1-line block ×4, first 2 shown]
	s_delay_alu instid0(VALU_DEP_3) | instskip(NEXT) | instid1(VALU_DEP_3)
	v_alignbit_b32 v11, v9, v7, v10
	v_alignbit_b32 v12, v7, v4, v10
	s_delay_alu instid0(VALU_DEP_3) | instskip(NEXT) | instid1(VALU_DEP_3)
	v_alignbit_b32 v10, v4, v2, v10
	v_cndmask_b32_e64 v3, v11, v9, s4
	s_delay_alu instid0(VALU_DEP_3) | instskip(NEXT) | instid1(VALU_DEP_3)
	v_cndmask_b32_e64 v6, v12, v7, s4
	v_cndmask_b32_e64 v4, v10, v4, s4
	s_delay_alu instid0(VALU_DEP_3) | instskip(NEXT) | instid1(VALU_DEP_3)
	v_bfe_u32 v7, v3, 29, 1
	v_alignbit_b32 v5, v3, v6, 30
	s_delay_alu instid0(VALU_DEP_3) | instskip(SKIP_1) | instid1(VALU_DEP_4)
	v_alignbit_b32 v6, v6, v4, 30
	v_alignbit_b32 v2, v4, v2, 30
	v_sub_nc_u32_e32 v9, 0, v7
	s_delay_alu instid0(VALU_DEP_1) | instskip(SKIP_3) | instid1(VALU_DEP_4)
	v_xor_b32_e32 v8, v5, v9
	v_cmp_ne_u32_e32 vcc_lo, v5, v9
	v_xor_b32_e32 v4, v6, v9
	v_xor_b32_e32 v2, v2, v9
	v_clz_i32_u32_e32 v11, v8
	s_delay_alu instid0(VALU_DEP_1) | instskip(NEXT) | instid1(VALU_DEP_1)
	v_add_nc_u32_e32 v10, 1, v11
	v_cndmask_b32_e32 v5, 33, v10, vcc_lo
	s_delay_alu instid0(VALU_DEP_1) | instskip(NEXT) | instid1(VALU_DEP_1)
	v_sub_nc_u32_e32 v6, 32, v5
	v_alignbit_b32 v8, v8, v4, v6
	v_alignbit_b32 v2, v4, v2, v6
	v_lshrrev_b32_e32 v4, 29, v3
	v_lshrrev_b32_e32 v3, 30, v3
	s_delay_alu instid0(VALU_DEP_3) | instskip(NEXT) | instid1(VALU_DEP_3)
	v_alignbit_b32 v6, v8, v2, 9
	v_lshlrev_b32_e32 v4, 31, v4
	v_alignbit_b32 v8, v5, v8, 9
	s_delay_alu instid0(VALU_DEP_4) | instskip(NEXT) | instid1(VALU_DEP_4)
	v_add_nc_u32_e32 v3, v7, v3
	v_clz_i32_u32_e32 v9, v6
	s_delay_alu instid0(VALU_DEP_3) | instskip(SKIP_1) | instid1(VALU_DEP_3)
	v_or_b32_e32 v8, v8, v4
	v_or_b32_e32 v4, 0x33800000, v4
	v_min_u32_e32 v9, 32, v9
	s_delay_alu instid0(VALU_DEP_3) | instskip(NEXT) | instid1(VALU_DEP_2)
	v_xor_b32_e32 v8, 1.0, v8
	v_sub_nc_u32_e32 v10, 31, v9
	v_add_lshl_u32 v5, v9, v5, 23
	s_delay_alu instid0(VALU_DEP_3) | instskip(NEXT) | instid1(VALU_DEP_3)
	v_mul_f32_e32 v9, 0x3fc90fda, v8
	v_alignbit_b32 v2, v6, v2, v10
	s_delay_alu instid0(VALU_DEP_3) | instskip(NEXT) | instid1(VALU_DEP_3)
	v_sub_nc_u32_e32 v4, v4, v5
	v_fma_f32 v5, 0x3fc90fda, v8, -v9
	s_delay_alu instid0(VALU_DEP_3) | instskip(NEXT) | instid1(VALU_DEP_2)
	v_lshrrev_b32_e32 v2, 9, v2
	v_fmamk_f32 v5, v8, 0x33a22168, v5
	s_delay_alu instid0(VALU_DEP_2) | instskip(NEXT) | instid1(VALU_DEP_1)
	v_or_b32_e32 v2, v4, v2
	v_fmac_f32_e32 v5, 0x3fc90fda, v2
	s_delay_alu instid0(VALU_DEP_1)
	v_add_f32_e32 v2, v9, v5
	s_and_not1_saveexec_b32 s2, s7
	s_branch .LBB21_238
.LBB21_237:
	s_and_not1_saveexec_b32 s2, s7
.LBB21_238:
	v_mul_f32_e64 v2, 0x3f22f983, |v0|
	s_delay_alu instid0(VALU_DEP_1) | instskip(NEXT) | instid1(VALU_DEP_1)
	v_rndne_f32_e32 v3, v2
	v_fma_f32 v2, 0xbfc90fda, v3, |v0|
	s_delay_alu instid0(VALU_DEP_1) | instskip(NEXT) | instid1(VALU_DEP_1)
	v_fmamk_f32 v2, v3, 0xb3a22168, v2
	v_fmamk_f32 v2, v3, 0xa7c234c4, v2
	v_cvt_i32_f32_e32 v3, v3
; %bb.239:
	s_or_b32 exec_lo, exec_lo, s2
                                        ; implicit-def: $vgpr5
                                        ; implicit-def: $vgpr4
	s_and_saveexec_b32 s2, s6
	s_delay_alu instid0(SALU_CYCLE_1)
	s_xor_b32 s6, exec_lo, s2
	s_cbranch_execz .LBB21_241
; %bb.240:
	s_mov_b32 s2, 0x7fffff
	v_mov_b32_e32 v6, 0
	v_and_or_b32 v14, v1, s2, 0x800000
	v_lshrrev_b32_e32 v11, 23, v1
	s_delay_alu instid0(VALU_DEP_2) | instskip(NEXT) | instid1(VALU_DEP_2)
	v_mad_u64_u32 v[4:5], null, 0xfe5163ab, v14, 0
	v_add_nc_u32_e32 v12, 0xffffff88, v11
	s_delay_alu instid0(VALU_DEP_1) | instskip(NEXT) | instid1(VALU_DEP_3)
	v_cmp_lt_u32_e32 vcc_lo, 63, v12
	v_mad_u64_u32 v[7:8], null, 0x3c439041, v14, v[5:6]
	v_cndmask_b32_e64 v13, 0, 0xffffffc0, vcc_lo
	s_delay_alu instid0(VALU_DEP_2) | instskip(NEXT) | instid1(VALU_DEP_2)
	v_mov_b32_e32 v5, v8
	v_add_nc_u32_e32 v13, v13, v12
	s_delay_alu instid0(VALU_DEP_2) | instskip(NEXT) | instid1(VALU_DEP_2)
	v_mad_u64_u32 v[8:9], null, 0xdb629599, v14, v[5:6]
	v_cmp_lt_u32_e64 s2, 31, v13
	s_delay_alu instid0(VALU_DEP_1) | instskip(NEXT) | instid1(VALU_DEP_3)
	v_cndmask_b32_e64 v15, 0, 0xffffffe0, s2
	v_dual_mov_b32 v5, v9 :: v_dual_cndmask_b32 v4, v8, v4
	s_delay_alu instid0(VALU_DEP_2) | instskip(NEXT) | instid1(VALU_DEP_2)
	v_add_nc_u32_e32 v15, v15, v13
	v_mad_u64_u32 v[9:10], null, 0xf534ddc0, v14, v[5:6]
	s_delay_alu instid0(VALU_DEP_2) | instskip(NEXT) | instid1(VALU_DEP_2)
	v_cmp_lt_u32_e64 s3, 31, v15
	v_mov_b32_e32 v5, v10
	s_delay_alu instid0(VALU_DEP_3) | instskip(NEXT) | instid1(VALU_DEP_2)
	v_cndmask_b32_e32 v7, v9, v7, vcc_lo
	v_mad_u64_u32 v[10:11], null, 0xfc2757d1, v14, v[5:6]
	s_delay_alu instid0(VALU_DEP_2) | instskip(NEXT) | instid1(VALU_DEP_2)
	v_cndmask_b32_e64 v4, v7, v4, s2
	v_mov_b32_e32 v5, v11
	s_delay_alu instid0(VALU_DEP_1) | instskip(NEXT) | instid1(VALU_DEP_1)
	v_mad_u64_u32 v[11:12], null, 0x4e441529, v14, v[5:6]
	v_mov_b32_e32 v5, v12
	s_delay_alu instid0(VALU_DEP_1) | instskip(SKIP_1) | instid1(VALU_DEP_1)
	v_mad_u64_u32 v[12:13], null, 0xa2f9836e, v14, v[5:6]
	v_cndmask_b32_e64 v5, 0, 0xffffffe0, s3
	v_dual_cndmask_b32 v6, v11, v9 :: v_dual_add_nc_u32 v5, v5, v15
	s_delay_alu instid0(VALU_DEP_3) | instskip(NEXT) | instid1(VALU_DEP_4)
	v_cndmask_b32_e32 v12, v12, v10, vcc_lo
	v_dual_cndmask_b32 v10, v10, v8 :: v_dual_cndmask_b32 v11, v13, v11
	s_delay_alu instid0(VALU_DEP_3) | instskip(NEXT) | instid1(VALU_DEP_3)
	v_cmp_eq_u32_e64 s4, 0, v5
	v_cndmask_b32_e64 v9, v12, v6, s2
	s_delay_alu instid0(VALU_DEP_3) | instskip(NEXT) | instid1(VALU_DEP_4)
	v_cndmask_b32_e64 v6, v6, v10, s2
	v_cndmask_b32_e64 v11, v11, v12, s2
	v_sub_nc_u32_e32 v12, 32, v5
	v_cndmask_b32_e64 v10, v10, v7, s2
	s_delay_alu instid0(VALU_DEP_3) | instskip(SKIP_1) | instid1(VALU_DEP_3)
	v_cndmask_b32_e64 v11, v11, v9, s3
	v_cndmask_b32_e64 v9, v9, v6, s3
	;; [unrolled: 1-line block ×4, first 2 shown]
	s_delay_alu instid0(VALU_DEP_3) | instskip(NEXT) | instid1(VALU_DEP_3)
	v_alignbit_b32 v13, v11, v9, v12
	v_alignbit_b32 v14, v9, v6, v12
	s_delay_alu instid0(VALU_DEP_3) | instskip(NEXT) | instid1(VALU_DEP_3)
	v_alignbit_b32 v12, v6, v4, v12
	v_cndmask_b32_e64 v5, v13, v11, s4
	s_delay_alu instid0(VALU_DEP_3) | instskip(NEXT) | instid1(VALU_DEP_3)
	v_cndmask_b32_e64 v8, v14, v9, s4
	v_cndmask_b32_e64 v6, v12, v6, s4
	s_delay_alu instid0(VALU_DEP_3) | instskip(NEXT) | instid1(VALU_DEP_3)
	v_bfe_u32 v9, v5, 29, 1
	v_alignbit_b32 v7, v5, v8, 30
	s_delay_alu instid0(VALU_DEP_3) | instskip(SKIP_1) | instid1(VALU_DEP_4)
	v_alignbit_b32 v8, v8, v6, 30
	v_alignbit_b32 v4, v6, v4, 30
	v_sub_nc_u32_e32 v11, 0, v9
	s_delay_alu instid0(VALU_DEP_1) | instskip(SKIP_3) | instid1(VALU_DEP_4)
	v_xor_b32_e32 v10, v7, v11
	v_cmp_ne_u32_e32 vcc_lo, v7, v11
	v_xor_b32_e32 v6, v8, v11
	v_xor_b32_e32 v4, v4, v11
	v_clz_i32_u32_e32 v13, v10
	s_delay_alu instid0(VALU_DEP_1) | instskip(NEXT) | instid1(VALU_DEP_1)
	v_add_nc_u32_e32 v12, 1, v13
	v_cndmask_b32_e32 v7, 33, v12, vcc_lo
	s_delay_alu instid0(VALU_DEP_1) | instskip(NEXT) | instid1(VALU_DEP_1)
	v_sub_nc_u32_e32 v8, 32, v7
	v_alignbit_b32 v10, v10, v6, v8
	v_alignbit_b32 v4, v6, v4, v8
	v_lshrrev_b32_e32 v6, 29, v5
	v_lshrrev_b32_e32 v5, 30, v5
	s_delay_alu instid0(VALU_DEP_3) | instskip(NEXT) | instid1(VALU_DEP_3)
	v_alignbit_b32 v8, v10, v4, 9
	v_lshlrev_b32_e32 v6, 31, v6
	v_alignbit_b32 v10, v7, v10, 9
	s_delay_alu instid0(VALU_DEP_4) | instskip(NEXT) | instid1(VALU_DEP_4)
	v_add_nc_u32_e32 v5, v9, v5
	v_clz_i32_u32_e32 v11, v8
	s_delay_alu instid0(VALU_DEP_3) | instskip(SKIP_1) | instid1(VALU_DEP_3)
	v_or_b32_e32 v10, v10, v6
	v_or_b32_e32 v6, 0x33800000, v6
	v_min_u32_e32 v11, 32, v11
	s_delay_alu instid0(VALU_DEP_3) | instskip(NEXT) | instid1(VALU_DEP_2)
	v_xor_b32_e32 v10, 1.0, v10
	v_sub_nc_u32_e32 v12, 31, v11
	v_add_lshl_u32 v7, v11, v7, 23
	s_delay_alu instid0(VALU_DEP_3) | instskip(NEXT) | instid1(VALU_DEP_3)
	v_mul_f32_e32 v11, 0x3fc90fda, v10
	v_alignbit_b32 v4, v8, v4, v12
	s_delay_alu instid0(VALU_DEP_3) | instskip(NEXT) | instid1(VALU_DEP_3)
	v_sub_nc_u32_e32 v6, v6, v7
	v_fma_f32 v7, 0x3fc90fda, v10, -v11
	s_delay_alu instid0(VALU_DEP_3) | instskip(NEXT) | instid1(VALU_DEP_2)
	v_lshrrev_b32_e32 v4, 9, v4
	v_fmamk_f32 v7, v10, 0x33a22168, v7
	s_delay_alu instid0(VALU_DEP_2) | instskip(NEXT) | instid1(VALU_DEP_1)
	v_or_b32_e32 v4, v6, v4
	v_fmac_f32_e32 v7, 0x3fc90fda, v4
	s_delay_alu instid0(VALU_DEP_1)
	v_add_f32_e32 v4, v11, v7
	s_and_not1_saveexec_b32 s2, s6
	s_cbranch_execnz .LBB21_242
	s_branch .LBB21_243
.LBB21_241:
	s_and_not1_saveexec_b32 s2, s6
.LBB21_242:
	v_mul_f32_e64 v4, 0x3f22f983, |v0|
	s_delay_alu instid0(VALU_DEP_1) | instskip(NEXT) | instid1(VALU_DEP_1)
	v_rndne_f32_e32 v5, v4
	v_fma_f32 v4, 0xbfc90fda, v5, |v0|
	s_delay_alu instid0(VALU_DEP_1) | instskip(NEXT) | instid1(VALU_DEP_1)
	v_fmamk_f32 v4, v5, 0xb3a22168, v4
	v_fmamk_f32 v4, v5, 0xa7c234c4, v4
	v_cvt_i32_f32_e32 v5, v5
.LBB21_243:
	s_or_b32 exec_lo, exec_lo, s2
	v_div_scale_f32 v6, null, v41, v41, 0x40a00000
	v_div_scale_f32 v9, vcc_lo, 0x40a00000, v41, 0x40a00000
	s_mov_b32 s2, 0xb94c1982
	s_delay_alu instid0(VALU_DEP_2)
	v_rcp_f32_e32 v7, v6
	s_mov_b32 s3, 0x37d75334
	v_xor_b32_e32 v1, v1, v0
	v_and_b32_e32 v11, 1, v5
	s_waitcnt_depctr 0xfff
	v_fma_f32 v8, -v6, v7, 1.0
	s_delay_alu instid0(VALU_DEP_1) | instskip(NEXT) | instid1(VALU_DEP_1)
	v_fmac_f32_e32 v7, v8, v7
	v_mul_f32_e32 v8, v9, v7
	s_delay_alu instid0(VALU_DEP_1) | instskip(NEXT) | instid1(VALU_DEP_1)
	v_fma_f32 v10, -v6, v8, v9
	v_fmac_f32_e32 v8, v10, v7
	v_mul_f32_e32 v10, v4, v4
	s_delay_alu instid0(VALU_DEP_2) | instskip(NEXT) | instid1(VALU_DEP_2)
	v_fma_f32 v6, -v6, v8, v9
	v_fmaak_f32 v19, s2, v10, 0x3c0881c4
	v_fmaak_f32 v20, s3, v10, 0xbab64f3b
	s_delay_alu instid0(VALU_DEP_3) | instskip(SKIP_1) | instid1(VALU_DEP_4)
	v_div_fmas_f32 v6, v6, v7, v8
	v_mul_f32_e32 v7, v2, v2
	v_fmaak_f32 v19, v10, v19, 0xbe2aaa9d
	s_delay_alu instid0(VALU_DEP_4) | instskip(NEXT) | instid1(VALU_DEP_4)
	v_fmaak_f32 v20, v10, v20, 0x3d2aabf7
	v_div_fixup_f32 v6, v6, v41, 0x40a00000
	v_and_b32_e32 v8, 1, v3
	v_lshlrev_b32_e32 v3, 30, v3
	v_fmaak_f32 v17, s2, v7, 0x3c0881c4
	s_delay_alu instid0(VALU_DEP_4) | instskip(SKIP_2) | instid1(VALU_DEP_4)
	v_dual_fmaak_f32 v18, s3, v7, 0xbab64f3b :: v_dual_mul_f32 v9, v6, v6
	v_cmp_gt_f32_e64 s2, 0xf800000, v41
	v_cmp_eq_u32_e64 s4, 0, v8
	v_fmaak_f32 v17, v7, v17, 0xbe2aaa9d
	s_delay_alu instid0(VALU_DEP_4) | instskip(SKIP_2) | instid1(VALU_DEP_4)
	v_fmaak_f32 v18, v7, v18, 0x3d2aabf7
	v_fmaak_f32 v13, 0, v9, 0x3a15c4d9
	v_dual_fmaak_f32 v14, 0, v9, 0x3a47c962 :: v_dual_mul_f32 v19, v10, v19
	v_mul_f32_e32 v17, v7, v17
	v_fmaak_f32 v12, 0, v9, 0x3d513fd3
	s_delay_alu instid0(VALU_DEP_4) | instskip(NEXT) | instid1(VALU_DEP_4)
	v_fmaak_f32 v13, v9, v13, 0x3d8cfeeb
	v_dual_fmaak_f32 v14, v9, v14, 0x3d95ca45 :: v_dual_lshlrev_b32 v5, 30, v5
	v_dual_fmaak_f32 v15, 0, v9, 0x42947983 :: v_dual_fmac_f32 v4, v4, v19
	s_delay_alu instid0(VALU_DEP_3) | instskip(NEXT) | instid1(VALU_DEP_3)
	v_fmaak_f32 v13, v9, v13, 0x3f8d754e
	v_fmaak_f32 v14, v9, v14, 0x3f9047f6
	;; [unrolled: 1-line block ×3, first 2 shown]
	s_delay_alu instid0(VALU_DEP_4) | instskip(NEXT) | instid1(VALU_DEP_4)
	v_dual_fmaak_f32 v15, v9, v15, 0x44840e5d :: v_dual_fmac_f32 v2, v2, v17
	v_fmaak_f32 v13, v9, v13, 0x40a25d18
	s_delay_alu instid0(VALU_DEP_4) | instskip(SKIP_1) | instid1(VALU_DEP_4)
	v_fmaak_f32 v14, v9, v14, 0x40a39628
	v_fmaak_f32 v18, v7, v18, 0xbf000004
	;; [unrolled: 1-line block ×6, first 2 shown]
	v_fma_f32 v7, v7, v18, 1.0
	v_fmaak_f32 v15, v9, v15, 0x46156947
	v_fma_f32 v10, v10, v20, 1.0
	v_fmaak_f32 v13, v9, v13, 0x40a6b6ea
	v_fmaak_f32 v14, v9, v14, 0x40a6dd51
	v_cndmask_b32_e64 v2, v7, v2, s4
	v_fmaak_f32 v15, v9, v15, 0x45f9e855
	v_cmp_eq_u32_e64 s4, 0, v11
	v_fma_f32 v13, v9, v13, 1.0
	v_fma_f32 v14, v9, v14, 1.0
	v_and_b32_e32 v3, 0x80000000, v3
	v_fmaak_f32 v15, v9, v15, 0x4530a316
	v_cndmask_b32_e64 v4, -v4, v10, s4
	v_and_b32_e32 v5, 0x80000000, v5
	v_div_scale_f32 v27, vcc_lo, v14, v13, v14
	v_fmaak_f32 v12, v9, v12, 0x4297a5cd
	v_fmaak_f32 v15, v9, v15, 0x43a80bfb
	v_xor3_b32 v1, v1, v3, v2
	v_xor_b32_e32 v4, v5, v4
	s_delay_alu instid0(VALU_DEP_4) | instskip(NEXT) | instid1(VALU_DEP_1)
	v_fmaak_f32 v12, v9, v12, 0x43b763ca
	v_fmaak_f32 v12, v9, v12, 0x4431b6ce
	s_delay_alu instid0(VALU_DEP_1) | instskip(NEXT) | instid1(VALU_DEP_1)
	v_fmaak_f32 v12, v9, v12, 0x44155f56
	v_fmaak_f32 v12, v9, v12, 0x4353b052
	s_delay_alu instid0(VALU_DEP_1) | instskip(SKIP_1) | instid1(VALU_DEP_2)
	v_fmaak_f32 v9, v9, v12, 0x41c9a7fa
	v_div_scale_f32 v12, null, v13, v13, v14
	v_div_scale_f32 v21, null, v15, v15, v9
	s_delay_alu instid0(VALU_DEP_2) | instskip(NEXT) | instid1(VALU_DEP_1)
	v_rcp_f32_e32 v22, v12
	v_rcp_f32_e32 v23, v21
	s_waitcnt_depctr 0xfff
	v_fma_f32 v25, -v12, v22, 1.0
	v_fma_f32 v26, -v21, v23, 1.0
	v_mul_f32_e32 v16, 0x4f800000, v41
	s_delay_alu instid0(VALU_DEP_3) | instskip(SKIP_1) | instid1(VALU_DEP_4)
	v_fmac_f32_e32 v22, v25, v22
	v_div_scale_f32 v25, s3, v9, v15, v9
	v_fmac_f32_e32 v23, v26, v23
	s_delay_alu instid0(VALU_DEP_4) | instskip(NEXT) | instid1(VALU_DEP_2)
	v_cndmask_b32_e64 v16, v41, v16, s2
	v_dual_mul_f32 v17, v27, v22 :: v_dual_mul_f32 v18, v25, v23
	s_delay_alu instid0(VALU_DEP_2) | instskip(NEXT) | instid1(VALU_DEP_1)
	v_sqrt_f32_e32 v24, v16
	v_fma_f32 v20, -v12, v17, v27
	s_delay_alu instid0(VALU_DEP_2) | instskip(NEXT) | instid1(VALU_DEP_2)
	v_fma_f32 v28, -v21, v18, v25
	v_fmac_f32_e32 v17, v20, v22
	s_waitcnt_depctr 0xfff
	v_dual_fmac_f32 v18, v28, v23 :: v_dual_add_nc_u32 v19, -1, v24
	v_fma_f32 v10, -v12, v17, v27
	v_add_nc_u32_e32 v26, 1, v24
	s_delay_alu instid0(VALU_DEP_3) | instskip(NEXT) | instid1(VALU_DEP_4)
	v_fma_f32 v2, -v21, v18, v25
	v_fma_f32 v7, -v19, v24, v16
	s_delay_alu instid0(VALU_DEP_4)
	v_div_fmas_f32 v3, v10, v22, v17
	s_mov_b32 vcc_lo, s3
	v_fma_f32 v8, -v26, v24, v16
	v_div_fmas_f32 v2, v2, v23, v18
	v_cmp_ge_f32_e32 vcc_lo, 0, v7
	v_div_fixup_f32 v3, v3, v13, v14
	s_delay_alu instid0(VALU_DEP_4) | instskip(SKIP_3) | instid1(VALU_DEP_3)
	v_cmp_lt_f32_e64 s3, 0, v8
	v_cndmask_b32_e32 v5, v24, v19, vcc_lo
	v_cmp_class_f32_e64 vcc_lo, v0, 0x1f8
	v_div_fixup_f32 v0, v2, v15, v9
	v_cndmask_b32_e64 v2, v5, v26, s3
	v_cndmask_b32_e32 v4, 0x7fc00000, v4, vcc_lo
	s_delay_alu instid0(VALU_DEP_3) | instskip(SKIP_1) | instid1(VALU_DEP_2)
	v_dual_mul_f32 v0, v6, v0 :: v_dual_cndmask_b32 v1, 0x7fc00000, v1
	v_cmp_class_f32_e64 vcc_lo, v16, 0x260
	v_dual_mul_f32 v5, 0x37800000, v2 :: v_dual_mul_f32 v0, v0, v4
	s_delay_alu instid0(VALU_DEP_1) | instskip(NEXT) | instid1(VALU_DEP_1)
	v_cndmask_b32_e64 v2, v2, v5, s2
	v_dual_fmac_f32 v0, v3, v1 :: v_dual_cndmask_b32 v1, v2, v16
	s_delay_alu instid0(VALU_DEP_1) | instskip(NEXT) | instid1(VALU_DEP_1)
	v_mul_f32_e32 v0, 0x3f4c422a, v0
	v_div_scale_f32 v2, null, v1, v1, v0
	s_delay_alu instid0(VALU_DEP_1) | instskip(SKIP_2) | instid1(VALU_DEP_1)
	v_rcp_f32_e32 v3, v2
	s_waitcnt_depctr 0xfff
	v_fma_f32 v4, -v2, v3, 1.0
	v_fmac_f32_e32 v3, v4, v3
	v_div_scale_f32 v4, vcc_lo, v0, v1, v0
	s_delay_alu instid0(VALU_DEP_1) | instskip(NEXT) | instid1(VALU_DEP_1)
	v_mul_f32_e32 v5, v4, v3
	v_fma_f32 v6, -v2, v5, v4
	s_delay_alu instid0(VALU_DEP_1) | instskip(NEXT) | instid1(VALU_DEP_1)
	v_fmac_f32_e32 v5, v6, v3
	v_fma_f32 v2, -v2, v5, v4
	s_delay_alu instid0(VALU_DEP_1) | instskip(NEXT) | instid1(VALU_DEP_1)
	v_div_fmas_f32 v2, v2, v3, v5
	v_div_fixup_f32 v0, v2, v1, v0
.LBB21_244:
	s_or_b32 exec_lo, exec_lo, s5
	global_store_b32 v42, v0, s[36:37]
	s_or_b32 exec_lo, exec_lo, s52
                                        ; implicit-def: $vgpr1
                                        ; implicit-def: $vgpr44
	s_and_not1_saveexec_b32 s2, s56
	s_cbranch_execz .LBB21_190
	s_branch .LBB21_8
	.section	.rodata,"a",@progbits
	.p2align	6, 0x0
	.amdhsa_kernel _ZN2at6native32elementwise_kernel_manual_unrollILi128ELi4EZNS0_22gpu_kernel_impl_nocastIZZZNS0_12_GLOBAL__N_121bessel_y1_kernel_cudaERNS_18TensorIteratorBaseEENKUlvE_clEvENKUlvE0_clEvEUlfE_EEvS5_RKT_EUlibE_EEviT1_
		.amdhsa_group_segment_fixed_size 0
		.amdhsa_private_segment_fixed_size 16
		.amdhsa_kernarg_size 360
		.amdhsa_user_sgpr_count 15
		.amdhsa_user_sgpr_dispatch_ptr 0
		.amdhsa_user_sgpr_queue_ptr 0
		.amdhsa_user_sgpr_kernarg_segment_ptr 1
		.amdhsa_user_sgpr_dispatch_id 0
		.amdhsa_user_sgpr_private_segment_size 0
		.amdhsa_wavefront_size32 1
		.amdhsa_uses_dynamic_stack 1
		.amdhsa_enable_private_segment 1
		.amdhsa_system_sgpr_workgroup_id_x 1
		.amdhsa_system_sgpr_workgroup_id_y 0
		.amdhsa_system_sgpr_workgroup_id_z 0
		.amdhsa_system_sgpr_workgroup_info 0
		.amdhsa_system_vgpr_workitem_id 0
		.amdhsa_next_free_vgpr 59
		.amdhsa_next_free_sgpr 65
		.amdhsa_reserve_vcc 1
		.amdhsa_float_round_mode_32 0
		.amdhsa_float_round_mode_16_64 0
		.amdhsa_float_denorm_mode_32 3
		.amdhsa_float_denorm_mode_16_64 3
		.amdhsa_dx10_clamp 1
		.amdhsa_ieee_mode 1
		.amdhsa_fp16_overflow 0
		.amdhsa_workgroup_processor_mode 1
		.amdhsa_memory_ordered 1
		.amdhsa_forward_progress 0
		.amdhsa_shared_vgpr_count 0
		.amdhsa_exception_fp_ieee_invalid_op 0
		.amdhsa_exception_fp_denorm_src 0
		.amdhsa_exception_fp_ieee_div_zero 0
		.amdhsa_exception_fp_ieee_overflow 0
		.amdhsa_exception_fp_ieee_underflow 0
		.amdhsa_exception_fp_ieee_inexact 0
		.amdhsa_exception_int_div_zero 0
	.end_amdhsa_kernel
	.section	.text._ZN2at6native32elementwise_kernel_manual_unrollILi128ELi4EZNS0_22gpu_kernel_impl_nocastIZZZNS0_12_GLOBAL__N_121bessel_y1_kernel_cudaERNS_18TensorIteratorBaseEENKUlvE_clEvENKUlvE0_clEvEUlfE_EEvS5_RKT_EUlibE_EEviT1_,"axG",@progbits,_ZN2at6native32elementwise_kernel_manual_unrollILi128ELi4EZNS0_22gpu_kernel_impl_nocastIZZZNS0_12_GLOBAL__N_121bessel_y1_kernel_cudaERNS_18TensorIteratorBaseEENKUlvE_clEvENKUlvE0_clEvEUlfE_EEvS5_RKT_EUlibE_EEviT1_,comdat
.Lfunc_end21:
	.size	_ZN2at6native32elementwise_kernel_manual_unrollILi128ELi4EZNS0_22gpu_kernel_impl_nocastIZZZNS0_12_GLOBAL__N_121bessel_y1_kernel_cudaERNS_18TensorIteratorBaseEENKUlvE_clEvENKUlvE0_clEvEUlfE_EEvS5_RKT_EUlibE_EEviT1_, .Lfunc_end21-_ZN2at6native32elementwise_kernel_manual_unrollILi128ELi4EZNS0_22gpu_kernel_impl_nocastIZZZNS0_12_GLOBAL__N_121bessel_y1_kernel_cudaERNS_18TensorIteratorBaseEENKUlvE_clEvENKUlvE0_clEvEUlfE_EEvS5_RKT_EUlibE_EEviT1_
                                        ; -- End function
	.section	.AMDGPU.csdata,"",@progbits
; Kernel info:
; codeLenInByte = 32688
; NumSgprs: 67
; NumVgprs: 59
; ScratchSize: 16
; MemoryBound: 0
; FloatMode: 240
; IeeeMode: 1
; LDSByteSize: 0 bytes/workgroup (compile time only)
; SGPRBlocks: 8
; VGPRBlocks: 7
; NumSGPRsForWavesPerEU: 67
; NumVGPRsForWavesPerEU: 59
; Occupancy: 16
; WaveLimiterHint : 1
; COMPUTE_PGM_RSRC2:SCRATCH_EN: 1
; COMPUTE_PGM_RSRC2:USER_SGPR: 15
; COMPUTE_PGM_RSRC2:TRAP_HANDLER: 0
; COMPUTE_PGM_RSRC2:TGID_X_EN: 1
; COMPUTE_PGM_RSRC2:TGID_Y_EN: 0
; COMPUTE_PGM_RSRC2:TGID_Z_EN: 0
; COMPUTE_PGM_RSRC2:TIDIG_COMP_CNT: 0
	.section	.text._ZN2at6native32elementwise_kernel_manual_unrollILi128ELi4EZNS0_15gpu_kernel_implIZZZNS0_12_GLOBAL__N_121bessel_y1_kernel_cudaERNS_18TensorIteratorBaseEENKUlvE_clEvENKUlvE0_clEvEUlfE_EEvS5_RKT_EUlibE_EEviT1_,"axG",@progbits,_ZN2at6native32elementwise_kernel_manual_unrollILi128ELi4EZNS0_15gpu_kernel_implIZZZNS0_12_GLOBAL__N_121bessel_y1_kernel_cudaERNS_18TensorIteratorBaseEENKUlvE_clEvENKUlvE0_clEvEUlfE_EEvS5_RKT_EUlibE_EEviT1_,comdat
	.globl	_ZN2at6native32elementwise_kernel_manual_unrollILi128ELi4EZNS0_15gpu_kernel_implIZZZNS0_12_GLOBAL__N_121bessel_y1_kernel_cudaERNS_18TensorIteratorBaseEENKUlvE_clEvENKUlvE0_clEvEUlfE_EEvS5_RKT_EUlibE_EEviT1_ ; -- Begin function _ZN2at6native32elementwise_kernel_manual_unrollILi128ELi4EZNS0_15gpu_kernel_implIZZZNS0_12_GLOBAL__N_121bessel_y1_kernel_cudaERNS_18TensorIteratorBaseEENKUlvE_clEvENKUlvE0_clEvEUlfE_EEvS5_RKT_EUlibE_EEviT1_
	.p2align	8
	.type	_ZN2at6native32elementwise_kernel_manual_unrollILi128ELi4EZNS0_15gpu_kernel_implIZZZNS0_12_GLOBAL__N_121bessel_y1_kernel_cudaERNS_18TensorIteratorBaseEENKUlvE_clEvENKUlvE0_clEvEUlfE_EEvS5_RKT_EUlibE_EEviT1_,@function
_ZN2at6native32elementwise_kernel_manual_unrollILi128ELi4EZNS0_15gpu_kernel_implIZZZNS0_12_GLOBAL__N_121bessel_y1_kernel_cudaERNS_18TensorIteratorBaseEENKUlvE_clEvENKUlvE0_clEvEUlfE_EEvS5_RKT_EUlibE_EEviT1_: ; @_ZN2at6native32elementwise_kernel_manual_unrollILi128ELi4EZNS0_15gpu_kernel_implIZZZNS0_12_GLOBAL__N_121bessel_y1_kernel_cudaERNS_18TensorIteratorBaseEENKUlvE_clEvENKUlvE0_clEvEUlfE_EEvS5_RKT_EUlibE_EEviT1_
; %bb.0:
	v_mov_b32_e32 v1, 0
	s_clause 0x2
	s_load_b32 s44, s[0:1], 0x0
	s_load_b64 s[40:41], s[0:1], 0x18
	s_load_b128 s[36:39], s[0:1], 0x8
	v_lshl_or_b32 v45, s15, 9, v0
	s_mov_b32 s35, 0
	s_mov_b32 s43, 0
	global_load_u16 v43, v1, s[0:1] offset:33
	s_mov_b32 s32, 0
	v_or_b32_e32 v56, 0x180, v45
	s_mov_b32 s0, exec_lo
	s_waitcnt vmcnt(0)
	v_lshrrev_b16 v47, 8, v43
	s_waitcnt lgkmcnt(0)
	v_cmpx_le_i32_e64 s44, v56
	s_xor_b32 s42, exec_lo, s0
	s_cbranch_execz .LBB22_1096
; %bb.1:
	s_mov_b32 s1, -1
	s_mov_b32 s47, 0
	s_mov_b32 s45, 0
	s_mov_b32 s46, exec_lo
	v_cmpx_gt_i32_e64 s44, v45
	s_cbranch_execz .LBB22_267
; %bb.2:
	v_mul_lo_u32 v0, v45, s41
	v_cmp_gt_i16_e32 vcc_lo, 11, v47
	s_delay_alu instid0(VALU_DEP_2) | instskip(SKIP_1) | instid1(VALU_DEP_1)
	v_ashrrev_i32_e32 v1, 31, v0
	v_add_co_u32 v0, s0, s38, v0
	v_add_co_ci_u32_e64 v1, s0, s39, v1, s0
	s_cbranch_vccnz .LBB22_9
; %bb.3:
	v_cmp_lt_i16_e32 vcc_lo, 25, v47
	s_cbranch_vccz .LBB22_20
; %bb.4:
	v_cmp_lt_i16_e32 vcc_lo, 28, v47
	s_cbranch_vccz .LBB22_37
	;; [unrolled: 3-line block ×4, first 2 shown]
; %bb.7:
	v_cmp_eq_u16_e32 vcc_lo, 46, v47
	s_mov_b32 s1, 0
	s_cbranch_vccz .LBB22_42
; %bb.8:
	global_load_b32 v2, v[0:1], off
	s_mov_b32 s0, -1
	s_waitcnt vmcnt(0)
	v_lshlrev_b32_e32 v41, 16, v2
	s_branch .LBB22_44
.LBB22_9:
	s_mov_b32 s0, 0
                                        ; implicit-def: $vgpr41
	s_and_b32 vcc_lo, exec_lo, s1
	s_cbranch_vccnz .LBB22_217
.LBB22_10:
	s_and_not1_b32 vcc_lo, exec_lo, s0
	s_cbranch_vccnz .LBB22_264
.LBB22_11:
                                        ; implicit-def: $vgpr0
	s_mov_b32 s0, exec_lo
	s_waitcnt vmcnt(0)
	s_delay_alu instid0(VALU_DEP_1)
	v_cmpx_ge_f32_e32 0x40a00000, v41
	s_xor_b32 s43, exec_lo, s0
	s_cbranch_execz .LBB22_17
; %bb.12:
	v_mov_b32_e32 v0, 0xff800000
	s_mov_b32 s48, exec_lo
	v_cmpx_neq_f32_e32 0, v41
	s_cbranch_execz .LBB22_16
; %bb.13:
	v_mov_b32_e32 v0, 0x7fc00000
	s_mov_b32 s49, exec_lo
	v_cmpx_nge_f32_e32 0, v41
	s_cbranch_execz .LBB22_15
; %bb.14:
	v_mul_f32_e32 v0, v41, v41
	s_getpc_b64 s[0:1]
	s_add_u32 s0, s0, _Z17bessel_j1_forwardIfET_S0_@rel32@lo+4
	s_addc_u32 s1, s1, _Z17bessel_j1_forwardIfET_S0_@rel32@hi+12
	s_delay_alu instid0(VALU_DEP_1) | instskip(SKIP_1) | instid1(VALU_DEP_2)
	v_fmaak_f32 v1, 0, v0, 0x4414934d
	v_fmaak_f32 v2, 0, v0, 0x4e9695f3
	;; [unrolled: 1-line block ×3, first 2 shown]
	s_delay_alu instid0(VALU_DEP_2) | instskip(NEXT) | instid1(VALU_DEP_2)
	v_fmaak_f32 v2, v0, v2, 0xd316b96b
	v_fmaak_f32 v1, v0, v1, 0x4c8c277d
	s_delay_alu instid0(VALU_DEP_2) | instskip(NEXT) | instid1(VALU_DEP_2)
	v_fmaak_f32 v2, v0, v2, 0x56d04aa6
	v_fmaak_f32 v1, v0, v1, 0x508bc61d
	s_delay_alu instid0(VALU_DEP_2) | instskip(NEXT) | instid1(VALU_DEP_2)
	v_fmaak_f32 v2, v0, v2, 0xd9e700d2
	v_fmaak_f32 v1, v0, v1, 0x5461faf8
	s_delay_alu instid0(VALU_DEP_2) | instskip(NEXT) | instid1(VALU_DEP_2)
	v_fmaak_f32 v2, v0, v2, 0x5c33cd68
	v_fmaak_f32 v1, v0, v1, 0x580d1937
	s_delay_alu instid0(VALU_DEP_2) | instskip(NEXT) | instid1(VALU_DEP_2)
	v_fmaak_f32 v2, v0, v2, 0xdd2cf20b
	v_fmaak_f32 v1, v0, v1, 0x5b741f1e
	s_delay_alu instid0(VALU_DEP_1) | instskip(NEXT) | instid1(VALU_DEP_1)
	v_fmaak_f32 v0, v0, v1, 0x5e5c878d
	v_div_scale_f32 v1, null, v0, v0, v2
	v_div_scale_f32 v5, vcc_lo, v2, v0, v2
	s_delay_alu instid0(VALU_DEP_2) | instskip(SKIP_2) | instid1(VALU_DEP_1)
	v_rcp_f32_e32 v3, v1
	s_waitcnt_depctr 0xfff
	v_fma_f32 v4, -v1, v3, 1.0
	v_fmac_f32_e32 v3, v4, v3
	s_delay_alu instid0(VALU_DEP_1) | instskip(NEXT) | instid1(VALU_DEP_1)
	v_mul_f32_e32 v4, v5, v3
	v_fma_f32 v6, -v1, v4, v5
	s_delay_alu instid0(VALU_DEP_1) | instskip(NEXT) | instid1(VALU_DEP_1)
	v_fmac_f32_e32 v4, v6, v3
	v_fma_f32 v1, -v1, v4, v5
	s_delay_alu instid0(VALU_DEP_1) | instskip(NEXT) | instid1(VALU_DEP_1)
	v_div_fmas_f32 v1, v1, v3, v4
	v_div_fixup_f32 v42, v1, v0, v2
	v_mov_b32_e32 v0, v41
	s_swappc_b64 s[30:31], s[0:1]
	v_div_scale_f32 v1, null, v41, v41, -1.0
	v_cmp_gt_f32_e32 vcc_lo, 0x800000, v41
	v_div_scale_f32 v5, s0, -1.0, v41, -1.0
	s_delay_alu instid0(VALU_DEP_3) | instskip(SKIP_3) | instid1(VALU_DEP_1)
	v_rcp_f32_e32 v3, v1
	v_cndmask_b32_e64 v2, 1.0, 0x4f800000, vcc_lo
	s_waitcnt_depctr 0xfff
	v_fma_f32 v4, -v1, v3, 1.0
	v_dual_mul_f32 v2, v41, v2 :: v_dual_fmac_f32 v3, v4, v3
	s_delay_alu instid0(VALU_DEP_1) | instskip(SKIP_3) | instid1(VALU_DEP_2)
	v_log_f32_e32 v2, v2
	s_waitcnt_depctr 0xfff
	v_mul_f32_e32 v4, 0x3f317217, v2
	v_cmp_gt_f32_e64 s1, 0x7f800000, |v2|
	v_fma_f32 v7, 0x3f317217, v2, -v4
	s_delay_alu instid0(VALU_DEP_1) | instskip(NEXT) | instid1(VALU_DEP_1)
	v_dual_mul_f32 v6, v5, v3 :: v_dual_fmamk_f32 v7, v2, 0x3377d1cf, v7
	v_fma_f32 v8, -v1, v6, v5
	s_delay_alu instid0(VALU_DEP_2) | instskip(NEXT) | instid1(VALU_DEP_2)
	v_add_f32_e32 v4, v4, v7
	v_fmac_f32_e32 v6, v8, v3
	s_delay_alu instid0(VALU_DEP_2) | instskip(NEXT) | instid1(VALU_DEP_2)
	v_cndmask_b32_e64 v2, v2, v4, s1
	v_fma_f32 v1, -v1, v6, v5
	v_cndmask_b32_e64 v4, 0, 0x41b17218, vcc_lo
	s_mov_b32 vcc_lo, s0
	s_delay_alu instid0(VALU_DEP_2) | instskip(NEXT) | instid1(VALU_DEP_2)
	v_div_fmas_f32 v1, v1, v3, v6
	v_sub_f32_e32 v2, v2, v4
	s_delay_alu instid0(VALU_DEP_2) | instskip(NEXT) | instid1(VALU_DEP_1)
	v_div_fixup_f32 v1, v1, v41, -1.0
	v_fmac_f32_e32 v1, v2, v0
	s_delay_alu instid0(VALU_DEP_1) | instskip(NEXT) | instid1(VALU_DEP_1)
	v_mul_f32_e32 v0, 0x3f22f983, v1
	v_fmac_f32_e32 v0, v41, v42
.LBB22_15:
	s_or_b32 exec_lo, exec_lo, s49
.LBB22_16:
	s_delay_alu instid0(SALU_CYCLE_1)
	s_or_b32 exec_lo, exec_lo, s48
                                        ; implicit-def: $vgpr41
.LBB22_17:
	s_and_not1_saveexec_b32 s3, s43
	s_cbranch_execz .LBB22_28
; %bb.18:
	v_add_f32_e32 v0, 0xc016cbe4, v41
                                        ; implicit-def: $vgpr3
                                        ; implicit-def: $vgpr2
	s_delay_alu instid0(VALU_DEP_1) | instskip(SKIP_1) | instid1(VALU_DEP_1)
	v_and_b32_e32 v1, 0x7fffffff, v0
	v_cmp_ngt_f32_e64 s4, 0x48000000, |v0|
	s_and_saveexec_b32 s0, s4
	s_delay_alu instid0(SALU_CYCLE_1)
	s_xor_b32 s5, exec_lo, s0
	s_cbranch_execz .LBB22_21
; %bb.19:
	s_mov_b32 s0, 0x7fffff
	v_mov_b32_e32 v4, 0
	v_and_or_b32 v12, v1, s0, 0x800000
	v_lshrrev_b32_e32 v9, 23, v1
	s_delay_alu instid0(VALU_DEP_2) | instskip(NEXT) | instid1(VALU_DEP_2)
	v_mad_u64_u32 v[2:3], null, 0xfe5163ab, v12, 0
	v_add_nc_u32_e32 v10, 0xffffff88, v9
	s_delay_alu instid0(VALU_DEP_1) | instskip(NEXT) | instid1(VALU_DEP_3)
	v_cmp_lt_u32_e32 vcc_lo, 63, v10
	v_mad_u64_u32 v[5:6], null, 0x3c439041, v12, v[3:4]
	v_cndmask_b32_e64 v11, 0, 0xffffffc0, vcc_lo
	s_delay_alu instid0(VALU_DEP_2) | instskip(NEXT) | instid1(VALU_DEP_2)
	v_mov_b32_e32 v3, v6
	v_add_nc_u32_e32 v11, v11, v10
	s_delay_alu instid0(VALU_DEP_2) | instskip(NEXT) | instid1(VALU_DEP_2)
	v_mad_u64_u32 v[6:7], null, 0xdb629599, v12, v[3:4]
	v_cmp_lt_u32_e64 s0, 31, v11
	s_delay_alu instid0(VALU_DEP_1) | instskip(NEXT) | instid1(VALU_DEP_3)
	v_cndmask_b32_e64 v13, 0, 0xffffffe0, s0
	v_dual_mov_b32 v3, v7 :: v_dual_cndmask_b32 v2, v6, v2
	s_delay_alu instid0(VALU_DEP_2) | instskip(NEXT) | instid1(VALU_DEP_2)
	v_add_nc_u32_e32 v13, v13, v11
	v_mad_u64_u32 v[7:8], null, 0xf534ddc0, v12, v[3:4]
	s_delay_alu instid0(VALU_DEP_2) | instskip(NEXT) | instid1(VALU_DEP_2)
	v_cmp_lt_u32_e64 s1, 31, v13
	v_mov_b32_e32 v3, v8
	s_delay_alu instid0(VALU_DEP_3) | instskip(NEXT) | instid1(VALU_DEP_2)
	v_cndmask_b32_e32 v5, v7, v5, vcc_lo
	v_mad_u64_u32 v[8:9], null, 0xfc2757d1, v12, v[3:4]
	s_delay_alu instid0(VALU_DEP_2) | instskip(NEXT) | instid1(VALU_DEP_2)
	v_cndmask_b32_e64 v2, v5, v2, s0
	v_mov_b32_e32 v3, v9
	s_delay_alu instid0(VALU_DEP_1) | instskip(NEXT) | instid1(VALU_DEP_1)
	v_mad_u64_u32 v[9:10], null, 0x4e441529, v12, v[3:4]
	v_mov_b32_e32 v3, v10
	s_delay_alu instid0(VALU_DEP_1) | instskip(SKIP_1) | instid1(VALU_DEP_1)
	v_mad_u64_u32 v[10:11], null, 0xa2f9836e, v12, v[3:4]
	v_cndmask_b32_e64 v3, 0, 0xffffffe0, s1
	v_dual_cndmask_b32 v4, v9, v7 :: v_dual_add_nc_u32 v3, v3, v13
	s_delay_alu instid0(VALU_DEP_3) | instskip(NEXT) | instid1(VALU_DEP_4)
	v_cndmask_b32_e32 v10, v10, v8, vcc_lo
	v_dual_cndmask_b32 v8, v8, v6 :: v_dual_cndmask_b32 v9, v11, v9
	s_delay_alu instid0(VALU_DEP_3) | instskip(NEXT) | instid1(VALU_DEP_3)
	v_cmp_eq_u32_e64 s2, 0, v3
	v_cndmask_b32_e64 v7, v10, v4, s0
	s_delay_alu instid0(VALU_DEP_3) | instskip(NEXT) | instid1(VALU_DEP_4)
	v_cndmask_b32_e64 v4, v4, v8, s0
	v_cndmask_b32_e64 v9, v9, v10, s0
	v_sub_nc_u32_e32 v10, 32, v3
	v_cndmask_b32_e64 v8, v8, v5, s0
	s_delay_alu instid0(VALU_DEP_3) | instskip(SKIP_1) | instid1(VALU_DEP_3)
	v_cndmask_b32_e64 v9, v9, v7, s1
	v_cndmask_b32_e64 v7, v7, v4, s1
	;; [unrolled: 1-line block ×4, first 2 shown]
	s_delay_alu instid0(VALU_DEP_3) | instskip(NEXT) | instid1(VALU_DEP_3)
	v_alignbit_b32 v11, v9, v7, v10
	v_alignbit_b32 v12, v7, v4, v10
	s_delay_alu instid0(VALU_DEP_3) | instskip(NEXT) | instid1(VALU_DEP_3)
	v_alignbit_b32 v10, v4, v2, v10
	v_cndmask_b32_e64 v3, v11, v9, s2
	s_delay_alu instid0(VALU_DEP_3) | instskip(NEXT) | instid1(VALU_DEP_3)
	v_cndmask_b32_e64 v6, v12, v7, s2
	v_cndmask_b32_e64 v4, v10, v4, s2
	s_delay_alu instid0(VALU_DEP_3) | instskip(NEXT) | instid1(VALU_DEP_3)
	v_bfe_u32 v7, v3, 29, 1
	v_alignbit_b32 v5, v3, v6, 30
	s_delay_alu instid0(VALU_DEP_3) | instskip(SKIP_1) | instid1(VALU_DEP_4)
	v_alignbit_b32 v6, v6, v4, 30
	v_alignbit_b32 v2, v4, v2, 30
	v_sub_nc_u32_e32 v9, 0, v7
	s_delay_alu instid0(VALU_DEP_1) | instskip(SKIP_3) | instid1(VALU_DEP_4)
	v_xor_b32_e32 v8, v5, v9
	v_cmp_ne_u32_e32 vcc_lo, v5, v9
	v_xor_b32_e32 v4, v6, v9
	v_xor_b32_e32 v2, v2, v9
	v_clz_i32_u32_e32 v11, v8
	s_delay_alu instid0(VALU_DEP_1) | instskip(NEXT) | instid1(VALU_DEP_1)
	v_add_nc_u32_e32 v10, 1, v11
	v_cndmask_b32_e32 v5, 33, v10, vcc_lo
	s_delay_alu instid0(VALU_DEP_1) | instskip(NEXT) | instid1(VALU_DEP_1)
	v_sub_nc_u32_e32 v6, 32, v5
	v_alignbit_b32 v8, v8, v4, v6
	v_alignbit_b32 v2, v4, v2, v6
	v_lshrrev_b32_e32 v4, 29, v3
	v_lshrrev_b32_e32 v3, 30, v3
	s_delay_alu instid0(VALU_DEP_3) | instskip(NEXT) | instid1(VALU_DEP_3)
	v_alignbit_b32 v6, v8, v2, 9
	v_lshlrev_b32_e32 v4, 31, v4
	v_alignbit_b32 v8, v5, v8, 9
	s_delay_alu instid0(VALU_DEP_4) | instskip(NEXT) | instid1(VALU_DEP_4)
	v_add_nc_u32_e32 v3, v7, v3
	v_clz_i32_u32_e32 v9, v6
	s_delay_alu instid0(VALU_DEP_3) | instskip(SKIP_1) | instid1(VALU_DEP_3)
	v_or_b32_e32 v8, v8, v4
	v_or_b32_e32 v4, 0x33800000, v4
	v_min_u32_e32 v9, 32, v9
	s_delay_alu instid0(VALU_DEP_3) | instskip(NEXT) | instid1(VALU_DEP_2)
	v_xor_b32_e32 v8, 1.0, v8
	v_sub_nc_u32_e32 v10, 31, v9
	v_add_lshl_u32 v5, v9, v5, 23
	s_delay_alu instid0(VALU_DEP_3) | instskip(NEXT) | instid1(VALU_DEP_3)
	v_mul_f32_e32 v9, 0x3fc90fda, v8
	v_alignbit_b32 v2, v6, v2, v10
	s_delay_alu instid0(VALU_DEP_3) | instskip(NEXT) | instid1(VALU_DEP_3)
	v_sub_nc_u32_e32 v4, v4, v5
	v_fma_f32 v5, 0x3fc90fda, v8, -v9
	s_delay_alu instid0(VALU_DEP_3) | instskip(NEXT) | instid1(VALU_DEP_2)
	v_lshrrev_b32_e32 v2, 9, v2
	v_fmamk_f32 v5, v8, 0x33a22168, v5
	s_delay_alu instid0(VALU_DEP_2) | instskip(NEXT) | instid1(VALU_DEP_1)
	v_or_b32_e32 v2, v4, v2
	v_fmac_f32_e32 v5, 0x3fc90fda, v2
	s_delay_alu instid0(VALU_DEP_1)
	v_add_f32_e32 v2, v9, v5
	s_and_not1_saveexec_b32 s0, s5
	s_branch .LBB22_22
.LBB22_20:
	s_mov_b32 s0, 0
                                        ; implicit-def: $vgpr41
	s_and_b32 vcc_lo, exec_lo, s1
	s_cbranch_vccnz .LBB22_182
	s_branch .LBB22_216
.LBB22_21:
	s_and_not1_saveexec_b32 s0, s5
.LBB22_22:
	v_mul_f32_e64 v2, 0x3f22f983, |v0|
	s_delay_alu instid0(VALU_DEP_1) | instskip(NEXT) | instid1(VALU_DEP_1)
	v_rndne_f32_e32 v3, v2
	v_fma_f32 v2, 0xbfc90fda, v3, |v0|
	s_delay_alu instid0(VALU_DEP_1) | instskip(NEXT) | instid1(VALU_DEP_1)
	v_fmamk_f32 v2, v3, 0xb3a22168, v2
	v_fmamk_f32 v2, v3, 0xa7c234c4, v2
	v_cvt_i32_f32_e32 v3, v3
; %bb.23:
	s_or_b32 exec_lo, exec_lo, s0
                                        ; implicit-def: $vgpr5
                                        ; implicit-def: $vgpr4
	s_and_saveexec_b32 s0, s4
	s_delay_alu instid0(SALU_CYCLE_1)
	s_xor_b32 s4, exec_lo, s0
	s_cbranch_execz .LBB22_25
; %bb.24:
	s_mov_b32 s0, 0x7fffff
	v_mov_b32_e32 v6, 0
	v_and_or_b32 v14, v1, s0, 0x800000
	v_lshrrev_b32_e32 v11, 23, v1
	s_delay_alu instid0(VALU_DEP_2) | instskip(NEXT) | instid1(VALU_DEP_2)
	v_mad_u64_u32 v[4:5], null, 0xfe5163ab, v14, 0
	v_add_nc_u32_e32 v12, 0xffffff88, v11
	s_delay_alu instid0(VALU_DEP_1) | instskip(NEXT) | instid1(VALU_DEP_3)
	v_cmp_lt_u32_e32 vcc_lo, 63, v12
	v_mad_u64_u32 v[7:8], null, 0x3c439041, v14, v[5:6]
	v_cndmask_b32_e64 v13, 0, 0xffffffc0, vcc_lo
	s_delay_alu instid0(VALU_DEP_2) | instskip(NEXT) | instid1(VALU_DEP_2)
	v_mov_b32_e32 v5, v8
	v_add_nc_u32_e32 v13, v13, v12
	s_delay_alu instid0(VALU_DEP_2) | instskip(NEXT) | instid1(VALU_DEP_2)
	v_mad_u64_u32 v[8:9], null, 0xdb629599, v14, v[5:6]
	v_cmp_lt_u32_e64 s0, 31, v13
	s_delay_alu instid0(VALU_DEP_1) | instskip(NEXT) | instid1(VALU_DEP_3)
	v_cndmask_b32_e64 v15, 0, 0xffffffe0, s0
	v_dual_mov_b32 v5, v9 :: v_dual_cndmask_b32 v4, v8, v4
	s_delay_alu instid0(VALU_DEP_2) | instskip(NEXT) | instid1(VALU_DEP_2)
	v_add_nc_u32_e32 v15, v15, v13
	v_mad_u64_u32 v[9:10], null, 0xf534ddc0, v14, v[5:6]
	s_delay_alu instid0(VALU_DEP_2) | instskip(NEXT) | instid1(VALU_DEP_2)
	v_cmp_lt_u32_e64 s1, 31, v15
	v_mov_b32_e32 v5, v10
	s_delay_alu instid0(VALU_DEP_3) | instskip(NEXT) | instid1(VALU_DEP_2)
	v_cndmask_b32_e32 v7, v9, v7, vcc_lo
	v_mad_u64_u32 v[10:11], null, 0xfc2757d1, v14, v[5:6]
	s_delay_alu instid0(VALU_DEP_2) | instskip(NEXT) | instid1(VALU_DEP_2)
	v_cndmask_b32_e64 v4, v7, v4, s0
	v_mov_b32_e32 v5, v11
	s_delay_alu instid0(VALU_DEP_1) | instskip(NEXT) | instid1(VALU_DEP_1)
	v_mad_u64_u32 v[11:12], null, 0x4e441529, v14, v[5:6]
	v_mov_b32_e32 v5, v12
	s_delay_alu instid0(VALU_DEP_1) | instskip(SKIP_1) | instid1(VALU_DEP_1)
	v_mad_u64_u32 v[12:13], null, 0xa2f9836e, v14, v[5:6]
	v_cndmask_b32_e64 v5, 0, 0xffffffe0, s1
	v_dual_cndmask_b32 v6, v11, v9 :: v_dual_add_nc_u32 v5, v5, v15
	s_delay_alu instid0(VALU_DEP_3) | instskip(NEXT) | instid1(VALU_DEP_4)
	v_cndmask_b32_e32 v12, v12, v10, vcc_lo
	v_dual_cndmask_b32 v10, v10, v8 :: v_dual_cndmask_b32 v11, v13, v11
	s_delay_alu instid0(VALU_DEP_3) | instskip(NEXT) | instid1(VALU_DEP_3)
	v_cmp_eq_u32_e64 s2, 0, v5
	v_cndmask_b32_e64 v9, v12, v6, s0
	s_delay_alu instid0(VALU_DEP_3) | instskip(NEXT) | instid1(VALU_DEP_4)
	v_cndmask_b32_e64 v6, v6, v10, s0
	v_cndmask_b32_e64 v11, v11, v12, s0
	v_sub_nc_u32_e32 v12, 32, v5
	v_cndmask_b32_e64 v10, v10, v7, s0
	s_delay_alu instid0(VALU_DEP_3) | instskip(SKIP_1) | instid1(VALU_DEP_3)
	v_cndmask_b32_e64 v11, v11, v9, s1
	v_cndmask_b32_e64 v9, v9, v6, s1
	;; [unrolled: 1-line block ×4, first 2 shown]
	s_delay_alu instid0(VALU_DEP_3) | instskip(NEXT) | instid1(VALU_DEP_3)
	v_alignbit_b32 v13, v11, v9, v12
	v_alignbit_b32 v14, v9, v6, v12
	s_delay_alu instid0(VALU_DEP_3) | instskip(NEXT) | instid1(VALU_DEP_3)
	v_alignbit_b32 v12, v6, v4, v12
	v_cndmask_b32_e64 v5, v13, v11, s2
	s_delay_alu instid0(VALU_DEP_3) | instskip(NEXT) | instid1(VALU_DEP_3)
	v_cndmask_b32_e64 v8, v14, v9, s2
	v_cndmask_b32_e64 v6, v12, v6, s2
	s_delay_alu instid0(VALU_DEP_3) | instskip(NEXT) | instid1(VALU_DEP_3)
	v_bfe_u32 v9, v5, 29, 1
	v_alignbit_b32 v7, v5, v8, 30
	s_delay_alu instid0(VALU_DEP_3) | instskip(SKIP_1) | instid1(VALU_DEP_4)
	v_alignbit_b32 v8, v8, v6, 30
	v_alignbit_b32 v4, v6, v4, 30
	v_sub_nc_u32_e32 v11, 0, v9
	s_delay_alu instid0(VALU_DEP_1) | instskip(SKIP_3) | instid1(VALU_DEP_4)
	v_xor_b32_e32 v10, v7, v11
	v_cmp_ne_u32_e32 vcc_lo, v7, v11
	v_xor_b32_e32 v6, v8, v11
	v_xor_b32_e32 v4, v4, v11
	v_clz_i32_u32_e32 v13, v10
	s_delay_alu instid0(VALU_DEP_1) | instskip(NEXT) | instid1(VALU_DEP_1)
	v_add_nc_u32_e32 v12, 1, v13
	v_cndmask_b32_e32 v7, 33, v12, vcc_lo
	s_delay_alu instid0(VALU_DEP_1) | instskip(NEXT) | instid1(VALU_DEP_1)
	v_sub_nc_u32_e32 v8, 32, v7
	v_alignbit_b32 v10, v10, v6, v8
	v_alignbit_b32 v4, v6, v4, v8
	v_lshrrev_b32_e32 v6, 29, v5
	v_lshrrev_b32_e32 v5, 30, v5
	s_delay_alu instid0(VALU_DEP_3) | instskip(NEXT) | instid1(VALU_DEP_3)
	v_alignbit_b32 v8, v10, v4, 9
	v_lshlrev_b32_e32 v6, 31, v6
	v_alignbit_b32 v10, v7, v10, 9
	s_delay_alu instid0(VALU_DEP_4) | instskip(NEXT) | instid1(VALU_DEP_4)
	v_add_nc_u32_e32 v5, v9, v5
	v_clz_i32_u32_e32 v11, v8
	s_delay_alu instid0(VALU_DEP_3) | instskip(SKIP_1) | instid1(VALU_DEP_3)
	v_or_b32_e32 v10, v10, v6
	v_or_b32_e32 v6, 0x33800000, v6
	v_min_u32_e32 v11, 32, v11
	s_delay_alu instid0(VALU_DEP_3) | instskip(NEXT) | instid1(VALU_DEP_2)
	v_xor_b32_e32 v10, 1.0, v10
	v_sub_nc_u32_e32 v12, 31, v11
	v_add_lshl_u32 v7, v11, v7, 23
	s_delay_alu instid0(VALU_DEP_3) | instskip(NEXT) | instid1(VALU_DEP_3)
	v_mul_f32_e32 v11, 0x3fc90fda, v10
	v_alignbit_b32 v4, v8, v4, v12
	s_delay_alu instid0(VALU_DEP_3) | instskip(NEXT) | instid1(VALU_DEP_3)
	v_sub_nc_u32_e32 v6, v6, v7
	v_fma_f32 v7, 0x3fc90fda, v10, -v11
	s_delay_alu instid0(VALU_DEP_3) | instskip(NEXT) | instid1(VALU_DEP_2)
	v_lshrrev_b32_e32 v4, 9, v4
	v_fmamk_f32 v7, v10, 0x33a22168, v7
	s_delay_alu instid0(VALU_DEP_2) | instskip(NEXT) | instid1(VALU_DEP_1)
	v_or_b32_e32 v4, v6, v4
	v_fmac_f32_e32 v7, 0x3fc90fda, v4
	s_delay_alu instid0(VALU_DEP_1)
	v_add_f32_e32 v4, v11, v7
	s_and_not1_saveexec_b32 s0, s4
	s_cbranch_execnz .LBB22_26
	s_branch .LBB22_27
.LBB22_25:
	s_and_not1_saveexec_b32 s0, s4
.LBB22_26:
	v_mul_f32_e64 v4, 0x3f22f983, |v0|
	s_delay_alu instid0(VALU_DEP_1) | instskip(NEXT) | instid1(VALU_DEP_1)
	v_rndne_f32_e32 v5, v4
	v_fma_f32 v4, 0xbfc90fda, v5, |v0|
	s_delay_alu instid0(VALU_DEP_1) | instskip(NEXT) | instid1(VALU_DEP_1)
	v_fmamk_f32 v4, v5, 0xb3a22168, v4
	v_fmamk_f32 v4, v5, 0xa7c234c4, v4
	v_cvt_i32_f32_e32 v5, v5
.LBB22_27:
	s_or_b32 exec_lo, exec_lo, s0
	v_div_scale_f32 v6, null, v41, v41, 0x40a00000
	v_div_scale_f32 v9, vcc_lo, 0x40a00000, v41, 0x40a00000
	s_mov_b32 s0, 0xb94c1982
	s_delay_alu instid0(VALU_DEP_2)
	v_rcp_f32_e32 v7, v6
	s_mov_b32 s1, 0x37d75334
	v_xor_b32_e32 v1, v1, v0
	v_and_b32_e32 v11, 1, v5
	s_waitcnt_depctr 0xfff
	v_fma_f32 v8, -v6, v7, 1.0
	s_delay_alu instid0(VALU_DEP_1) | instskip(NEXT) | instid1(VALU_DEP_1)
	v_fmac_f32_e32 v7, v8, v7
	v_mul_f32_e32 v8, v9, v7
	s_delay_alu instid0(VALU_DEP_1) | instskip(NEXT) | instid1(VALU_DEP_1)
	v_fma_f32 v10, -v6, v8, v9
	v_fmac_f32_e32 v8, v10, v7
	v_mul_f32_e32 v10, v4, v4
	s_delay_alu instid0(VALU_DEP_2) | instskip(NEXT) | instid1(VALU_DEP_2)
	v_fma_f32 v6, -v6, v8, v9
	v_fmaak_f32 v19, s0, v10, 0x3c0881c4
	v_fmaak_f32 v20, s1, v10, 0xbab64f3b
	s_delay_alu instid0(VALU_DEP_3) | instskip(SKIP_1) | instid1(VALU_DEP_4)
	v_div_fmas_f32 v6, v6, v7, v8
	v_mul_f32_e32 v7, v2, v2
	v_fmaak_f32 v19, v10, v19, 0xbe2aaa9d
	s_delay_alu instid0(VALU_DEP_4) | instskip(NEXT) | instid1(VALU_DEP_4)
	v_fmaak_f32 v20, v10, v20, 0x3d2aabf7
	v_div_fixup_f32 v6, v6, v41, 0x40a00000
	v_and_b32_e32 v8, 1, v3
	v_lshlrev_b32_e32 v3, 30, v3
	v_fmaak_f32 v17, s0, v7, 0x3c0881c4
	s_delay_alu instid0(VALU_DEP_4) | instskip(SKIP_2) | instid1(VALU_DEP_4)
	v_dual_fmaak_f32 v18, s1, v7, 0xbab64f3b :: v_dual_mul_f32 v9, v6, v6
	v_cmp_gt_f32_e64 s0, 0xf800000, v41
	v_cmp_eq_u32_e64 s2, 0, v8
	v_fmaak_f32 v17, v7, v17, 0xbe2aaa9d
	s_delay_alu instid0(VALU_DEP_4) | instskip(SKIP_2) | instid1(VALU_DEP_4)
	v_fmaak_f32 v18, v7, v18, 0x3d2aabf7
	v_fmaak_f32 v13, 0, v9, 0x3a15c4d9
	v_dual_fmaak_f32 v14, 0, v9, 0x3a47c962 :: v_dual_mul_f32 v19, v10, v19
	v_mul_f32_e32 v17, v7, v17
	v_fmaak_f32 v12, 0, v9, 0x3d513fd3
	s_delay_alu instid0(VALU_DEP_4) | instskip(NEXT) | instid1(VALU_DEP_4)
	v_fmaak_f32 v13, v9, v13, 0x3d8cfeeb
	v_dual_fmaak_f32 v14, v9, v14, 0x3d95ca45 :: v_dual_lshlrev_b32 v5, 30, v5
	v_dual_fmaak_f32 v15, 0, v9, 0x42947983 :: v_dual_fmac_f32 v4, v4, v19
	s_delay_alu instid0(VALU_DEP_3) | instskip(NEXT) | instid1(VALU_DEP_3)
	v_fmaak_f32 v13, v9, v13, 0x3f8d754e
	v_fmaak_f32 v14, v9, v14, 0x3f9047f6
	;; [unrolled: 1-line block ×3, first 2 shown]
	s_delay_alu instid0(VALU_DEP_4) | instskip(NEXT) | instid1(VALU_DEP_4)
	v_dual_fmaak_f32 v15, v9, v15, 0x44840e5d :: v_dual_fmac_f32 v2, v2, v17
	v_fmaak_f32 v13, v9, v13, 0x40a25d18
	s_delay_alu instid0(VALU_DEP_4) | instskip(SKIP_1) | instid1(VALU_DEP_4)
	v_fmaak_f32 v14, v9, v14, 0x40a39628
	v_fmaak_f32 v18, v7, v18, 0xbf000004
	;; [unrolled: 1-line block ×6, first 2 shown]
	v_fma_f32 v7, v7, v18, 1.0
	v_fmaak_f32 v15, v9, v15, 0x46156947
	v_fma_f32 v10, v10, v20, 1.0
	v_fmaak_f32 v13, v9, v13, 0x40a6b6ea
	v_fmaak_f32 v14, v9, v14, 0x40a6dd51
	v_cndmask_b32_e64 v2, v7, v2, s2
	v_fmaak_f32 v15, v9, v15, 0x45f9e855
	v_cmp_eq_u32_e64 s2, 0, v11
	v_fma_f32 v13, v9, v13, 1.0
	v_fma_f32 v14, v9, v14, 1.0
	v_and_b32_e32 v3, 0x80000000, v3
	v_fmaak_f32 v15, v9, v15, 0x4530a316
	v_cndmask_b32_e64 v4, -v4, v10, s2
	v_and_b32_e32 v5, 0x80000000, v5
	v_div_scale_f32 v27, vcc_lo, v14, v13, v14
	v_fmaak_f32 v12, v9, v12, 0x4297a5cd
	v_fmaak_f32 v15, v9, v15, 0x43a80bfb
	v_xor3_b32 v1, v1, v3, v2
	v_xor_b32_e32 v4, v5, v4
	s_delay_alu instid0(VALU_DEP_4) | instskip(NEXT) | instid1(VALU_DEP_1)
	v_fmaak_f32 v12, v9, v12, 0x43b763ca
	v_fmaak_f32 v12, v9, v12, 0x4431b6ce
	s_delay_alu instid0(VALU_DEP_1) | instskip(NEXT) | instid1(VALU_DEP_1)
	v_fmaak_f32 v12, v9, v12, 0x44155f56
	v_fmaak_f32 v12, v9, v12, 0x4353b052
	s_delay_alu instid0(VALU_DEP_1) | instskip(SKIP_1) | instid1(VALU_DEP_2)
	v_fmaak_f32 v9, v9, v12, 0x41c9a7fa
	v_div_scale_f32 v12, null, v13, v13, v14
	v_div_scale_f32 v21, null, v15, v15, v9
	s_delay_alu instid0(VALU_DEP_2) | instskip(NEXT) | instid1(VALU_DEP_1)
	v_rcp_f32_e32 v22, v12
	v_rcp_f32_e32 v23, v21
	s_waitcnt_depctr 0xfff
	v_fma_f32 v25, -v12, v22, 1.0
	v_fma_f32 v26, -v21, v23, 1.0
	v_mul_f32_e32 v16, 0x4f800000, v41
	s_delay_alu instid0(VALU_DEP_3) | instskip(SKIP_1) | instid1(VALU_DEP_4)
	v_fmac_f32_e32 v22, v25, v22
	v_div_scale_f32 v25, s1, v9, v15, v9
	v_fmac_f32_e32 v23, v26, v23
	s_delay_alu instid0(VALU_DEP_4) | instskip(NEXT) | instid1(VALU_DEP_2)
	v_cndmask_b32_e64 v16, v41, v16, s0
	v_dual_mul_f32 v17, v27, v22 :: v_dual_mul_f32 v18, v25, v23
	s_delay_alu instid0(VALU_DEP_2) | instskip(NEXT) | instid1(VALU_DEP_1)
	v_sqrt_f32_e32 v24, v16
	v_fma_f32 v20, -v12, v17, v27
	s_delay_alu instid0(VALU_DEP_2) | instskip(NEXT) | instid1(VALU_DEP_2)
	v_fma_f32 v28, -v21, v18, v25
	v_fmac_f32_e32 v17, v20, v22
	s_waitcnt_depctr 0xfff
	v_dual_fmac_f32 v18, v28, v23 :: v_dual_add_nc_u32 v19, -1, v24
	v_fma_f32 v10, -v12, v17, v27
	v_add_nc_u32_e32 v26, 1, v24
	s_delay_alu instid0(VALU_DEP_3) | instskip(NEXT) | instid1(VALU_DEP_4)
	v_fma_f32 v2, -v21, v18, v25
	v_fma_f32 v7, -v19, v24, v16
	s_delay_alu instid0(VALU_DEP_4)
	v_div_fmas_f32 v3, v10, v22, v17
	s_mov_b32 vcc_lo, s1
	v_fma_f32 v8, -v26, v24, v16
	v_div_fmas_f32 v2, v2, v23, v18
	v_cmp_ge_f32_e32 vcc_lo, 0, v7
	v_div_fixup_f32 v3, v3, v13, v14
	s_delay_alu instid0(VALU_DEP_4) | instskip(SKIP_3) | instid1(VALU_DEP_3)
	v_cmp_lt_f32_e64 s1, 0, v8
	v_cndmask_b32_e32 v5, v24, v19, vcc_lo
	v_cmp_class_f32_e64 vcc_lo, v0, 0x1f8
	v_div_fixup_f32 v0, v2, v15, v9
	v_cndmask_b32_e64 v2, v5, v26, s1
	v_cndmask_b32_e32 v4, 0x7fc00000, v4, vcc_lo
	s_delay_alu instid0(VALU_DEP_3) | instskip(SKIP_1) | instid1(VALU_DEP_2)
	v_dual_mul_f32 v0, v6, v0 :: v_dual_cndmask_b32 v1, 0x7fc00000, v1
	v_cmp_class_f32_e64 vcc_lo, v16, 0x260
	v_dual_mul_f32 v5, 0x37800000, v2 :: v_dual_mul_f32 v0, v0, v4
	s_delay_alu instid0(VALU_DEP_1) | instskip(NEXT) | instid1(VALU_DEP_1)
	v_cndmask_b32_e64 v2, v2, v5, s0
	v_dual_fmac_f32 v0, v3, v1 :: v_dual_cndmask_b32 v1, v2, v16
	s_delay_alu instid0(VALU_DEP_1) | instskip(NEXT) | instid1(VALU_DEP_1)
	v_mul_f32_e32 v0, 0x3f4c422a, v0
	v_div_scale_f32 v2, null, v1, v1, v0
	s_delay_alu instid0(VALU_DEP_1) | instskip(SKIP_2) | instid1(VALU_DEP_1)
	v_rcp_f32_e32 v3, v2
	s_waitcnt_depctr 0xfff
	v_fma_f32 v4, -v2, v3, 1.0
	v_fmac_f32_e32 v3, v4, v3
	v_div_scale_f32 v4, vcc_lo, v0, v1, v0
	s_delay_alu instid0(VALU_DEP_1) | instskip(NEXT) | instid1(VALU_DEP_1)
	v_mul_f32_e32 v5, v4, v3
	v_fma_f32 v6, -v2, v5, v4
	s_delay_alu instid0(VALU_DEP_1) | instskip(NEXT) | instid1(VALU_DEP_1)
	v_fmac_f32_e32 v5, v6, v3
	v_fma_f32 v2, -v2, v5, v4
	s_delay_alu instid0(VALU_DEP_1) | instskip(NEXT) | instid1(VALU_DEP_1)
	v_div_fmas_f32 v2, v2, v3, v5
	v_div_fixup_f32 v0, v2, v1, v0
.LBB22_28:
	s_or_b32 exec_lo, exec_lo, s3
	v_mul_lo_u32 v1, v45, s40
	v_and_b32_e32 v4, 0xff, v43
	s_delay_alu instid0(VALU_DEP_1) | instskip(NEXT) | instid1(VALU_DEP_3)
	v_cmp_gt_i16_e32 vcc_lo, 11, v4
	v_ashrrev_i32_e32 v3, 31, v1
	v_add_co_u32 v2, s0, s36, v1
	s_delay_alu instid0(VALU_DEP_1)
	v_add_co_ci_u32_e64 v3, s0, s37, v3, s0
	s_cbranch_vccnz .LBB22_35
; %bb.29:
	v_cmp_lt_i16_e32 vcc_lo, 25, v4
	s_cbranch_vccz .LBB22_38
; %bb.30:
	v_cmp_lt_i16_e32 vcc_lo, 28, v4
	s_cbranch_vccz .LBB22_40
	;; [unrolled: 3-line block ×4, first 2 shown]
; %bb.33:
	v_cmp_eq_u16_e32 vcc_lo, 46, v4
	s_mov_b32 s2, 0
	s_mov_b32 s0, -1
	s_mov_b32 s1, 0
	s_cbranch_vccz .LBB22_48
; %bb.34:
	v_bfe_u32 v1, v0, 16, 1
	v_cmp_o_f32_e32 vcc_lo, v0, v0
	s_mov_b32 s1, -1
	s_mov_b32 s0, 0
	s_delay_alu instid0(VALU_DEP_2) | instskip(NEXT) | instid1(VALU_DEP_1)
	v_add3_u32 v1, v0, v1, 0x7fff
	v_lshrrev_b32_e32 v1, 16, v1
	s_delay_alu instid0(VALU_DEP_1)
	v_cndmask_b32_e32 v1, 0x7fc0, v1, vcc_lo
	global_store_b32 v[2:3], v1, off
	s_branch .LBB22_48
.LBB22_35:
	s_mov_b32 s0, 0
	s_mov_b32 s1, 0
	s_cbranch_execnz .LBB22_117
.LBB22_36:
	s_and_not1_b32 vcc_lo, exec_lo, s1
	s_cbranch_vccnz .LBB22_265
	s_branch .LBB22_155
.LBB22_37:
	s_mov_b32 s0, 0
                                        ; implicit-def: $vgpr41
	s_branch .LBB22_163
.LBB22_38:
	s_mov_b32 s2, -1
	s_mov_b32 s0, 0
	s_mov_b32 s1, 0
	s_branch .LBB22_75
.LBB22_39:
	s_mov_b32 s0, 0
                                        ; implicit-def: $vgpr41
	s_branch .LBB22_158
.LBB22_40:
	s_mov_b32 s2, -1
	s_mov_b32 s0, 0
	s_mov_b32 s1, 0
	s_branch .LBB22_58
.LBB22_41:
	s_mov_b32 s2, -1
	s_mov_b32 s0, 0
	s_mov_b32 s1, 0
	s_branch .LBB22_54
.LBB22_42:
	s_mov_b32 s45, -1
.LBB22_43:
	s_mov_b32 s0, 0
                                        ; implicit-def: $vgpr41
.LBB22_44:
	s_and_b32 vcc_lo, exec_lo, s1
	s_cbranch_vccz .LBB22_157
; %bb.45:
	v_cmp_eq_u16_e32 vcc_lo, 44, v47
	s_cbranch_vccz .LBB22_156
; %bb.46:
	global_load_u8 v2, v[0:1], off
	s_mov_b32 s45, 0
	s_mov_b32 s0, -1
	s_waitcnt vmcnt(0)
	v_lshlrev_b32_e32 v3, 23, v2
	v_cmp_ne_u32_e32 vcc_lo, 0xff, v2
	s_delay_alu instid0(VALU_DEP_2) | instskip(SKIP_1) | instid1(VALU_DEP_2)
	v_cndmask_b32_e32 v3, 0x7f800001, v3, vcc_lo
	v_cmp_ne_u32_e32 vcc_lo, 0, v2
	v_cndmask_b32_e32 v41, 0x400000, v3, vcc_lo
	s_branch .LBB22_157
.LBB22_47:
	s_mov_b32 s2, -1
	s_mov_b32 s0, 0
	s_mov_b32 s1, 0
.LBB22_48:
	s_and_b32 vcc_lo, exec_lo, s2
	s_cbranch_vccz .LBB22_53
; %bb.49:
	v_cmp_eq_u16_e32 vcc_lo, 44, v4
	s_mov_b32 s0, -1
	s_cbranch_vccz .LBB22_53
; %bb.50:
	v_bfe_u32 v5, v0, 23, 8
	v_mov_b32_e32 v1, 0xff
	s_mov_b32 s1, exec_lo
	s_delay_alu instid0(VALU_DEP_2)
	v_cmpx_ne_u32_e32 0xff, v5
; %bb.51:
	v_and_b32_e32 v1, 0x400000, v0
	v_and_or_b32 v5, 0x3fffff, v0, v5
	s_delay_alu instid0(VALU_DEP_2) | instskip(NEXT) | instid1(VALU_DEP_2)
	v_cmp_ne_u32_e32 vcc_lo, 0, v1
	v_cmp_ne_u32_e64 s0, 0, v5
	v_lshrrev_b32_e32 v1, 23, v0
	s_delay_alu instid0(VALU_DEP_2) | instskip(NEXT) | instid1(SALU_CYCLE_1)
	s_and_b32 s0, vcc_lo, s0
	v_cndmask_b32_e64 v5, 0, 1, s0
	s_delay_alu instid0(VALU_DEP_1)
	v_add_nc_u32_e32 v1, v1, v5
; %bb.52:
	s_or_b32 exec_lo, exec_lo, s1
	s_mov_b32 s1, -1
	s_mov_b32 s0, 0
	global_store_b8 v[2:3], v1, off
.LBB22_53:
	s_mov_b32 s2, 0
.LBB22_54:
	s_delay_alu instid0(SALU_CYCLE_1)
	s_and_b32 vcc_lo, exec_lo, s2
	s_cbranch_vccz .LBB22_57
; %bb.55:
	v_cmp_eq_u16_e32 vcc_lo, 29, v4
	s_mov_b32 s0, -1
	s_cbranch_vccz .LBB22_57
; %bb.56:
	v_trunc_f32_e32 v1, v0
	s_mov_b32 s1, -1
	s_mov_b32 s0, 0
	s_mov_b32 s2, 0
	s_delay_alu instid0(VALU_DEP_1) | instskip(NEXT) | instid1(VALU_DEP_1)
	v_mul_f32_e32 v5, 0x2f800000, v1
	v_floor_f32_e32 v5, v5
	s_delay_alu instid0(VALU_DEP_1) | instskip(SKIP_1) | instid1(VALU_DEP_2)
	v_fmamk_f32 v1, v5, 0xcf800000, v1
	v_cvt_u32_f32_e32 v6, v5
	v_cvt_u32_f32_e32 v5, v1
	global_store_b64 v[2:3], v[5:6], off
	s_branch .LBB22_58
.LBB22_57:
	s_mov_b32 s2, 0
.LBB22_58:
	s_delay_alu instid0(SALU_CYCLE_1)
	s_and_b32 vcc_lo, exec_lo, s2
	s_cbranch_vccz .LBB22_74
; %bb.59:
	v_cmp_gt_i16_e32 vcc_lo, 27, v4
	s_mov_b32 s1, -1
	s_cbranch_vccnz .LBB22_65
; %bb.60:
	v_cmp_lt_i16_e32 vcc_lo, 27, v4
	s_cbranch_vccz .LBB22_62
; %bb.61:
	v_cvt_u32_f32_e32 v1, v0
	s_mov_b32 s1, 0
	global_store_b32 v[2:3], v1, off
.LBB22_62:
	s_and_not1_b32 vcc_lo, exec_lo, s1
	s_cbranch_vccnz .LBB22_64
; %bb.63:
	v_cvt_u32_f32_e32 v1, v0
	global_store_b16 v[2:3], v1, off
.LBB22_64:
	s_mov_b32 s1, 0
.LBB22_65:
	s_delay_alu instid0(SALU_CYCLE_1)
	s_and_not1_b32 vcc_lo, exec_lo, s1
	s_cbranch_vccnz .LBB22_73
; %bb.66:
	v_and_b32_e32 v1, 0x7fffffff, v0
	v_mov_b32_e32 v5, 0x80
	s_mov_b32 s1, exec_lo
	s_delay_alu instid0(VALU_DEP_2)
	v_cmpx_gt_u32_e32 0x43800000, v1
	s_cbranch_execz .LBB22_72
; %bb.67:
	v_cmp_lt_u32_e32 vcc_lo, 0x3bffffff, v1
	s_mov_b32 s2, 0
                                        ; implicit-def: $vgpr1
	s_and_saveexec_b32 s3, vcc_lo
	s_delay_alu instid0(SALU_CYCLE_1)
	s_xor_b32 s3, exec_lo, s3
	s_cbranch_execz .LBB22_307
; %bb.68:
	v_bfe_u32 v1, v0, 20, 1
	s_mov_b32 s2, exec_lo
	s_delay_alu instid0(VALU_DEP_1) | instskip(NEXT) | instid1(VALU_DEP_1)
	v_add3_u32 v1, v0, v1, 0x487ffff
	v_lshrrev_b32_e32 v1, 20, v1
	s_or_saveexec_b32 s3, s3
                                        ; implicit-def: $sgpr4
	s_delay_alu instid0(SALU_CYCLE_1)
	s_xor_b32 exec_lo, exec_lo, s3
	s_cbranch_execnz .LBB22_308
.LBB22_69:
	s_or_b32 exec_lo, exec_lo, s3
	v_mov_b32_e32 v5, s4
	s_and_saveexec_b32 s3, s2
.LBB22_70:
	v_lshrrev_b32_e32 v5, 24, v0
	s_delay_alu instid0(VALU_DEP_1)
	v_and_or_b32 v5, 0x80, v5, v1
.LBB22_71:
	s_or_b32 exec_lo, exec_lo, s3
.LBB22_72:
	s_delay_alu instid0(SALU_CYCLE_1)
	s_or_b32 exec_lo, exec_lo, s1
	global_store_b8 v[2:3], v5, off
.LBB22_73:
	s_mov_b32 s1, -1
.LBB22_74:
	s_mov_b32 s2, 0
.LBB22_75:
	s_delay_alu instid0(SALU_CYCLE_1)
	s_and_b32 vcc_lo, exec_lo, s2
	s_cbranch_vccz .LBB22_116
; %bb.76:
	v_cmp_lt_i16_e32 vcc_lo, 22, v4
	s_mov_b32 s2, -1
	s_cbranch_vccz .LBB22_108
; %bb.77:
	v_cmp_gt_i16_e32 vcc_lo, 24, v4
	s_mov_b32 s1, -1
	s_cbranch_vccnz .LBB22_97
; %bb.78:
	v_cmp_lt_i16_e32 vcc_lo, 24, v4
	s_cbranch_vccz .LBB22_86
; %bb.79:
	v_and_b32_e32 v1, 0x7fffffff, v0
	v_mov_b32_e32 v5, 0x80
	s_mov_b32 s1, exec_lo
	s_delay_alu instid0(VALU_DEP_2)
	v_cmpx_gt_u32_e32 0x47800000, v1
	s_cbranch_execz .LBB22_85
; %bb.80:
	v_cmp_lt_u32_e32 vcc_lo, 0x37ffffff, v1
	s_mov_b32 s2, 0
                                        ; implicit-def: $vgpr1
	s_and_saveexec_b32 s3, vcc_lo
	s_delay_alu instid0(SALU_CYCLE_1)
	s_xor_b32 s3, exec_lo, s3
	s_cbranch_execz .LBB22_311
; %bb.81:
	v_bfe_u32 v1, v0, 21, 1
	s_mov_b32 s2, exec_lo
	s_delay_alu instid0(VALU_DEP_1) | instskip(NEXT) | instid1(VALU_DEP_1)
	v_add3_u32 v1, v0, v1, 0x88fffff
	v_lshrrev_b32_e32 v1, 21, v1
	s_or_saveexec_b32 s3, s3
                                        ; implicit-def: $sgpr4
	s_delay_alu instid0(SALU_CYCLE_1)
	s_xor_b32 exec_lo, exec_lo, s3
	s_cbranch_execnz .LBB22_312
.LBB22_82:
	s_or_b32 exec_lo, exec_lo, s3
	v_mov_b32_e32 v5, s4
	s_and_saveexec_b32 s3, s2
.LBB22_83:
	v_lshrrev_b32_e32 v5, 24, v0
	s_delay_alu instid0(VALU_DEP_1)
	v_and_or_b32 v5, 0x80, v5, v1
.LBB22_84:
	s_or_b32 exec_lo, exec_lo, s3
.LBB22_85:
	s_delay_alu instid0(SALU_CYCLE_1)
	s_or_b32 exec_lo, exec_lo, s1
	s_mov_b32 s1, 0
	global_store_b8 v[2:3], v5, off
.LBB22_86:
	s_and_b32 vcc_lo, exec_lo, s1
	s_cbranch_vccz .LBB22_96
; %bb.87:
	v_and_b32_e32 v5, 0x7fffffff, v0
	s_mov_b32 s1, exec_lo
                                        ; implicit-def: $vgpr1
	s_delay_alu instid0(VALU_DEP_1)
	v_cmpx_gt_u32_e32 0x43f00000, v5
	s_xor_b32 s1, exec_lo, s1
	s_cbranch_execz .LBB22_93
; %bb.88:
	s_mov_b32 s2, exec_lo
                                        ; implicit-def: $vgpr1
	v_cmpx_lt_u32_e32 0x3c7fffff, v5
	s_xor_b32 s2, exec_lo, s2
; %bb.89:
	v_bfe_u32 v1, v0, 20, 1
	s_delay_alu instid0(VALU_DEP_1) | instskip(NEXT) | instid1(VALU_DEP_1)
	v_add3_u32 v1, v0, v1, 0x407ffff
	v_and_b32_e32 v5, 0xff00000, v1
	v_lshrrev_b32_e32 v1, 20, v1
	s_delay_alu instid0(VALU_DEP_2) | instskip(NEXT) | instid1(VALU_DEP_2)
	v_cmp_ne_u32_e32 vcc_lo, 0x7f00000, v5
	v_cndmask_b32_e32 v1, 0x7e, v1, vcc_lo
; %bb.90:
	s_and_not1_saveexec_b32 s2, s2
; %bb.91:
	v_add_f32_e64 v1, 0x46800000, |v0|
; %bb.92:
	s_or_b32 exec_lo, exec_lo, s2
                                        ; implicit-def: $vgpr5
.LBB22_93:
	s_and_not1_saveexec_b32 s1, s1
; %bb.94:
	v_mov_b32_e32 v1, 0x7f
	v_cmp_lt_u32_e32 vcc_lo, 0x7f800000, v5
	s_delay_alu instid0(VALU_DEP_2)
	v_cndmask_b32_e32 v1, 0x7e, v1, vcc_lo
; %bb.95:
	s_or_b32 exec_lo, exec_lo, s1
	v_lshrrev_b32_e32 v5, 24, v0
	s_delay_alu instid0(VALU_DEP_1)
	v_and_or_b32 v1, 0x80, v5, v1
	global_store_b8 v[2:3], v1, off
.LBB22_96:
	s_mov_b32 s1, 0
.LBB22_97:
	s_delay_alu instid0(SALU_CYCLE_1)
	s_and_not1_b32 vcc_lo, exec_lo, s1
	s_cbranch_vccnz .LBB22_107
; %bb.98:
	v_and_b32_e32 v5, 0x7fffffff, v0
	s_mov_b32 s1, exec_lo
                                        ; implicit-def: $vgpr1
	s_delay_alu instid0(VALU_DEP_1)
	v_cmpx_gt_u32_e32 0x47800000, v5
	s_xor_b32 s1, exec_lo, s1
	s_cbranch_execz .LBB22_104
; %bb.99:
	s_mov_b32 s2, exec_lo
                                        ; implicit-def: $vgpr1
	v_cmpx_lt_u32_e32 0x387fffff, v5
	s_xor_b32 s2, exec_lo, s2
; %bb.100:
	v_bfe_u32 v1, v0, 21, 1
	s_delay_alu instid0(VALU_DEP_1) | instskip(NEXT) | instid1(VALU_DEP_1)
	v_add3_u32 v1, v0, v1, 0x80fffff
	v_lshrrev_b32_e32 v1, 21, v1
; %bb.101:
	s_and_not1_saveexec_b32 s2, s2
; %bb.102:
	v_add_f32_e64 v1, 0x43000000, |v0|
; %bb.103:
	s_or_b32 exec_lo, exec_lo, s2
                                        ; implicit-def: $vgpr5
.LBB22_104:
	s_and_not1_saveexec_b32 s1, s1
; %bb.105:
	v_mov_b32_e32 v1, 0x7f
	v_cmp_lt_u32_e32 vcc_lo, 0x7f800000, v5
	s_delay_alu instid0(VALU_DEP_2)
	v_cndmask_b32_e32 v1, 0x7c, v1, vcc_lo
; %bb.106:
	s_or_b32 exec_lo, exec_lo, s1
	v_lshrrev_b32_e32 v5, 24, v0
	s_delay_alu instid0(VALU_DEP_1)
	v_and_or_b32 v1, 0x80, v5, v1
	global_store_b8 v[2:3], v1, off
.LBB22_107:
	s_mov_b32 s2, 0
	s_mov_b32 s1, -1
.LBB22_108:
	s_and_not1_b32 vcc_lo, exec_lo, s2
	s_cbranch_vccnz .LBB22_116
; %bb.109:
	v_cmp_lt_i16_e32 vcc_lo, 14, v4
	s_mov_b32 s2, -1
	s_cbranch_vccz .LBB22_113
; %bb.110:
	v_cmp_eq_u16_e32 vcc_lo, 15, v4
	s_mov_b32 s0, -1
	s_cbranch_vccz .LBB22_112
; %bb.111:
	v_bfe_u32 v1, v0, 16, 1
	v_cmp_o_f32_e32 vcc_lo, v0, v0
	s_mov_b32 s1, -1
	s_mov_b32 s0, 0
	s_delay_alu instid0(VALU_DEP_2) | instskip(NEXT) | instid1(VALU_DEP_1)
	v_add3_u32 v1, v0, v1, 0x7fff
	v_lshrrev_b32_e32 v1, 16, v1
	s_delay_alu instid0(VALU_DEP_1)
	v_cndmask_b32_e32 v1, 0x7fc0, v1, vcc_lo
	global_store_b16 v[2:3], v1, off
.LBB22_112:
	s_mov_b32 s2, 0
.LBB22_113:
	s_delay_alu instid0(SALU_CYCLE_1)
	s_and_b32 vcc_lo, exec_lo, s2
	s_cbranch_vccz .LBB22_116
; %bb.114:
	v_cmp_eq_u16_e32 vcc_lo, 11, v4
	s_mov_b32 s0, -1
	s_cbranch_vccz .LBB22_116
; %bb.115:
	v_cmp_neq_f32_e32 vcc_lo, 0, v0
	s_mov_b32 s0, 0
	s_mov_b32 s1, -1
	v_cndmask_b32_e64 v1, 0, 1, vcc_lo
	global_store_b8 v[2:3], v1, off
.LBB22_116:
	s_branch .LBB22_36
.LBB22_117:
	v_cmp_gt_i16_e32 vcc_lo, 5, v4
	s_mov_b32 s1, -1
	s_cbranch_vccnz .LBB22_138
; %bb.118:
	v_cmp_gt_i16_e32 vcc_lo, 8, v4
	s_cbranch_vccnz .LBB22_128
; %bb.119:
	v_cmp_gt_i16_e32 vcc_lo, 9, v4
	s_cbranch_vccnz .LBB22_125
; %bb.120:
	v_cmp_lt_i16_e32 vcc_lo, 9, v4
	s_cbranch_vccz .LBB22_122
; %bb.121:
	v_cvt_f64_f32_e32 v[5:6], v0
	v_mov_b32_e32 v7, 0
	s_mov_b32 s1, 0
	s_delay_alu instid0(VALU_DEP_1)
	v_mov_b32_e32 v8, v7
	global_store_b128 v[2:3], v[5:8], off
.LBB22_122:
	s_and_not1_b32 vcc_lo, exec_lo, s1
	s_cbranch_vccnz .LBB22_124
; %bb.123:
	v_mov_b32_e32 v1, 0
	global_store_b64 v[2:3], v[0:1], off
.LBB22_124:
	s_mov_b32 s1, 0
.LBB22_125:
	s_delay_alu instid0(SALU_CYCLE_1)
	s_and_not1_b32 vcc_lo, exec_lo, s1
	s_cbranch_vccnz .LBB22_127
; %bb.126:
	v_cvt_f16_f32_e32 v1, v0
	s_delay_alu instid0(VALU_DEP_1)
	v_and_b32_e32 v1, 0xffff, v1
	global_store_b32 v[2:3], v1, off
.LBB22_127:
	s_mov_b32 s1, 0
.LBB22_128:
	s_delay_alu instid0(SALU_CYCLE_1)
	s_and_not1_b32 vcc_lo, exec_lo, s1
	s_cbranch_vccnz .LBB22_137
; %bb.129:
	v_cmp_gt_i16_e32 vcc_lo, 6, v4
	s_mov_b32 s1, -1
	s_cbranch_vccnz .LBB22_135
; %bb.130:
	v_cmp_lt_i16_e32 vcc_lo, 6, v4
	s_cbranch_vccz .LBB22_132
; %bb.131:
	v_cvt_f64_f32_e32 v[5:6], v0
	s_mov_b32 s1, 0
	global_store_b64 v[2:3], v[5:6], off
.LBB22_132:
	s_and_not1_b32 vcc_lo, exec_lo, s1
	s_cbranch_vccnz .LBB22_134
; %bb.133:
	global_store_b32 v[2:3], v0, off
.LBB22_134:
	s_mov_b32 s1, 0
.LBB22_135:
	s_delay_alu instid0(SALU_CYCLE_1)
	s_and_not1_b32 vcc_lo, exec_lo, s1
	s_cbranch_vccnz .LBB22_137
; %bb.136:
	v_cvt_f16_f32_e32 v1, v0
	global_store_b16 v[2:3], v1, off
.LBB22_137:
	s_mov_b32 s1, 0
.LBB22_138:
	s_delay_alu instid0(SALU_CYCLE_1)
	s_and_not1_b32 vcc_lo, exec_lo, s1
	s_cbranch_vccnz .LBB22_154
; %bb.139:
	v_cmp_gt_i16_e32 vcc_lo, 2, v4
	s_mov_b32 s1, -1
	s_cbranch_vccnz .LBB22_149
; %bb.140:
	v_cmp_gt_i16_e32 vcc_lo, 3, v4
	s_cbranch_vccnz .LBB22_146
; %bb.141:
	v_cmp_lt_i16_e32 vcc_lo, 3, v4
	s_cbranch_vccz .LBB22_143
; %bb.142:
	v_trunc_f32_e32 v1, v0
	s_mov_b32 s1, 0
	s_delay_alu instid0(VALU_DEP_1) | instskip(NEXT) | instid1(VALU_DEP_1)
	v_mul_f32_e64 v5, 0x2f800000, |v1|
	v_floor_f32_e32 v5, v5
	s_delay_alu instid0(VALU_DEP_1) | instskip(SKIP_2) | instid1(VALU_DEP_3)
	v_fma_f32 v6, 0xcf800000, v5, |v1|
	v_ashrrev_i32_e32 v1, 31, v1
	v_cvt_u32_f32_e32 v5, v5
	v_cvt_u32_f32_e32 v6, v6
	s_delay_alu instid0(VALU_DEP_2) | instskip(NEXT) | instid1(VALU_DEP_2)
	v_xor_b32_e32 v7, v5, v1
	v_xor_b32_e32 v6, v6, v1
	s_delay_alu instid0(VALU_DEP_1) | instskip(NEXT) | instid1(VALU_DEP_3)
	v_sub_co_u32 v5, vcc_lo, v6, v1
	v_sub_co_ci_u32_e32 v6, vcc_lo, v7, v1, vcc_lo
	global_store_b64 v[2:3], v[5:6], off
.LBB22_143:
	s_and_not1_b32 vcc_lo, exec_lo, s1
	s_cbranch_vccnz .LBB22_145
; %bb.144:
	v_cvt_i32_f32_e32 v1, v0
	global_store_b32 v[2:3], v1, off
.LBB22_145:
	s_mov_b32 s1, 0
.LBB22_146:
	s_delay_alu instid0(SALU_CYCLE_1)
	s_and_not1_b32 vcc_lo, exec_lo, s1
	s_cbranch_vccnz .LBB22_148
; %bb.147:
	v_cvt_i32_f32_e32 v1, v0
	global_store_b16 v[2:3], v1, off
.LBB22_148:
	s_mov_b32 s1, 0
.LBB22_149:
	s_delay_alu instid0(SALU_CYCLE_1)
	s_and_not1_b32 vcc_lo, exec_lo, s1
	s_cbranch_vccnz .LBB22_154
; %bb.150:
	v_cmp_lt_i16_e32 vcc_lo, 0, v4
	s_mov_b32 s1, -1
	s_cbranch_vccz .LBB22_152
; %bb.151:
	v_cvt_i32_f32_e32 v1, v0
	s_mov_b32 s1, 0
	global_store_b8 v[2:3], v1, off
.LBB22_152:
	s_and_not1_b32 vcc_lo, exec_lo, s1
	s_cbranch_vccnz .LBB22_154
; %bb.153:
	v_trunc_f32_e32 v0, v0
	s_delay_alu instid0(VALU_DEP_1) | instskip(NEXT) | instid1(VALU_DEP_1)
	v_mul_f32_e64 v1, 0x2f800000, |v0|
	v_floor_f32_e32 v1, v1
	s_delay_alu instid0(VALU_DEP_1) | instskip(SKIP_1) | instid1(VALU_DEP_2)
	v_fma_f32 v1, 0xcf800000, v1, |v0|
	v_ashrrev_i32_e32 v0, 31, v0
	v_cvt_u32_f32_e32 v1, v1
	s_delay_alu instid0(VALU_DEP_1) | instskip(NEXT) | instid1(VALU_DEP_1)
	v_xor_b32_e32 v1, v1, v0
	v_sub_nc_u32_e32 v0, v1, v0
	global_store_b8 v[2:3], v0, off
.LBB22_154:
.LBB22_155:
	v_add_nc_u32_e32 v45, 0x80, v45
	s_mov_b32 s1, -1
	s_branch .LBB22_266
.LBB22_156:
	s_mov_b32 s45, -1
                                        ; implicit-def: $vgpr41
.LBB22_157:
	s_mov_b32 s1, 0
.LBB22_158:
	s_delay_alu instid0(SALU_CYCLE_1)
	s_and_b32 vcc_lo, exec_lo, s1
	s_cbranch_vccz .LBB22_162
; %bb.159:
	v_cmp_eq_u16_e32 vcc_lo, 29, v47
	s_cbranch_vccz .LBB22_161
; %bb.160:
	global_load_b64 v[2:3], v[0:1], off
	s_mov_b32 s0, -1
	s_mov_b32 s45, 0
	s_mov_b32 s1, 0
	s_waitcnt vmcnt(0)
	v_clz_i32_u32_e32 v4, v3
	s_delay_alu instid0(VALU_DEP_1) | instskip(NEXT) | instid1(VALU_DEP_1)
	v_min_u32_e32 v4, 32, v4
	v_lshlrev_b64 v[2:3], v4, v[2:3]
	s_delay_alu instid0(VALU_DEP_1) | instskip(NEXT) | instid1(VALU_DEP_1)
	v_min_u32_e32 v2, 1, v2
	v_or_b32_e32 v2, v3, v2
	v_sub_nc_u32_e32 v3, 32, v4
	s_delay_alu instid0(VALU_DEP_2) | instskip(NEXT) | instid1(VALU_DEP_1)
	v_cvt_f32_u32_e32 v2, v2
	v_ldexp_f32 v41, v2, v3
	s_branch .LBB22_163
.LBB22_161:
	s_mov_b32 s45, -1
                                        ; implicit-def: $vgpr41
.LBB22_162:
	s_mov_b32 s1, 0
.LBB22_163:
	s_delay_alu instid0(SALU_CYCLE_1)
	s_and_b32 vcc_lo, exec_lo, s1
	s_cbranch_vccz .LBB22_181
; %bb.164:
	v_cmp_gt_i16_e32 vcc_lo, 27, v47
	s_cbranch_vccnz .LBB22_167
; %bb.165:
	v_cmp_lt_i16_e32 vcc_lo, 27, v47
	s_cbranch_vccz .LBB22_168
; %bb.166:
	global_load_b32 v2, v[0:1], off
	s_mov_b32 s0, 0
	s_waitcnt vmcnt(0)
	v_cvt_f32_u32_e32 v41, v2
	s_branch .LBB22_169
.LBB22_167:
	s_mov_b32 s0, -1
                                        ; implicit-def: $vgpr41
	s_branch .LBB22_172
.LBB22_168:
	s_mov_b32 s0, -1
                                        ; implicit-def: $vgpr41
.LBB22_169:
	s_delay_alu instid0(SALU_CYCLE_1)
	s_and_not1_b32 vcc_lo, exec_lo, s0
	s_cbranch_vccnz .LBB22_171
; %bb.170:
	global_load_u16 v2, v[0:1], off
	s_waitcnt vmcnt(0)
	v_cvt_f32_u32_e32 v41, v2
.LBB22_171:
	s_mov_b32 s0, 0
.LBB22_172:
	s_delay_alu instid0(SALU_CYCLE_1)
	s_and_not1_b32 vcc_lo, exec_lo, s0
	s_cbranch_vccnz .LBB22_180
; %bb.173:
	global_load_u8 v2, v[0:1], off
	s_mov_b32 s0, 0
	s_mov_b32 s2, exec_lo
                                        ; implicit-def: $sgpr1
	s_waitcnt vmcnt(0)
	v_cmpx_lt_i16_e32 0x7f, v2
	s_xor_b32 s2, exec_lo, s2
	s_cbranch_execz .LBB22_193
; %bb.174:
	s_mov_b32 s0, -1
	s_mov_b32 s3, exec_lo
                                        ; implicit-def: $sgpr1
	v_cmpx_eq_u16_e32 0x80, v2
; %bb.175:
	s_mov_b32 s1, 0x7f800001
	s_xor_b32 s0, exec_lo, -1
; %bb.176:
	s_or_b32 exec_lo, exec_lo, s3
	s_delay_alu instid0(SALU_CYCLE_1)
	s_and_b32 s0, s0, exec_lo
	s_or_saveexec_b32 s2, s2
	v_mov_b32_e32 v41, s1
	s_xor_b32 exec_lo, exec_lo, s2
	s_cbranch_execnz .LBB22_194
.LBB22_177:
	s_or_b32 exec_lo, exec_lo, s2
	s_and_saveexec_b32 s1, s0
	s_cbranch_execz .LBB22_179
.LBB22_178:
	v_and_b32_e32 v3, 0xffff, v2
	v_lshlrev_b32_e32 v2, 24, v2
	s_delay_alu instid0(VALU_DEP_2) | instskip(NEXT) | instid1(VALU_DEP_2)
	v_and_b32_e32 v4, 7, v3
	v_and_b32_e32 v2, 0x80000000, v2
	s_delay_alu instid0(VALU_DEP_2) | instskip(NEXT) | instid1(VALU_DEP_1)
	v_clz_i32_u32_e32 v5, v4
	v_min_u32_e32 v5, 32, v5
	s_delay_alu instid0(VALU_DEP_1) | instskip(SKIP_1) | instid1(VALU_DEP_2)
	v_subrev_nc_u32_e32 v6, 28, v5
	v_sub_nc_u32_e32 v5, 29, v5
	v_lshlrev_b32_e32 v6, v6, v3
	v_bfe_u32 v3, v3, 3, 4
	s_delay_alu instid0(VALU_DEP_2) | instskip(NEXT) | instid1(VALU_DEP_2)
	v_and_b32_e32 v6, 7, v6
	v_cmp_eq_u32_e32 vcc_lo, 0, v3
	s_delay_alu instid0(VALU_DEP_2) | instskip(NEXT) | instid1(VALU_DEP_1)
	v_dual_cndmask_b32 v3, v3, v5 :: v_dual_cndmask_b32 v4, v4, v6
	v_lshl_add_u32 v3, v3, 23, 0x3b800000
	s_delay_alu instid0(VALU_DEP_2) | instskip(NEXT) | instid1(VALU_DEP_1)
	v_lshlrev_b32_e32 v4, 20, v4
	v_or3_b32 v41, v2, v3, v4
.LBB22_179:
	s_or_b32 exec_lo, exec_lo, s1
.LBB22_180:
	s_mov_b32 s0, -1
.LBB22_181:
	s_branch .LBB22_216
.LBB22_182:
	v_cmp_lt_i16_e32 vcc_lo, 22, v47
	s_cbranch_vccz .LBB22_192
; %bb.183:
	v_cmp_gt_i16_e32 vcc_lo, 24, v47
	s_cbranch_vccnz .LBB22_195
; %bb.184:
	v_cmp_lt_i16_e32 vcc_lo, 24, v47
	s_cbranch_vccz .LBB22_196
; %bb.185:
	global_load_u8 v2, v[0:1], off
	s_mov_b32 s0, 0
	s_mov_b32 s2, exec_lo
                                        ; implicit-def: $sgpr1
	s_waitcnt vmcnt(0)
	v_cmpx_lt_i16_e32 0x7f, v2
	s_xor_b32 s2, exec_lo, s2
	s_cbranch_execz .LBB22_208
; %bb.186:
	s_mov_b32 s0, -1
	s_mov_b32 s3, exec_lo
                                        ; implicit-def: $sgpr1
	v_cmpx_eq_u16_e32 0x80, v2
; %bb.187:
	s_mov_b32 s1, 0x7f800001
	s_xor_b32 s0, exec_lo, -1
; %bb.188:
	s_or_b32 exec_lo, exec_lo, s3
	s_delay_alu instid0(SALU_CYCLE_1)
	s_and_b32 s0, s0, exec_lo
	s_or_saveexec_b32 s2, s2
	v_mov_b32_e32 v41, s1
	s_xor_b32 exec_lo, exec_lo, s2
	s_cbranch_execnz .LBB22_209
.LBB22_189:
	s_or_b32 exec_lo, exec_lo, s2
	s_and_saveexec_b32 s1, s0
	s_cbranch_execz .LBB22_191
.LBB22_190:
	v_and_b32_e32 v3, 0xffff, v2
	v_lshlrev_b32_e32 v2, 24, v2
	s_delay_alu instid0(VALU_DEP_2) | instskip(NEXT) | instid1(VALU_DEP_2)
	v_and_b32_e32 v4, 3, v3
	v_and_b32_e32 v2, 0x80000000, v2
	s_delay_alu instid0(VALU_DEP_2) | instskip(NEXT) | instid1(VALU_DEP_1)
	v_clz_i32_u32_e32 v5, v4
	v_min_u32_e32 v5, 32, v5
	s_delay_alu instid0(VALU_DEP_1) | instskip(SKIP_1) | instid1(VALU_DEP_2)
	v_subrev_nc_u32_e32 v6, 29, v5
	v_sub_nc_u32_e32 v5, 30, v5
	v_lshlrev_b32_e32 v6, v6, v3
	v_bfe_u32 v3, v3, 2, 5
	s_delay_alu instid0(VALU_DEP_2) | instskip(NEXT) | instid1(VALU_DEP_2)
	v_and_b32_e32 v6, 3, v6
	v_cmp_eq_u32_e32 vcc_lo, 0, v3
	s_delay_alu instid0(VALU_DEP_2) | instskip(NEXT) | instid1(VALU_DEP_1)
	v_dual_cndmask_b32 v3, v3, v5 :: v_dual_cndmask_b32 v4, v4, v6
	v_lshl_add_u32 v3, v3, 23, 0x37800000
	s_delay_alu instid0(VALU_DEP_2) | instskip(NEXT) | instid1(VALU_DEP_1)
	v_lshlrev_b32_e32 v4, 21, v4
	v_or3_b32 v41, v2, v3, v4
.LBB22_191:
	s_or_b32 exec_lo, exec_lo, s1
	s_mov_b32 s0, 0
	s_branch .LBB22_197
.LBB22_192:
	s_mov_b32 s1, -1
                                        ; implicit-def: $vgpr41
	s_branch .LBB22_203
.LBB22_193:
	s_or_saveexec_b32 s2, s2
	v_mov_b32_e32 v41, s1
	s_xor_b32 exec_lo, exec_lo, s2
	s_cbranch_execz .LBB22_177
.LBB22_194:
	v_cmp_ne_u16_e32 vcc_lo, 0, v2
	v_mov_b32_e32 v41, 0
	s_and_not1_b32 s0, s0, exec_lo
	s_and_b32 s1, vcc_lo, exec_lo
	s_delay_alu instid0(SALU_CYCLE_1)
	s_or_b32 s0, s0, s1
	s_or_b32 exec_lo, exec_lo, s2
	s_and_saveexec_b32 s1, s0
	s_cbranch_execnz .LBB22_178
	s_branch .LBB22_179
.LBB22_195:
	s_mov_b32 s0, -1
                                        ; implicit-def: $vgpr41
	s_branch .LBB22_200
.LBB22_196:
	s_mov_b32 s0, -1
                                        ; implicit-def: $vgpr41
.LBB22_197:
	s_delay_alu instid0(SALU_CYCLE_1)
	s_and_b32 vcc_lo, exec_lo, s0
	s_cbranch_vccz .LBB22_199
; %bb.198:
	global_load_u8 v2, v[0:1], off
	s_waitcnt vmcnt(0)
	v_lshlrev_b32_e32 v2, 24, v2
	s_delay_alu instid0(VALU_DEP_1) | instskip(NEXT) | instid1(VALU_DEP_1)
	v_and_b32_e32 v3, 0x7f000000, v2
	v_clz_i32_u32_e32 v4, v3
	v_add_nc_u32_e32 v6, 0x1000000, v3
	v_cmp_ne_u32_e32 vcc_lo, 0, v3
	s_delay_alu instid0(VALU_DEP_3) | instskip(NEXT) | instid1(VALU_DEP_1)
	v_min_u32_e32 v4, 32, v4
	v_sub_nc_u32_e64 v4, v4, 4 clamp
	s_delay_alu instid0(VALU_DEP_1) | instskip(SKIP_1) | instid1(VALU_DEP_2)
	v_lshlrev_b32_e32 v5, v4, v3
	v_lshlrev_b32_e32 v4, 23, v4
	v_lshrrev_b32_e32 v5, 4, v5
	s_delay_alu instid0(VALU_DEP_1) | instskip(SKIP_1) | instid1(VALU_DEP_2)
	v_sub_nc_u32_e32 v4, v5, v4
	v_ashrrev_i32_e32 v5, 8, v6
	v_add_nc_u32_e32 v4, 0x3c000000, v4
	s_delay_alu instid0(VALU_DEP_1) | instskip(NEXT) | instid1(VALU_DEP_1)
	v_and_or_b32 v4, 0x7f800000, v5, v4
	v_cndmask_b32_e32 v3, 0, v4, vcc_lo
	s_delay_alu instid0(VALU_DEP_1)
	v_and_or_b32 v41, 0x80000000, v2, v3
.LBB22_199:
	s_mov_b32 s0, 0
.LBB22_200:
	s_delay_alu instid0(SALU_CYCLE_1)
	s_and_not1_b32 vcc_lo, exec_lo, s0
	s_cbranch_vccnz .LBB22_202
; %bb.201:
	global_load_u8 v2, v[0:1], off
	s_waitcnt vmcnt(0)
	v_lshlrev_b32_e32 v3, 25, v2
	v_lshlrev_b16 v2, 8, v2
	s_delay_alu instid0(VALU_DEP_2) | instskip(NEXT) | instid1(VALU_DEP_2)
	v_lshrrev_b32_e32 v4, 4, v3
	v_and_or_b32 v5, 0x7f00, v2, 0.5
	v_bfe_i32 v2, v2, 0, 16
	s_delay_alu instid0(VALU_DEP_3) | instskip(NEXT) | instid1(VALU_DEP_1)
	v_or_b32_e32 v4, 0x70000000, v4
	v_dual_add_f32 v5, -0.5, v5 :: v_dual_mul_f32 v4, 0x7800000, v4
	v_cmp_gt_u32_e32 vcc_lo, 0x8000000, v3
	s_delay_alu instid0(VALU_DEP_2) | instskip(NEXT) | instid1(VALU_DEP_1)
	v_cndmask_b32_e32 v3, v4, v5, vcc_lo
	v_and_or_b32 v41, 0x80000000, v2, v3
.LBB22_202:
	s_mov_b32 s1, 0
	s_mov_b32 s0, -1
.LBB22_203:
	s_and_not1_b32 vcc_lo, exec_lo, s1
	s_cbranch_vccnz .LBB22_216
; %bb.204:
	v_cmp_lt_i16_e32 vcc_lo, 14, v47
	s_cbranch_vccz .LBB22_207
; %bb.205:
	v_cmp_eq_u16_e32 vcc_lo, 15, v47
	s_cbranch_vccz .LBB22_210
; %bb.206:
	global_load_u16 v2, v[0:1], off
	s_mov_b32 s0, -1
	s_mov_b32 s45, 0
	s_waitcnt vmcnt(0)
	v_lshlrev_b32_e32 v41, 16, v2
	s_branch .LBB22_211
.LBB22_207:
	s_mov_b32 s1, -1
                                        ; implicit-def: $vgpr41
	s_branch .LBB22_212
.LBB22_208:
	s_or_saveexec_b32 s2, s2
	v_mov_b32_e32 v41, s1
	s_xor_b32 exec_lo, exec_lo, s2
	s_cbranch_execz .LBB22_189
.LBB22_209:
	v_cmp_ne_u16_e32 vcc_lo, 0, v2
	v_mov_b32_e32 v41, 0
	s_and_not1_b32 s0, s0, exec_lo
	s_and_b32 s1, vcc_lo, exec_lo
	s_delay_alu instid0(SALU_CYCLE_1)
	s_or_b32 s0, s0, s1
	s_or_b32 exec_lo, exec_lo, s2
	s_and_saveexec_b32 s1, s0
	s_cbranch_execnz .LBB22_190
	s_branch .LBB22_191
.LBB22_210:
	s_mov_b32 s45, -1
                                        ; implicit-def: $vgpr41
.LBB22_211:
	s_mov_b32 s1, 0
.LBB22_212:
	s_delay_alu instid0(SALU_CYCLE_1)
	s_and_b32 vcc_lo, exec_lo, s1
	s_cbranch_vccz .LBB22_216
; %bb.213:
	v_cmp_eq_u16_e32 vcc_lo, 11, v47
	s_cbranch_vccz .LBB22_215
; %bb.214:
	global_load_u8 v2, v[0:1], off
	s_mov_b32 s45, 0
	s_mov_b32 s0, -1
	s_waitcnt vmcnt(0)
	v_cmp_ne_u16_e32 vcc_lo, 0, v2
	v_cndmask_b32_e64 v41, 0, 1.0, vcc_lo
	s_branch .LBB22_216
.LBB22_215:
	s_mov_b32 s45, -1
                                        ; implicit-def: $vgpr41
.LBB22_216:
	s_branch .LBB22_10
.LBB22_217:
	v_cmp_gt_i16_e32 vcc_lo, 5, v47
	s_cbranch_vccnz .LBB22_222
; %bb.218:
	v_cmp_gt_i16_e32 vcc_lo, 8, v47
	s_cbranch_vccnz .LBB22_223
; %bb.219:
	v_cmp_gt_i16_e32 vcc_lo, 9, v47
	s_cbranch_vccnz .LBB22_224
; %bb.220:
	v_cmp_lt_i16_e32 vcc_lo, 9, v47
	s_cbranch_vccz .LBB22_225
; %bb.221:
	global_load_b64 v[2:3], v[0:1], off
	s_mov_b32 s0, 0
	s_waitcnt vmcnt(0)
	v_cvt_f32_f64_e32 v41, v[2:3]
	s_branch .LBB22_226
.LBB22_222:
                                        ; implicit-def: $vgpr41
	s_branch .LBB22_244
.LBB22_223:
	s_mov_b32 s0, -1
                                        ; implicit-def: $vgpr41
	s_branch .LBB22_232
.LBB22_224:
	s_mov_b32 s0, -1
                                        ; implicit-def: $vgpr41
	s_branch .LBB22_229
.LBB22_225:
	s_mov_b32 s0, -1
                                        ; implicit-def: $vgpr41
.LBB22_226:
	s_delay_alu instid0(SALU_CYCLE_1)
	s_and_not1_b32 vcc_lo, exec_lo, s0
	s_cbranch_vccnz .LBB22_228
; %bb.227:
	global_load_b32 v41, v[0:1], off
.LBB22_228:
	s_mov_b32 s0, 0
.LBB22_229:
	s_delay_alu instid0(SALU_CYCLE_1)
	s_and_not1_b32 vcc_lo, exec_lo, s0
	s_cbranch_vccnz .LBB22_231
; %bb.230:
	global_load_b32 v2, v[0:1], off
	s_waitcnt vmcnt(0)
	v_cvt_f32_f16_e32 v41, v2
.LBB22_231:
	s_mov_b32 s0, 0
.LBB22_232:
	s_delay_alu instid0(SALU_CYCLE_1)
	s_and_not1_b32 vcc_lo, exec_lo, s0
	s_cbranch_vccnz .LBB22_243
; %bb.233:
	v_cmp_gt_i16_e32 vcc_lo, 6, v47
	s_cbranch_vccnz .LBB22_236
; %bb.234:
	v_cmp_lt_i16_e32 vcc_lo, 6, v47
	s_cbranch_vccz .LBB22_237
; %bb.235:
	global_load_b64 v[2:3], v[0:1], off
	s_mov_b32 s0, 0
	s_waitcnt vmcnt(0)
	v_cvt_f32_f64_e32 v41, v[2:3]
	s_branch .LBB22_238
.LBB22_236:
	s_mov_b32 s0, -1
                                        ; implicit-def: $vgpr41
	s_branch .LBB22_241
.LBB22_237:
	s_mov_b32 s0, -1
                                        ; implicit-def: $vgpr41
.LBB22_238:
	s_delay_alu instid0(SALU_CYCLE_1)
	s_and_not1_b32 vcc_lo, exec_lo, s0
	s_cbranch_vccnz .LBB22_240
; %bb.239:
	global_load_b32 v41, v[0:1], off
.LBB22_240:
	s_mov_b32 s0, 0
.LBB22_241:
	s_delay_alu instid0(SALU_CYCLE_1)
	s_and_not1_b32 vcc_lo, exec_lo, s0
	s_cbranch_vccnz .LBB22_243
; %bb.242:
	global_load_u16 v2, v[0:1], off
	s_waitcnt vmcnt(0)
	v_cvt_f32_f16_e32 v41, v2
.LBB22_243:
	s_cbranch_execnz .LBB22_263
.LBB22_244:
	v_cmp_gt_i16_e32 vcc_lo, 2, v47
	s_cbranch_vccnz .LBB22_248
; %bb.245:
	v_cmp_gt_i16_e32 vcc_lo, 3, v47
	s_cbranch_vccnz .LBB22_249
; %bb.246:
	v_cmp_lt_i16_e32 vcc_lo, 3, v47
	s_cbranch_vccz .LBB22_250
; %bb.247:
	global_load_b64 v[2:3], v[0:1], off
	s_mov_b32 s0, 0
	s_waitcnt vmcnt(0)
	v_xor_b32_e32 v4, v2, v3
	v_cls_i32_e32 v5, v3
	s_delay_alu instid0(VALU_DEP_2) | instskip(NEXT) | instid1(VALU_DEP_2)
	v_ashrrev_i32_e32 v4, 31, v4
	v_add_nc_u32_e32 v5, -1, v5
	s_delay_alu instid0(VALU_DEP_2) | instskip(NEXT) | instid1(VALU_DEP_1)
	v_add_nc_u32_e32 v4, 32, v4
	v_min_u32_e32 v4, v5, v4
	s_delay_alu instid0(VALU_DEP_1) | instskip(NEXT) | instid1(VALU_DEP_1)
	v_lshlrev_b64 v[2:3], v4, v[2:3]
	v_min_u32_e32 v2, 1, v2
	s_delay_alu instid0(VALU_DEP_1) | instskip(SKIP_1) | instid1(VALU_DEP_2)
	v_or_b32_e32 v2, v3, v2
	v_sub_nc_u32_e32 v3, 32, v4
	v_cvt_f32_i32_e32 v2, v2
	s_delay_alu instid0(VALU_DEP_1)
	v_ldexp_f32 v41, v2, v3
	s_branch .LBB22_251
.LBB22_248:
	s_mov_b32 s0, -1
                                        ; implicit-def: $vgpr41
	s_branch .LBB22_257
.LBB22_249:
	s_mov_b32 s0, -1
                                        ; implicit-def: $vgpr41
	s_branch .LBB22_254
.LBB22_250:
	s_mov_b32 s0, -1
                                        ; implicit-def: $vgpr41
.LBB22_251:
	s_delay_alu instid0(SALU_CYCLE_1)
	s_and_not1_b32 vcc_lo, exec_lo, s0
	s_cbranch_vccnz .LBB22_253
; %bb.252:
	global_load_b32 v2, v[0:1], off
	s_waitcnt vmcnt(0)
	v_cvt_f32_i32_e32 v41, v2
.LBB22_253:
	s_mov_b32 s0, 0
.LBB22_254:
	s_delay_alu instid0(SALU_CYCLE_1)
	s_and_not1_b32 vcc_lo, exec_lo, s0
	s_cbranch_vccnz .LBB22_256
; %bb.255:
	global_load_i16 v2, v[0:1], off
	s_waitcnt vmcnt(0)
	v_cvt_f32_i32_e32 v41, v2
.LBB22_256:
	s_mov_b32 s0, 0
.LBB22_257:
	s_delay_alu instid0(SALU_CYCLE_1)
	s_and_not1_b32 vcc_lo, exec_lo, s0
	s_cbranch_vccnz .LBB22_263
; %bb.258:
	v_cmp_lt_i16_e32 vcc_lo, 0, v47
	s_mov_b32 s0, 0
	s_cbranch_vccz .LBB22_260
; %bb.259:
	global_load_i8 v2, v[0:1], off
	s_waitcnt vmcnt(0)
	v_cvt_f32_i32_e32 v41, v2
	s_branch .LBB22_261
.LBB22_260:
	s_mov_b32 s0, -1
                                        ; implicit-def: $vgpr41
.LBB22_261:
	s_delay_alu instid0(SALU_CYCLE_1)
	s_and_not1_b32 vcc_lo, exec_lo, s0
	s_cbranch_vccnz .LBB22_263
; %bb.262:
	global_load_u8 v0, v[0:1], off
	s_waitcnt vmcnt(0)
	v_cvt_f32_ubyte0_e32 v41, v0
.LBB22_263:
	s_branch .LBB22_11
.LBB22_264:
	s_mov_b32 s0, 0
.LBB22_265:
	s_mov_b32 s1, 0
                                        ; implicit-def: $vgpr45
.LBB22_266:
	s_and_b32 s43, s0, exec_lo
	s_and_b32 s45, s45, exec_lo
	s_or_not1_b32 s1, s1, exec_lo
.LBB22_267:
	s_or_b32 exec_lo, exec_lo, s46
	s_mov_b32 s2, 0
	s_mov_b32 s0, 0
                                        ; implicit-def: $vgpr0_vgpr1
                                        ; implicit-def: $vgpr41
	s_and_saveexec_b32 s46, s1
	s_cbranch_execz .LBB22_907
; %bb.268:
	s_mov_b32 s3, -1
	s_mov_b32 s47, s45
	s_mov_b32 s48, s43
	s_mov_b32 s49, exec_lo
	v_cmpx_gt_i32_e64 s44, v45
	s_cbranch_execz .LBB22_543
; %bb.269:
	v_mul_lo_u32 v0, v45, s41
	v_cmp_gt_i16_e32 vcc_lo, 11, v47
	s_delay_alu instid0(VALU_DEP_2) | instskip(SKIP_1) | instid1(VALU_DEP_1)
	v_ashrrev_i32_e32 v1, 31, v0
	v_add_co_u32 v0, s0, s38, v0
	v_add_co_ci_u32_e64 v1, s0, s39, v1, s0
	s_cbranch_vccnz .LBB22_276
; %bb.270:
	v_cmp_lt_i16_e32 vcc_lo, 25, v47
	s_cbranch_vccz .LBB22_287
; %bb.271:
	v_cmp_lt_i16_e32 vcc_lo, 28, v47
	s_cbranch_vccz .LBB22_303
	;; [unrolled: 3-line block ×4, first 2 shown]
; %bb.274:
	v_cmp_eq_u16_e32 vcc_lo, 46, v47
	s_mov_b32 s1, 0
	s_cbranch_vccz .LBB22_313
; %bb.275:
	global_load_b32 v2, v[0:1], off
	s_mov_b32 s0, -1
	s_mov_b32 s47, 0
	s_waitcnt vmcnt(0)
	v_lshlrev_b32_e32 v41, 16, v2
	s_branch .LBB22_315
.LBB22_276:
	s_mov_b32 s0, 0
	s_mov_b32 s47, s45
                                        ; implicit-def: $vgpr41
	s_cbranch_execnz .LBB22_492
.LBB22_277:
	s_and_not1_b32 vcc_lo, exec_lo, s0
	s_cbranch_vccnz .LBB22_540
.LBB22_278:
                                        ; implicit-def: $vgpr0
	s_mov_b32 s0, exec_lo
	s_waitcnt vmcnt(0)
	s_delay_alu instid0(VALU_DEP_1)
	v_cmpx_ge_f32_e32 0x40a00000, v41
	s_xor_b32 s48, exec_lo, s0
	s_cbranch_execz .LBB22_284
; %bb.279:
	v_mov_b32_e32 v0, 0xff800000
	s_mov_b32 s50, exec_lo
	v_cmpx_neq_f32_e32 0, v41
	s_cbranch_execz .LBB22_283
; %bb.280:
	v_mov_b32_e32 v0, 0x7fc00000
	s_mov_b32 s51, exec_lo
	v_cmpx_nge_f32_e32 0, v41
	s_cbranch_execz .LBB22_282
; %bb.281:
	v_mul_f32_e32 v0, v41, v41
	s_getpc_b64 s[0:1]
	s_add_u32 s0, s0, _Z17bessel_j1_forwardIfET_S0_@rel32@lo+4
	s_addc_u32 s1, s1, _Z17bessel_j1_forwardIfET_S0_@rel32@hi+12
	s_delay_alu instid0(VALU_DEP_1) | instskip(SKIP_1) | instid1(VALU_DEP_2)
	v_fmaak_f32 v1, 0, v0, 0x4414934d
	v_fmaak_f32 v2, 0, v0, 0x4e9695f3
	v_fmaak_f32 v1, v0, v1, 0x48660b06
	s_delay_alu instid0(VALU_DEP_2) | instskip(NEXT) | instid1(VALU_DEP_2)
	v_fmaak_f32 v2, v0, v2, 0xd316b96b
	v_fmaak_f32 v1, v0, v1, 0x4c8c277d
	s_delay_alu instid0(VALU_DEP_2) | instskip(NEXT) | instid1(VALU_DEP_2)
	v_fmaak_f32 v2, v0, v2, 0x56d04aa6
	v_fmaak_f32 v1, v0, v1, 0x508bc61d
	s_delay_alu instid0(VALU_DEP_2) | instskip(NEXT) | instid1(VALU_DEP_2)
	v_fmaak_f32 v2, v0, v2, 0xd9e700d2
	v_fmaak_f32 v1, v0, v1, 0x5461faf8
	s_delay_alu instid0(VALU_DEP_2) | instskip(NEXT) | instid1(VALU_DEP_2)
	v_fmaak_f32 v2, v0, v2, 0x5c33cd68
	v_fmaak_f32 v1, v0, v1, 0x580d1937
	s_delay_alu instid0(VALU_DEP_2) | instskip(NEXT) | instid1(VALU_DEP_2)
	v_fmaak_f32 v2, v0, v2, 0xdd2cf20b
	v_fmaak_f32 v1, v0, v1, 0x5b741f1e
	s_delay_alu instid0(VALU_DEP_1) | instskip(NEXT) | instid1(VALU_DEP_1)
	v_fmaak_f32 v0, v0, v1, 0x5e5c878d
	v_div_scale_f32 v1, null, v0, v0, v2
	v_div_scale_f32 v5, vcc_lo, v2, v0, v2
	s_delay_alu instid0(VALU_DEP_2) | instskip(SKIP_2) | instid1(VALU_DEP_1)
	v_rcp_f32_e32 v3, v1
	s_waitcnt_depctr 0xfff
	v_fma_f32 v4, -v1, v3, 1.0
	v_fmac_f32_e32 v3, v4, v3
	s_delay_alu instid0(VALU_DEP_1) | instskip(NEXT) | instid1(VALU_DEP_1)
	v_mul_f32_e32 v4, v5, v3
	v_fma_f32 v6, -v1, v4, v5
	s_delay_alu instid0(VALU_DEP_1) | instskip(NEXT) | instid1(VALU_DEP_1)
	v_fmac_f32_e32 v4, v6, v3
	v_fma_f32 v1, -v1, v4, v5
	s_delay_alu instid0(VALU_DEP_1) | instskip(NEXT) | instid1(VALU_DEP_1)
	v_div_fmas_f32 v1, v1, v3, v4
	v_div_fixup_f32 v42, v1, v0, v2
	v_mov_b32_e32 v0, v41
	s_swappc_b64 s[30:31], s[0:1]
	v_div_scale_f32 v1, null, v41, v41, -1.0
	v_cmp_gt_f32_e32 vcc_lo, 0x800000, v41
	v_div_scale_f32 v5, s0, -1.0, v41, -1.0
	s_delay_alu instid0(VALU_DEP_3) | instskip(SKIP_3) | instid1(VALU_DEP_1)
	v_rcp_f32_e32 v3, v1
	v_cndmask_b32_e64 v2, 1.0, 0x4f800000, vcc_lo
	s_waitcnt_depctr 0xfff
	v_fma_f32 v4, -v1, v3, 1.0
	v_dual_mul_f32 v2, v41, v2 :: v_dual_fmac_f32 v3, v4, v3
	s_delay_alu instid0(VALU_DEP_1) | instskip(SKIP_3) | instid1(VALU_DEP_2)
	v_log_f32_e32 v2, v2
	s_waitcnt_depctr 0xfff
	v_mul_f32_e32 v4, 0x3f317217, v2
	v_cmp_gt_f32_e64 s1, 0x7f800000, |v2|
	v_fma_f32 v7, 0x3f317217, v2, -v4
	s_delay_alu instid0(VALU_DEP_1) | instskip(NEXT) | instid1(VALU_DEP_1)
	v_dual_mul_f32 v6, v5, v3 :: v_dual_fmamk_f32 v7, v2, 0x3377d1cf, v7
	v_fma_f32 v8, -v1, v6, v5
	s_delay_alu instid0(VALU_DEP_2) | instskip(NEXT) | instid1(VALU_DEP_2)
	v_add_f32_e32 v4, v4, v7
	v_fmac_f32_e32 v6, v8, v3
	s_delay_alu instid0(VALU_DEP_2) | instskip(NEXT) | instid1(VALU_DEP_2)
	v_cndmask_b32_e64 v2, v2, v4, s1
	v_fma_f32 v1, -v1, v6, v5
	v_cndmask_b32_e64 v4, 0, 0x41b17218, vcc_lo
	s_mov_b32 vcc_lo, s0
	s_delay_alu instid0(VALU_DEP_2) | instskip(NEXT) | instid1(VALU_DEP_2)
	v_div_fmas_f32 v1, v1, v3, v6
	v_sub_f32_e32 v2, v2, v4
	s_delay_alu instid0(VALU_DEP_2) | instskip(NEXT) | instid1(VALU_DEP_1)
	v_div_fixup_f32 v1, v1, v41, -1.0
	v_fmac_f32_e32 v1, v2, v0
	s_delay_alu instid0(VALU_DEP_1) | instskip(NEXT) | instid1(VALU_DEP_1)
	v_mul_f32_e32 v0, 0x3f22f983, v1
	v_fmac_f32_e32 v0, v41, v42
.LBB22_282:
	s_or_b32 exec_lo, exec_lo, s51
.LBB22_283:
	s_delay_alu instid0(SALU_CYCLE_1)
	s_or_b32 exec_lo, exec_lo, s50
                                        ; implicit-def: $vgpr41
.LBB22_284:
	s_and_not1_saveexec_b32 s3, s48
	s_cbranch_execz .LBB22_295
; %bb.285:
	v_add_f32_e32 v0, 0xc016cbe4, v41
                                        ; implicit-def: $vgpr3
                                        ; implicit-def: $vgpr2
	s_delay_alu instid0(VALU_DEP_1) | instskip(SKIP_1) | instid1(VALU_DEP_1)
	v_and_b32_e32 v1, 0x7fffffff, v0
	v_cmp_ngt_f32_e64 s4, 0x48000000, |v0|
	s_and_saveexec_b32 s0, s4
	s_delay_alu instid0(SALU_CYCLE_1)
	s_xor_b32 s5, exec_lo, s0
	s_cbranch_execz .LBB22_288
; %bb.286:
	s_mov_b32 s0, 0x7fffff
	v_mov_b32_e32 v4, 0
	v_and_or_b32 v12, v1, s0, 0x800000
	v_lshrrev_b32_e32 v9, 23, v1
	s_delay_alu instid0(VALU_DEP_2) | instskip(NEXT) | instid1(VALU_DEP_2)
	v_mad_u64_u32 v[2:3], null, 0xfe5163ab, v12, 0
	v_add_nc_u32_e32 v10, 0xffffff88, v9
	s_delay_alu instid0(VALU_DEP_1) | instskip(NEXT) | instid1(VALU_DEP_3)
	v_cmp_lt_u32_e32 vcc_lo, 63, v10
	v_mad_u64_u32 v[5:6], null, 0x3c439041, v12, v[3:4]
	v_cndmask_b32_e64 v11, 0, 0xffffffc0, vcc_lo
	s_delay_alu instid0(VALU_DEP_2) | instskip(NEXT) | instid1(VALU_DEP_2)
	v_mov_b32_e32 v3, v6
	v_add_nc_u32_e32 v11, v11, v10
	s_delay_alu instid0(VALU_DEP_2) | instskip(NEXT) | instid1(VALU_DEP_2)
	v_mad_u64_u32 v[6:7], null, 0xdb629599, v12, v[3:4]
	v_cmp_lt_u32_e64 s0, 31, v11
	s_delay_alu instid0(VALU_DEP_1) | instskip(NEXT) | instid1(VALU_DEP_3)
	v_cndmask_b32_e64 v13, 0, 0xffffffe0, s0
	v_dual_mov_b32 v3, v7 :: v_dual_cndmask_b32 v2, v6, v2
	s_delay_alu instid0(VALU_DEP_2) | instskip(NEXT) | instid1(VALU_DEP_2)
	v_add_nc_u32_e32 v13, v13, v11
	v_mad_u64_u32 v[7:8], null, 0xf534ddc0, v12, v[3:4]
	s_delay_alu instid0(VALU_DEP_2) | instskip(NEXT) | instid1(VALU_DEP_2)
	v_cmp_lt_u32_e64 s1, 31, v13
	v_mov_b32_e32 v3, v8
	s_delay_alu instid0(VALU_DEP_3) | instskip(NEXT) | instid1(VALU_DEP_2)
	v_cndmask_b32_e32 v5, v7, v5, vcc_lo
	v_mad_u64_u32 v[8:9], null, 0xfc2757d1, v12, v[3:4]
	s_delay_alu instid0(VALU_DEP_2) | instskip(NEXT) | instid1(VALU_DEP_2)
	v_cndmask_b32_e64 v2, v5, v2, s0
	v_mov_b32_e32 v3, v9
	s_delay_alu instid0(VALU_DEP_1) | instskip(NEXT) | instid1(VALU_DEP_1)
	v_mad_u64_u32 v[9:10], null, 0x4e441529, v12, v[3:4]
	v_mov_b32_e32 v3, v10
	s_delay_alu instid0(VALU_DEP_1) | instskip(SKIP_1) | instid1(VALU_DEP_1)
	v_mad_u64_u32 v[10:11], null, 0xa2f9836e, v12, v[3:4]
	v_cndmask_b32_e64 v3, 0, 0xffffffe0, s1
	v_dual_cndmask_b32 v4, v9, v7 :: v_dual_add_nc_u32 v3, v3, v13
	s_delay_alu instid0(VALU_DEP_3) | instskip(NEXT) | instid1(VALU_DEP_4)
	v_cndmask_b32_e32 v10, v10, v8, vcc_lo
	v_dual_cndmask_b32 v8, v8, v6 :: v_dual_cndmask_b32 v9, v11, v9
	s_delay_alu instid0(VALU_DEP_3) | instskip(NEXT) | instid1(VALU_DEP_3)
	v_cmp_eq_u32_e64 s2, 0, v3
	v_cndmask_b32_e64 v7, v10, v4, s0
	s_delay_alu instid0(VALU_DEP_3) | instskip(NEXT) | instid1(VALU_DEP_4)
	v_cndmask_b32_e64 v4, v4, v8, s0
	v_cndmask_b32_e64 v9, v9, v10, s0
	v_sub_nc_u32_e32 v10, 32, v3
	v_cndmask_b32_e64 v8, v8, v5, s0
	s_delay_alu instid0(VALU_DEP_3) | instskip(SKIP_1) | instid1(VALU_DEP_3)
	v_cndmask_b32_e64 v9, v9, v7, s1
	v_cndmask_b32_e64 v7, v7, v4, s1
	;; [unrolled: 1-line block ×4, first 2 shown]
	s_delay_alu instid0(VALU_DEP_3) | instskip(NEXT) | instid1(VALU_DEP_3)
	v_alignbit_b32 v11, v9, v7, v10
	v_alignbit_b32 v12, v7, v4, v10
	s_delay_alu instid0(VALU_DEP_3) | instskip(NEXT) | instid1(VALU_DEP_3)
	v_alignbit_b32 v10, v4, v2, v10
	v_cndmask_b32_e64 v3, v11, v9, s2
	s_delay_alu instid0(VALU_DEP_3) | instskip(NEXT) | instid1(VALU_DEP_3)
	v_cndmask_b32_e64 v6, v12, v7, s2
	v_cndmask_b32_e64 v4, v10, v4, s2
	s_delay_alu instid0(VALU_DEP_3) | instskip(NEXT) | instid1(VALU_DEP_3)
	v_bfe_u32 v7, v3, 29, 1
	v_alignbit_b32 v5, v3, v6, 30
	s_delay_alu instid0(VALU_DEP_3) | instskip(SKIP_1) | instid1(VALU_DEP_4)
	v_alignbit_b32 v6, v6, v4, 30
	v_alignbit_b32 v2, v4, v2, 30
	v_sub_nc_u32_e32 v9, 0, v7
	s_delay_alu instid0(VALU_DEP_1) | instskip(SKIP_3) | instid1(VALU_DEP_4)
	v_xor_b32_e32 v8, v5, v9
	v_cmp_ne_u32_e32 vcc_lo, v5, v9
	v_xor_b32_e32 v4, v6, v9
	v_xor_b32_e32 v2, v2, v9
	v_clz_i32_u32_e32 v11, v8
	s_delay_alu instid0(VALU_DEP_1) | instskip(NEXT) | instid1(VALU_DEP_1)
	v_add_nc_u32_e32 v10, 1, v11
	v_cndmask_b32_e32 v5, 33, v10, vcc_lo
	s_delay_alu instid0(VALU_DEP_1) | instskip(NEXT) | instid1(VALU_DEP_1)
	v_sub_nc_u32_e32 v6, 32, v5
	v_alignbit_b32 v8, v8, v4, v6
	v_alignbit_b32 v2, v4, v2, v6
	v_lshrrev_b32_e32 v4, 29, v3
	v_lshrrev_b32_e32 v3, 30, v3
	s_delay_alu instid0(VALU_DEP_3) | instskip(NEXT) | instid1(VALU_DEP_3)
	v_alignbit_b32 v6, v8, v2, 9
	v_lshlrev_b32_e32 v4, 31, v4
	v_alignbit_b32 v8, v5, v8, 9
	s_delay_alu instid0(VALU_DEP_4) | instskip(NEXT) | instid1(VALU_DEP_4)
	v_add_nc_u32_e32 v3, v7, v3
	v_clz_i32_u32_e32 v9, v6
	s_delay_alu instid0(VALU_DEP_3) | instskip(SKIP_1) | instid1(VALU_DEP_3)
	v_or_b32_e32 v8, v8, v4
	v_or_b32_e32 v4, 0x33800000, v4
	v_min_u32_e32 v9, 32, v9
	s_delay_alu instid0(VALU_DEP_3) | instskip(NEXT) | instid1(VALU_DEP_2)
	v_xor_b32_e32 v8, 1.0, v8
	v_sub_nc_u32_e32 v10, 31, v9
	v_add_lshl_u32 v5, v9, v5, 23
	s_delay_alu instid0(VALU_DEP_3) | instskip(NEXT) | instid1(VALU_DEP_3)
	v_mul_f32_e32 v9, 0x3fc90fda, v8
	v_alignbit_b32 v2, v6, v2, v10
	s_delay_alu instid0(VALU_DEP_3) | instskip(NEXT) | instid1(VALU_DEP_3)
	v_sub_nc_u32_e32 v4, v4, v5
	v_fma_f32 v5, 0x3fc90fda, v8, -v9
	s_delay_alu instid0(VALU_DEP_3) | instskip(NEXT) | instid1(VALU_DEP_2)
	v_lshrrev_b32_e32 v2, 9, v2
	v_fmamk_f32 v5, v8, 0x33a22168, v5
	s_delay_alu instid0(VALU_DEP_2) | instskip(NEXT) | instid1(VALU_DEP_1)
	v_or_b32_e32 v2, v4, v2
	v_fmac_f32_e32 v5, 0x3fc90fda, v2
	s_delay_alu instid0(VALU_DEP_1)
	v_add_f32_e32 v2, v9, v5
	s_and_not1_saveexec_b32 s0, s5
	s_branch .LBB22_289
.LBB22_287:
	s_mov_b32 s1, -1
	s_mov_b32 s0, 0
	s_mov_b32 s47, s45
                                        ; implicit-def: $vgpr41
	s_branch .LBB22_456
.LBB22_288:
	s_and_not1_saveexec_b32 s0, s5
.LBB22_289:
	v_mul_f32_e64 v2, 0x3f22f983, |v0|
	s_delay_alu instid0(VALU_DEP_1) | instskip(NEXT) | instid1(VALU_DEP_1)
	v_rndne_f32_e32 v3, v2
	v_fma_f32 v2, 0xbfc90fda, v3, |v0|
	s_delay_alu instid0(VALU_DEP_1) | instskip(NEXT) | instid1(VALU_DEP_1)
	v_fmamk_f32 v2, v3, 0xb3a22168, v2
	v_fmamk_f32 v2, v3, 0xa7c234c4, v2
	v_cvt_i32_f32_e32 v3, v3
; %bb.290:
	s_or_b32 exec_lo, exec_lo, s0
                                        ; implicit-def: $vgpr5
                                        ; implicit-def: $vgpr4
	s_and_saveexec_b32 s0, s4
	s_delay_alu instid0(SALU_CYCLE_1)
	s_xor_b32 s4, exec_lo, s0
	s_cbranch_execz .LBB22_292
; %bb.291:
	s_mov_b32 s0, 0x7fffff
	v_mov_b32_e32 v6, 0
	v_and_or_b32 v14, v1, s0, 0x800000
	v_lshrrev_b32_e32 v11, 23, v1
	s_delay_alu instid0(VALU_DEP_2) | instskip(NEXT) | instid1(VALU_DEP_2)
	v_mad_u64_u32 v[4:5], null, 0xfe5163ab, v14, 0
	v_add_nc_u32_e32 v12, 0xffffff88, v11
	s_delay_alu instid0(VALU_DEP_1) | instskip(NEXT) | instid1(VALU_DEP_3)
	v_cmp_lt_u32_e32 vcc_lo, 63, v12
	v_mad_u64_u32 v[7:8], null, 0x3c439041, v14, v[5:6]
	v_cndmask_b32_e64 v13, 0, 0xffffffc0, vcc_lo
	s_delay_alu instid0(VALU_DEP_2) | instskip(NEXT) | instid1(VALU_DEP_2)
	v_mov_b32_e32 v5, v8
	v_add_nc_u32_e32 v13, v13, v12
	s_delay_alu instid0(VALU_DEP_2) | instskip(NEXT) | instid1(VALU_DEP_2)
	v_mad_u64_u32 v[8:9], null, 0xdb629599, v14, v[5:6]
	v_cmp_lt_u32_e64 s0, 31, v13
	s_delay_alu instid0(VALU_DEP_1) | instskip(NEXT) | instid1(VALU_DEP_3)
	v_cndmask_b32_e64 v15, 0, 0xffffffe0, s0
	v_dual_mov_b32 v5, v9 :: v_dual_cndmask_b32 v4, v8, v4
	s_delay_alu instid0(VALU_DEP_2) | instskip(NEXT) | instid1(VALU_DEP_2)
	v_add_nc_u32_e32 v15, v15, v13
	v_mad_u64_u32 v[9:10], null, 0xf534ddc0, v14, v[5:6]
	s_delay_alu instid0(VALU_DEP_2) | instskip(NEXT) | instid1(VALU_DEP_2)
	v_cmp_lt_u32_e64 s1, 31, v15
	v_mov_b32_e32 v5, v10
	s_delay_alu instid0(VALU_DEP_3) | instskip(NEXT) | instid1(VALU_DEP_2)
	v_cndmask_b32_e32 v7, v9, v7, vcc_lo
	v_mad_u64_u32 v[10:11], null, 0xfc2757d1, v14, v[5:6]
	s_delay_alu instid0(VALU_DEP_2) | instskip(NEXT) | instid1(VALU_DEP_2)
	v_cndmask_b32_e64 v4, v7, v4, s0
	v_mov_b32_e32 v5, v11
	s_delay_alu instid0(VALU_DEP_1) | instskip(NEXT) | instid1(VALU_DEP_1)
	v_mad_u64_u32 v[11:12], null, 0x4e441529, v14, v[5:6]
	v_mov_b32_e32 v5, v12
	s_delay_alu instid0(VALU_DEP_1) | instskip(SKIP_1) | instid1(VALU_DEP_1)
	v_mad_u64_u32 v[12:13], null, 0xa2f9836e, v14, v[5:6]
	v_cndmask_b32_e64 v5, 0, 0xffffffe0, s1
	v_dual_cndmask_b32 v6, v11, v9 :: v_dual_add_nc_u32 v5, v5, v15
	s_delay_alu instid0(VALU_DEP_3) | instskip(NEXT) | instid1(VALU_DEP_4)
	v_cndmask_b32_e32 v12, v12, v10, vcc_lo
	v_dual_cndmask_b32 v10, v10, v8 :: v_dual_cndmask_b32 v11, v13, v11
	s_delay_alu instid0(VALU_DEP_3) | instskip(NEXT) | instid1(VALU_DEP_3)
	v_cmp_eq_u32_e64 s2, 0, v5
	v_cndmask_b32_e64 v9, v12, v6, s0
	s_delay_alu instid0(VALU_DEP_3) | instskip(NEXT) | instid1(VALU_DEP_4)
	v_cndmask_b32_e64 v6, v6, v10, s0
	v_cndmask_b32_e64 v11, v11, v12, s0
	v_sub_nc_u32_e32 v12, 32, v5
	v_cndmask_b32_e64 v10, v10, v7, s0
	s_delay_alu instid0(VALU_DEP_3) | instskip(SKIP_1) | instid1(VALU_DEP_3)
	v_cndmask_b32_e64 v11, v11, v9, s1
	v_cndmask_b32_e64 v9, v9, v6, s1
	v_cndmask_b32_e64 v6, v6, v10, s1
	v_cndmask_b32_e64 v4, v10, v4, s1
	s_delay_alu instid0(VALU_DEP_3) | instskip(NEXT) | instid1(VALU_DEP_3)
	v_alignbit_b32 v13, v11, v9, v12
	v_alignbit_b32 v14, v9, v6, v12
	s_delay_alu instid0(VALU_DEP_3) | instskip(NEXT) | instid1(VALU_DEP_3)
	v_alignbit_b32 v12, v6, v4, v12
	v_cndmask_b32_e64 v5, v13, v11, s2
	s_delay_alu instid0(VALU_DEP_3) | instskip(NEXT) | instid1(VALU_DEP_3)
	v_cndmask_b32_e64 v8, v14, v9, s2
	v_cndmask_b32_e64 v6, v12, v6, s2
	s_delay_alu instid0(VALU_DEP_3) | instskip(NEXT) | instid1(VALU_DEP_3)
	v_bfe_u32 v9, v5, 29, 1
	v_alignbit_b32 v7, v5, v8, 30
	s_delay_alu instid0(VALU_DEP_3) | instskip(SKIP_1) | instid1(VALU_DEP_4)
	v_alignbit_b32 v8, v8, v6, 30
	v_alignbit_b32 v4, v6, v4, 30
	v_sub_nc_u32_e32 v11, 0, v9
	s_delay_alu instid0(VALU_DEP_1) | instskip(SKIP_3) | instid1(VALU_DEP_4)
	v_xor_b32_e32 v10, v7, v11
	v_cmp_ne_u32_e32 vcc_lo, v7, v11
	v_xor_b32_e32 v6, v8, v11
	v_xor_b32_e32 v4, v4, v11
	v_clz_i32_u32_e32 v13, v10
	s_delay_alu instid0(VALU_DEP_1) | instskip(NEXT) | instid1(VALU_DEP_1)
	v_add_nc_u32_e32 v12, 1, v13
	v_cndmask_b32_e32 v7, 33, v12, vcc_lo
	s_delay_alu instid0(VALU_DEP_1) | instskip(NEXT) | instid1(VALU_DEP_1)
	v_sub_nc_u32_e32 v8, 32, v7
	v_alignbit_b32 v10, v10, v6, v8
	v_alignbit_b32 v4, v6, v4, v8
	v_lshrrev_b32_e32 v6, 29, v5
	v_lshrrev_b32_e32 v5, 30, v5
	s_delay_alu instid0(VALU_DEP_3) | instskip(NEXT) | instid1(VALU_DEP_3)
	v_alignbit_b32 v8, v10, v4, 9
	v_lshlrev_b32_e32 v6, 31, v6
	v_alignbit_b32 v10, v7, v10, 9
	s_delay_alu instid0(VALU_DEP_4) | instskip(NEXT) | instid1(VALU_DEP_4)
	v_add_nc_u32_e32 v5, v9, v5
	v_clz_i32_u32_e32 v11, v8
	s_delay_alu instid0(VALU_DEP_3) | instskip(SKIP_1) | instid1(VALU_DEP_3)
	v_or_b32_e32 v10, v10, v6
	v_or_b32_e32 v6, 0x33800000, v6
	v_min_u32_e32 v11, 32, v11
	s_delay_alu instid0(VALU_DEP_3) | instskip(NEXT) | instid1(VALU_DEP_2)
	v_xor_b32_e32 v10, 1.0, v10
	v_sub_nc_u32_e32 v12, 31, v11
	v_add_lshl_u32 v7, v11, v7, 23
	s_delay_alu instid0(VALU_DEP_3) | instskip(NEXT) | instid1(VALU_DEP_3)
	v_mul_f32_e32 v11, 0x3fc90fda, v10
	v_alignbit_b32 v4, v8, v4, v12
	s_delay_alu instid0(VALU_DEP_3) | instskip(NEXT) | instid1(VALU_DEP_3)
	v_sub_nc_u32_e32 v6, v6, v7
	v_fma_f32 v7, 0x3fc90fda, v10, -v11
	s_delay_alu instid0(VALU_DEP_3) | instskip(NEXT) | instid1(VALU_DEP_2)
	v_lshrrev_b32_e32 v4, 9, v4
	v_fmamk_f32 v7, v10, 0x33a22168, v7
	s_delay_alu instid0(VALU_DEP_2) | instskip(NEXT) | instid1(VALU_DEP_1)
	v_or_b32_e32 v4, v6, v4
	v_fmac_f32_e32 v7, 0x3fc90fda, v4
	s_delay_alu instid0(VALU_DEP_1)
	v_add_f32_e32 v4, v11, v7
	s_and_not1_saveexec_b32 s0, s4
	s_cbranch_execnz .LBB22_293
	s_branch .LBB22_294
.LBB22_292:
	s_and_not1_saveexec_b32 s0, s4
.LBB22_293:
	v_mul_f32_e64 v4, 0x3f22f983, |v0|
	s_delay_alu instid0(VALU_DEP_1) | instskip(NEXT) | instid1(VALU_DEP_1)
	v_rndne_f32_e32 v5, v4
	v_fma_f32 v4, 0xbfc90fda, v5, |v0|
	s_delay_alu instid0(VALU_DEP_1) | instskip(NEXT) | instid1(VALU_DEP_1)
	v_fmamk_f32 v4, v5, 0xb3a22168, v4
	v_fmamk_f32 v4, v5, 0xa7c234c4, v4
	v_cvt_i32_f32_e32 v5, v5
.LBB22_294:
	s_or_b32 exec_lo, exec_lo, s0
	v_div_scale_f32 v6, null, v41, v41, 0x40a00000
	v_div_scale_f32 v9, vcc_lo, 0x40a00000, v41, 0x40a00000
	s_mov_b32 s0, 0xb94c1982
	s_delay_alu instid0(VALU_DEP_2)
	v_rcp_f32_e32 v7, v6
	s_mov_b32 s1, 0x37d75334
	v_xor_b32_e32 v1, v1, v0
	v_and_b32_e32 v11, 1, v5
	s_waitcnt_depctr 0xfff
	v_fma_f32 v8, -v6, v7, 1.0
	s_delay_alu instid0(VALU_DEP_1) | instskip(NEXT) | instid1(VALU_DEP_1)
	v_fmac_f32_e32 v7, v8, v7
	v_mul_f32_e32 v8, v9, v7
	s_delay_alu instid0(VALU_DEP_1) | instskip(NEXT) | instid1(VALU_DEP_1)
	v_fma_f32 v10, -v6, v8, v9
	v_fmac_f32_e32 v8, v10, v7
	v_mul_f32_e32 v10, v4, v4
	s_delay_alu instid0(VALU_DEP_2) | instskip(NEXT) | instid1(VALU_DEP_2)
	v_fma_f32 v6, -v6, v8, v9
	v_fmaak_f32 v19, s0, v10, 0x3c0881c4
	v_fmaak_f32 v20, s1, v10, 0xbab64f3b
	s_delay_alu instid0(VALU_DEP_3) | instskip(SKIP_1) | instid1(VALU_DEP_4)
	v_div_fmas_f32 v6, v6, v7, v8
	v_mul_f32_e32 v7, v2, v2
	v_fmaak_f32 v19, v10, v19, 0xbe2aaa9d
	s_delay_alu instid0(VALU_DEP_4) | instskip(NEXT) | instid1(VALU_DEP_4)
	v_fmaak_f32 v20, v10, v20, 0x3d2aabf7
	v_div_fixup_f32 v6, v6, v41, 0x40a00000
	v_and_b32_e32 v8, 1, v3
	v_lshlrev_b32_e32 v3, 30, v3
	v_fmaak_f32 v17, s0, v7, 0x3c0881c4
	s_delay_alu instid0(VALU_DEP_4) | instskip(SKIP_2) | instid1(VALU_DEP_4)
	v_dual_fmaak_f32 v18, s1, v7, 0xbab64f3b :: v_dual_mul_f32 v9, v6, v6
	v_cmp_gt_f32_e64 s0, 0xf800000, v41
	v_cmp_eq_u32_e64 s2, 0, v8
	v_fmaak_f32 v17, v7, v17, 0xbe2aaa9d
	s_delay_alu instid0(VALU_DEP_4) | instskip(SKIP_2) | instid1(VALU_DEP_4)
	v_fmaak_f32 v18, v7, v18, 0x3d2aabf7
	v_fmaak_f32 v13, 0, v9, 0x3a15c4d9
	v_dual_fmaak_f32 v14, 0, v9, 0x3a47c962 :: v_dual_mul_f32 v19, v10, v19
	v_mul_f32_e32 v17, v7, v17
	v_fmaak_f32 v12, 0, v9, 0x3d513fd3
	s_delay_alu instid0(VALU_DEP_4) | instskip(NEXT) | instid1(VALU_DEP_4)
	v_fmaak_f32 v13, v9, v13, 0x3d8cfeeb
	v_dual_fmaak_f32 v14, v9, v14, 0x3d95ca45 :: v_dual_lshlrev_b32 v5, 30, v5
	v_dual_fmaak_f32 v15, 0, v9, 0x42947983 :: v_dual_fmac_f32 v4, v4, v19
	s_delay_alu instid0(VALU_DEP_3) | instskip(NEXT) | instid1(VALU_DEP_3)
	v_fmaak_f32 v13, v9, v13, 0x3f8d754e
	v_fmaak_f32 v14, v9, v14, 0x3f9047f6
	;; [unrolled: 1-line block ×3, first 2 shown]
	s_delay_alu instid0(VALU_DEP_4) | instskip(NEXT) | instid1(VALU_DEP_4)
	v_dual_fmaak_f32 v15, v9, v15, 0x44840e5d :: v_dual_fmac_f32 v2, v2, v17
	v_fmaak_f32 v13, v9, v13, 0x40a25d18
	s_delay_alu instid0(VALU_DEP_4) | instskip(SKIP_1) | instid1(VALU_DEP_4)
	v_fmaak_f32 v14, v9, v14, 0x40a39628
	v_fmaak_f32 v18, v7, v18, 0xbf000004
	;; [unrolled: 1-line block ×6, first 2 shown]
	v_fma_f32 v7, v7, v18, 1.0
	v_fmaak_f32 v15, v9, v15, 0x46156947
	v_fma_f32 v10, v10, v20, 1.0
	v_fmaak_f32 v13, v9, v13, 0x40a6b6ea
	v_fmaak_f32 v14, v9, v14, 0x40a6dd51
	v_cndmask_b32_e64 v2, v7, v2, s2
	v_fmaak_f32 v15, v9, v15, 0x45f9e855
	v_cmp_eq_u32_e64 s2, 0, v11
	v_fma_f32 v13, v9, v13, 1.0
	v_fma_f32 v14, v9, v14, 1.0
	v_and_b32_e32 v3, 0x80000000, v3
	v_fmaak_f32 v15, v9, v15, 0x4530a316
	v_cndmask_b32_e64 v4, -v4, v10, s2
	v_and_b32_e32 v5, 0x80000000, v5
	v_div_scale_f32 v27, vcc_lo, v14, v13, v14
	v_fmaak_f32 v12, v9, v12, 0x4297a5cd
	v_fmaak_f32 v15, v9, v15, 0x43a80bfb
	v_xor3_b32 v1, v1, v3, v2
	v_xor_b32_e32 v4, v5, v4
	s_delay_alu instid0(VALU_DEP_4) | instskip(NEXT) | instid1(VALU_DEP_1)
	v_fmaak_f32 v12, v9, v12, 0x43b763ca
	v_fmaak_f32 v12, v9, v12, 0x4431b6ce
	s_delay_alu instid0(VALU_DEP_1) | instskip(NEXT) | instid1(VALU_DEP_1)
	v_fmaak_f32 v12, v9, v12, 0x44155f56
	v_fmaak_f32 v12, v9, v12, 0x4353b052
	s_delay_alu instid0(VALU_DEP_1) | instskip(SKIP_1) | instid1(VALU_DEP_2)
	v_fmaak_f32 v9, v9, v12, 0x41c9a7fa
	v_div_scale_f32 v12, null, v13, v13, v14
	v_div_scale_f32 v21, null, v15, v15, v9
	s_delay_alu instid0(VALU_DEP_2) | instskip(NEXT) | instid1(VALU_DEP_1)
	v_rcp_f32_e32 v22, v12
	v_rcp_f32_e32 v23, v21
	s_waitcnt_depctr 0xfff
	v_fma_f32 v25, -v12, v22, 1.0
	v_fma_f32 v26, -v21, v23, 1.0
	v_mul_f32_e32 v16, 0x4f800000, v41
	s_delay_alu instid0(VALU_DEP_3) | instskip(SKIP_1) | instid1(VALU_DEP_4)
	v_fmac_f32_e32 v22, v25, v22
	v_div_scale_f32 v25, s1, v9, v15, v9
	v_fmac_f32_e32 v23, v26, v23
	s_delay_alu instid0(VALU_DEP_4) | instskip(NEXT) | instid1(VALU_DEP_2)
	v_cndmask_b32_e64 v16, v41, v16, s0
	v_dual_mul_f32 v17, v27, v22 :: v_dual_mul_f32 v18, v25, v23
	s_delay_alu instid0(VALU_DEP_2) | instskip(NEXT) | instid1(VALU_DEP_1)
	v_sqrt_f32_e32 v24, v16
	v_fma_f32 v20, -v12, v17, v27
	s_delay_alu instid0(VALU_DEP_2) | instskip(NEXT) | instid1(VALU_DEP_2)
	v_fma_f32 v28, -v21, v18, v25
	v_fmac_f32_e32 v17, v20, v22
	s_waitcnt_depctr 0xfff
	v_dual_fmac_f32 v18, v28, v23 :: v_dual_add_nc_u32 v19, -1, v24
	v_fma_f32 v10, -v12, v17, v27
	v_add_nc_u32_e32 v26, 1, v24
	s_delay_alu instid0(VALU_DEP_3) | instskip(NEXT) | instid1(VALU_DEP_4)
	v_fma_f32 v2, -v21, v18, v25
	v_fma_f32 v7, -v19, v24, v16
	s_delay_alu instid0(VALU_DEP_4)
	v_div_fmas_f32 v3, v10, v22, v17
	s_mov_b32 vcc_lo, s1
	v_fma_f32 v8, -v26, v24, v16
	v_div_fmas_f32 v2, v2, v23, v18
	v_cmp_ge_f32_e32 vcc_lo, 0, v7
	v_div_fixup_f32 v3, v3, v13, v14
	s_delay_alu instid0(VALU_DEP_4) | instskip(SKIP_3) | instid1(VALU_DEP_3)
	v_cmp_lt_f32_e64 s1, 0, v8
	v_cndmask_b32_e32 v5, v24, v19, vcc_lo
	v_cmp_class_f32_e64 vcc_lo, v0, 0x1f8
	v_div_fixup_f32 v0, v2, v15, v9
	v_cndmask_b32_e64 v2, v5, v26, s1
	v_cndmask_b32_e32 v4, 0x7fc00000, v4, vcc_lo
	s_delay_alu instid0(VALU_DEP_3) | instskip(SKIP_1) | instid1(VALU_DEP_2)
	v_dual_mul_f32 v0, v6, v0 :: v_dual_cndmask_b32 v1, 0x7fc00000, v1
	v_cmp_class_f32_e64 vcc_lo, v16, 0x260
	v_dual_mul_f32 v5, 0x37800000, v2 :: v_dual_mul_f32 v0, v0, v4
	s_delay_alu instid0(VALU_DEP_1) | instskip(NEXT) | instid1(VALU_DEP_1)
	v_cndmask_b32_e64 v2, v2, v5, s0
	v_dual_fmac_f32 v0, v3, v1 :: v_dual_cndmask_b32 v1, v2, v16
	s_delay_alu instid0(VALU_DEP_1) | instskip(NEXT) | instid1(VALU_DEP_1)
	v_mul_f32_e32 v0, 0x3f4c422a, v0
	v_div_scale_f32 v2, null, v1, v1, v0
	s_delay_alu instid0(VALU_DEP_1) | instskip(SKIP_2) | instid1(VALU_DEP_1)
	v_rcp_f32_e32 v3, v2
	s_waitcnt_depctr 0xfff
	v_fma_f32 v4, -v2, v3, 1.0
	v_fmac_f32_e32 v3, v4, v3
	v_div_scale_f32 v4, vcc_lo, v0, v1, v0
	s_delay_alu instid0(VALU_DEP_1) | instskip(NEXT) | instid1(VALU_DEP_1)
	v_mul_f32_e32 v5, v4, v3
	v_fma_f32 v6, -v2, v5, v4
	s_delay_alu instid0(VALU_DEP_1) | instskip(NEXT) | instid1(VALU_DEP_1)
	v_fmac_f32_e32 v5, v6, v3
	v_fma_f32 v2, -v2, v5, v4
	s_delay_alu instid0(VALU_DEP_1) | instskip(NEXT) | instid1(VALU_DEP_1)
	v_div_fmas_f32 v2, v2, v3, v5
	v_div_fixup_f32 v0, v2, v1, v0
.LBB22_295:
	s_or_b32 exec_lo, exec_lo, s3
	v_mul_lo_u32 v1, v45, s40
	v_and_b32_e32 v4, 0xff, v43
	s_delay_alu instid0(VALU_DEP_1) | instskip(NEXT) | instid1(VALU_DEP_3)
	v_cmp_gt_i16_e32 vcc_lo, 11, v4
	v_ashrrev_i32_e32 v3, 31, v1
	v_add_co_u32 v2, s0, s36, v1
	s_delay_alu instid0(VALU_DEP_1)
	v_add_co_ci_u32_e64 v3, s0, s37, v3, s0
	s_cbranch_vccnz .LBB22_302
; %bb.296:
	v_cmp_lt_i16_e32 vcc_lo, 25, v4
	s_cbranch_vccz .LBB22_304
; %bb.297:
	v_cmp_lt_i16_e32 vcc_lo, 28, v4
	s_cbranch_vccz .LBB22_306
	;; [unrolled: 3-line block ×4, first 2 shown]
; %bb.300:
	v_cmp_eq_u16_e32 vcc_lo, 46, v4
	s_mov_b32 s2, 0
	s_mov_b32 s0, -1
	s_mov_b32 s1, 0
	s_cbranch_vccz .LBB22_319
; %bb.301:
	v_bfe_u32 v1, v0, 16, 1
	v_cmp_o_f32_e32 vcc_lo, v0, v0
	s_mov_b32 s1, -1
	s_mov_b32 s0, 0
	s_delay_alu instid0(VALU_DEP_2) | instskip(NEXT) | instid1(VALU_DEP_1)
	v_add3_u32 v1, v0, v1, 0x7fff
	v_lshrrev_b32_e32 v1, 16, v1
	s_delay_alu instid0(VALU_DEP_1)
	v_cndmask_b32_e32 v1, 0x7fc0, v1, vcc_lo
	global_store_b32 v[2:3], v1, off
	s_branch .LBB22_319
.LBB22_302:
	s_mov_b32 s2, -1
	s_mov_b32 s1, 0
	s_mov_b32 s0, s43
	s_branch .LBB22_388
.LBB22_303:
	s_mov_b32 s1, -1
	s_mov_b32 s0, 0
	s_mov_b32 s47, s45
                                        ; implicit-def: $vgpr41
	s_branch .LBB22_437
.LBB22_304:
	s_mov_b32 s2, -1
	s_mov_b32 s1, 0
	s_mov_b32 s0, s43
	s_branch .LBB22_346
.LBB22_305:
	s_mov_b32 s1, -1
	s_mov_b32 s0, 0
	s_mov_b32 s47, s45
                                        ; implicit-def: $vgpr41
	s_branch .LBB22_432
.LBB22_306:
	s_mov_b32 s2, -1
	s_mov_b32 s1, 0
	s_mov_b32 s0, s43
	s_branch .LBB22_329
.LBB22_307:
	s_or_saveexec_b32 s3, s3
                                        ; implicit-def: $sgpr4
	s_delay_alu instid0(SALU_CYCLE_1)
	s_xor_b32 exec_lo, exec_lo, s3
	s_cbranch_execz .LBB22_69
.LBB22_308:
	v_add_f32_e64 v1, 0x46000000, |v0|
	s_and_not1_b32 s2, s2, exec_lo
	s_mov_b32 s4, 0
	s_delay_alu instid0(VALU_DEP_1) | instskip(NEXT) | instid1(VALU_DEP_1)
	v_and_b32_e32 v1, 0xff, v1
	v_cmp_ne_u32_e32 vcc_lo, 0, v1
	s_and_b32 s5, vcc_lo, exec_lo
	s_delay_alu instid0(SALU_CYCLE_1)
	s_or_b32 s2, s2, s5
	s_or_b32 exec_lo, exec_lo, s3
	v_mov_b32_e32 v5, s4
	s_and_saveexec_b32 s3, s2
	s_cbranch_execnz .LBB22_70
	s_branch .LBB22_71
.LBB22_309:
	s_mov_b32 s1, -1
	s_mov_b32 s0, 0
	s_mov_b32 s47, s45
	s_branch .LBB22_314
.LBB22_310:
	s_mov_b32 s2, -1
	s_mov_b32 s1, 0
	s_mov_b32 s0, s43
	s_branch .LBB22_325
.LBB22_311:
	s_or_saveexec_b32 s3, s3
                                        ; implicit-def: $sgpr4
	s_delay_alu instid0(SALU_CYCLE_1)
	s_xor_b32 exec_lo, exec_lo, s3
	s_cbranch_execz .LBB22_82
.LBB22_312:
	v_add_f32_e64 v1, 0x42800000, |v0|
	s_and_not1_b32 s2, s2, exec_lo
	s_mov_b32 s4, 0
	s_delay_alu instid0(VALU_DEP_1) | instskip(NEXT) | instid1(VALU_DEP_1)
	v_and_b32_e32 v1, 0xff, v1
	v_cmp_ne_u32_e32 vcc_lo, 0, v1
	s_and_b32 s5, vcc_lo, exec_lo
	s_delay_alu instid0(SALU_CYCLE_1)
	s_or_b32 s2, s2, s5
	s_or_b32 exec_lo, exec_lo, s3
	v_mov_b32_e32 v5, s4
	s_and_saveexec_b32 s3, s2
	s_cbranch_execnz .LBB22_83
	s_branch .LBB22_84
.LBB22_313:
	s_mov_b32 s47, -1
	s_mov_b32 s0, 0
.LBB22_314:
                                        ; implicit-def: $vgpr41
.LBB22_315:
	s_and_b32 vcc_lo, exec_lo, s1
	s_cbranch_vccz .LBB22_431
; %bb.316:
	v_cmp_eq_u16_e32 vcc_lo, 44, v47
	s_cbranch_vccz .LBB22_430
; %bb.317:
	global_load_u8 v2, v[0:1], off
	s_mov_b32 s47, 0
	s_mov_b32 s0, -1
	s_waitcnt vmcnt(0)
	v_lshlrev_b32_e32 v3, 23, v2
	v_cmp_ne_u32_e32 vcc_lo, 0xff, v2
	s_delay_alu instid0(VALU_DEP_2) | instskip(SKIP_1) | instid1(VALU_DEP_2)
	v_cndmask_b32_e32 v3, 0x7f800001, v3, vcc_lo
	v_cmp_ne_u32_e32 vcc_lo, 0, v2
	v_cndmask_b32_e32 v41, 0x400000, v3, vcc_lo
	s_branch .LBB22_431
.LBB22_318:
	s_mov_b32 s2, -1
	s_mov_b32 s1, 0
	s_mov_b32 s0, s43
.LBB22_319:
	s_and_b32 vcc_lo, exec_lo, s2
	s_cbranch_vccz .LBB22_324
; %bb.320:
	v_cmp_eq_u16_e32 vcc_lo, 44, v4
	s_mov_b32 s0, -1
	s_cbranch_vccz .LBB22_324
; %bb.321:
	v_bfe_u32 v5, v0, 23, 8
	v_mov_b32_e32 v1, 0xff
	s_mov_b32 s1, exec_lo
	s_delay_alu instid0(VALU_DEP_2)
	v_cmpx_ne_u32_e32 0xff, v5
; %bb.322:
	v_and_b32_e32 v1, 0x400000, v0
	v_and_or_b32 v5, 0x3fffff, v0, v5
	s_delay_alu instid0(VALU_DEP_2) | instskip(NEXT) | instid1(VALU_DEP_2)
	v_cmp_ne_u32_e32 vcc_lo, 0, v1
	v_cmp_ne_u32_e64 s0, 0, v5
	v_lshrrev_b32_e32 v1, 23, v0
	s_delay_alu instid0(VALU_DEP_2) | instskip(NEXT) | instid1(SALU_CYCLE_1)
	s_and_b32 s0, vcc_lo, s0
	v_cndmask_b32_e64 v5, 0, 1, s0
	s_delay_alu instid0(VALU_DEP_1)
	v_add_nc_u32_e32 v1, v1, v5
; %bb.323:
	s_or_b32 exec_lo, exec_lo, s1
	s_mov_b32 s1, -1
	s_mov_b32 s0, 0
	global_store_b8 v[2:3], v1, off
.LBB22_324:
	s_mov_b32 s2, 0
.LBB22_325:
	s_delay_alu instid0(SALU_CYCLE_1)
	s_and_b32 vcc_lo, exec_lo, s2
	s_cbranch_vccz .LBB22_328
; %bb.326:
	v_cmp_eq_u16_e32 vcc_lo, 29, v4
	s_mov_b32 s0, -1
	s_cbranch_vccz .LBB22_328
; %bb.327:
	v_trunc_f32_e32 v1, v0
	s_mov_b32 s1, -1
	s_mov_b32 s0, 0
	s_mov_b32 s2, 0
	s_delay_alu instid0(VALU_DEP_1) | instskip(NEXT) | instid1(VALU_DEP_1)
	v_mul_f32_e32 v5, 0x2f800000, v1
	v_floor_f32_e32 v5, v5
	s_delay_alu instid0(VALU_DEP_1) | instskip(SKIP_1) | instid1(VALU_DEP_2)
	v_fmamk_f32 v1, v5, 0xcf800000, v1
	v_cvt_u32_f32_e32 v6, v5
	v_cvt_u32_f32_e32 v5, v1
	global_store_b64 v[2:3], v[5:6], off
	s_branch .LBB22_329
.LBB22_328:
	s_mov_b32 s2, 0
.LBB22_329:
	s_delay_alu instid0(SALU_CYCLE_1)
	s_and_b32 vcc_lo, exec_lo, s2
	s_cbranch_vccz .LBB22_345
; %bb.330:
	v_cmp_gt_i16_e32 vcc_lo, 27, v4
	s_mov_b32 s1, -1
	s_cbranch_vccnz .LBB22_336
; %bb.331:
	v_cmp_lt_i16_e32 vcc_lo, 27, v4
	s_cbranch_vccz .LBB22_333
; %bb.332:
	v_cvt_u32_f32_e32 v1, v0
	s_mov_b32 s1, 0
	global_store_b32 v[2:3], v1, off
.LBB22_333:
	s_and_not1_b32 vcc_lo, exec_lo, s1
	s_cbranch_vccnz .LBB22_335
; %bb.334:
	v_cvt_u32_f32_e32 v1, v0
	global_store_b16 v[2:3], v1, off
.LBB22_335:
	s_mov_b32 s1, 0
.LBB22_336:
	s_delay_alu instid0(SALU_CYCLE_1)
	s_and_not1_b32 vcc_lo, exec_lo, s1
	s_cbranch_vccnz .LBB22_344
; %bb.337:
	v_and_b32_e32 v1, 0x7fffffff, v0
	v_mov_b32_e32 v5, 0x80
	s_mov_b32 s1, exec_lo
	s_delay_alu instid0(VALU_DEP_2)
	v_cmpx_gt_u32_e32 0x43800000, v1
	s_cbranch_execz .LBB22_343
; %bb.338:
	v_cmp_lt_u32_e32 vcc_lo, 0x3bffffff, v1
	s_mov_b32 s2, 0
                                        ; implicit-def: $vgpr1
	s_and_saveexec_b32 s3, vcc_lo
	s_delay_alu instid0(SALU_CYCLE_1)
	s_xor_b32 s3, exec_lo, s3
	s_cbranch_execz .LBB22_556
; %bb.339:
	v_bfe_u32 v1, v0, 20, 1
	s_mov_b32 s2, exec_lo
	s_delay_alu instid0(VALU_DEP_1) | instskip(NEXT) | instid1(VALU_DEP_1)
	v_add3_u32 v1, v0, v1, 0x487ffff
	v_lshrrev_b32_e32 v1, 20, v1
	s_or_saveexec_b32 s3, s3
                                        ; implicit-def: $sgpr4
	s_delay_alu instid0(SALU_CYCLE_1)
	s_xor_b32 exec_lo, exec_lo, s3
	s_cbranch_execnz .LBB22_557
.LBB22_340:
	s_or_b32 exec_lo, exec_lo, s3
	v_mov_b32_e32 v5, s4
	s_and_saveexec_b32 s3, s2
.LBB22_341:
	v_lshrrev_b32_e32 v5, 24, v0
	s_delay_alu instid0(VALU_DEP_1)
	v_and_or_b32 v5, 0x80, v5, v1
.LBB22_342:
	s_or_b32 exec_lo, exec_lo, s3
.LBB22_343:
	s_delay_alu instid0(SALU_CYCLE_1)
	s_or_b32 exec_lo, exec_lo, s1
	global_store_b8 v[2:3], v5, off
.LBB22_344:
	s_mov_b32 s1, -1
.LBB22_345:
	s_mov_b32 s2, 0
.LBB22_346:
	s_delay_alu instid0(SALU_CYCLE_1)
	s_and_b32 vcc_lo, exec_lo, s2
	s_cbranch_vccz .LBB22_387
; %bb.347:
	v_cmp_lt_i16_e32 vcc_lo, 22, v4
	s_mov_b32 s2, -1
	s_cbranch_vccz .LBB22_379
; %bb.348:
	v_cmp_gt_i16_e32 vcc_lo, 24, v4
	s_mov_b32 s1, -1
	s_cbranch_vccnz .LBB22_368
; %bb.349:
	v_cmp_lt_i16_e32 vcc_lo, 24, v4
	s_cbranch_vccz .LBB22_357
; %bb.350:
	v_and_b32_e32 v1, 0x7fffffff, v0
	v_mov_b32_e32 v5, 0x80
	s_mov_b32 s1, exec_lo
	s_delay_alu instid0(VALU_DEP_2)
	v_cmpx_gt_u32_e32 0x47800000, v1
	s_cbranch_execz .LBB22_356
; %bb.351:
	v_cmp_lt_u32_e32 vcc_lo, 0x37ffffff, v1
	s_mov_b32 s2, 0
                                        ; implicit-def: $vgpr1
	s_and_saveexec_b32 s3, vcc_lo
	s_delay_alu instid0(SALU_CYCLE_1)
	s_xor_b32 s3, exec_lo, s3
	s_cbranch_execz .LBB22_559
; %bb.352:
	v_bfe_u32 v1, v0, 21, 1
	s_mov_b32 s2, exec_lo
	s_delay_alu instid0(VALU_DEP_1) | instskip(NEXT) | instid1(VALU_DEP_1)
	v_add3_u32 v1, v0, v1, 0x88fffff
	v_lshrrev_b32_e32 v1, 21, v1
	s_or_saveexec_b32 s3, s3
                                        ; implicit-def: $sgpr4
	s_delay_alu instid0(SALU_CYCLE_1)
	s_xor_b32 exec_lo, exec_lo, s3
	s_cbranch_execnz .LBB22_560
.LBB22_353:
	s_or_b32 exec_lo, exec_lo, s3
	v_mov_b32_e32 v5, s4
	s_and_saveexec_b32 s3, s2
.LBB22_354:
	v_lshrrev_b32_e32 v5, 24, v0
	s_delay_alu instid0(VALU_DEP_1)
	v_and_or_b32 v5, 0x80, v5, v1
.LBB22_355:
	s_or_b32 exec_lo, exec_lo, s3
.LBB22_356:
	s_delay_alu instid0(SALU_CYCLE_1)
	s_or_b32 exec_lo, exec_lo, s1
	s_mov_b32 s1, 0
	global_store_b8 v[2:3], v5, off
.LBB22_357:
	s_and_b32 vcc_lo, exec_lo, s1
	s_cbranch_vccz .LBB22_367
; %bb.358:
	v_and_b32_e32 v5, 0x7fffffff, v0
	s_mov_b32 s1, exec_lo
                                        ; implicit-def: $vgpr1
	s_delay_alu instid0(VALU_DEP_1)
	v_cmpx_gt_u32_e32 0x43f00000, v5
	s_xor_b32 s1, exec_lo, s1
	s_cbranch_execz .LBB22_364
; %bb.359:
	s_mov_b32 s2, exec_lo
                                        ; implicit-def: $vgpr1
	v_cmpx_lt_u32_e32 0x3c7fffff, v5
	s_xor_b32 s2, exec_lo, s2
; %bb.360:
	v_bfe_u32 v1, v0, 20, 1
	s_delay_alu instid0(VALU_DEP_1) | instskip(NEXT) | instid1(VALU_DEP_1)
	v_add3_u32 v1, v0, v1, 0x407ffff
	v_and_b32_e32 v5, 0xff00000, v1
	v_lshrrev_b32_e32 v1, 20, v1
	s_delay_alu instid0(VALU_DEP_2) | instskip(NEXT) | instid1(VALU_DEP_2)
	v_cmp_ne_u32_e32 vcc_lo, 0x7f00000, v5
	v_cndmask_b32_e32 v1, 0x7e, v1, vcc_lo
; %bb.361:
	s_and_not1_saveexec_b32 s2, s2
; %bb.362:
	v_add_f32_e64 v1, 0x46800000, |v0|
; %bb.363:
	s_or_b32 exec_lo, exec_lo, s2
                                        ; implicit-def: $vgpr5
.LBB22_364:
	s_and_not1_saveexec_b32 s1, s1
; %bb.365:
	v_mov_b32_e32 v1, 0x7f
	v_cmp_lt_u32_e32 vcc_lo, 0x7f800000, v5
	s_delay_alu instid0(VALU_DEP_2)
	v_cndmask_b32_e32 v1, 0x7e, v1, vcc_lo
; %bb.366:
	s_or_b32 exec_lo, exec_lo, s1
	v_lshrrev_b32_e32 v5, 24, v0
	s_delay_alu instid0(VALU_DEP_1)
	v_and_or_b32 v1, 0x80, v5, v1
	global_store_b8 v[2:3], v1, off
.LBB22_367:
	s_mov_b32 s1, 0
.LBB22_368:
	s_delay_alu instid0(SALU_CYCLE_1)
	s_and_not1_b32 vcc_lo, exec_lo, s1
	s_cbranch_vccnz .LBB22_378
; %bb.369:
	v_and_b32_e32 v5, 0x7fffffff, v0
	s_mov_b32 s1, exec_lo
                                        ; implicit-def: $vgpr1
	s_delay_alu instid0(VALU_DEP_1)
	v_cmpx_gt_u32_e32 0x47800000, v5
	s_xor_b32 s1, exec_lo, s1
	s_cbranch_execz .LBB22_375
; %bb.370:
	s_mov_b32 s2, exec_lo
                                        ; implicit-def: $vgpr1
	v_cmpx_lt_u32_e32 0x387fffff, v5
	s_xor_b32 s2, exec_lo, s2
; %bb.371:
	v_bfe_u32 v1, v0, 21, 1
	s_delay_alu instid0(VALU_DEP_1) | instskip(NEXT) | instid1(VALU_DEP_1)
	v_add3_u32 v1, v0, v1, 0x80fffff
	v_lshrrev_b32_e32 v1, 21, v1
; %bb.372:
	s_and_not1_saveexec_b32 s2, s2
; %bb.373:
	v_add_f32_e64 v1, 0x43000000, |v0|
; %bb.374:
	s_or_b32 exec_lo, exec_lo, s2
                                        ; implicit-def: $vgpr5
.LBB22_375:
	s_and_not1_saveexec_b32 s1, s1
; %bb.376:
	v_mov_b32_e32 v1, 0x7f
	v_cmp_lt_u32_e32 vcc_lo, 0x7f800000, v5
	s_delay_alu instid0(VALU_DEP_2)
	v_cndmask_b32_e32 v1, 0x7c, v1, vcc_lo
; %bb.377:
	s_or_b32 exec_lo, exec_lo, s1
	v_lshrrev_b32_e32 v5, 24, v0
	s_delay_alu instid0(VALU_DEP_1)
	v_and_or_b32 v1, 0x80, v5, v1
	global_store_b8 v[2:3], v1, off
.LBB22_378:
	s_mov_b32 s2, 0
	s_mov_b32 s1, -1
.LBB22_379:
	s_and_not1_b32 vcc_lo, exec_lo, s2
	s_cbranch_vccnz .LBB22_387
; %bb.380:
	v_cmp_lt_i16_e32 vcc_lo, 14, v4
	s_mov_b32 s2, -1
	s_cbranch_vccz .LBB22_384
; %bb.381:
	v_cmp_eq_u16_e32 vcc_lo, 15, v4
	s_mov_b32 s0, -1
	s_cbranch_vccz .LBB22_383
; %bb.382:
	v_bfe_u32 v1, v0, 16, 1
	v_cmp_o_f32_e32 vcc_lo, v0, v0
	s_mov_b32 s1, -1
	s_mov_b32 s0, 0
	s_delay_alu instid0(VALU_DEP_2) | instskip(NEXT) | instid1(VALU_DEP_1)
	v_add3_u32 v1, v0, v1, 0x7fff
	v_lshrrev_b32_e32 v1, 16, v1
	s_delay_alu instid0(VALU_DEP_1)
	v_cndmask_b32_e32 v1, 0x7fc0, v1, vcc_lo
	global_store_b16 v[2:3], v1, off
.LBB22_383:
	s_mov_b32 s2, 0
.LBB22_384:
	s_delay_alu instid0(SALU_CYCLE_1)
	s_and_b32 vcc_lo, exec_lo, s2
	s_cbranch_vccz .LBB22_387
; %bb.385:
	v_cmp_eq_u16_e32 vcc_lo, 11, v4
	s_mov_b32 s0, -1
	s_cbranch_vccz .LBB22_387
; %bb.386:
	v_cmp_neq_f32_e32 vcc_lo, 0, v0
	s_mov_b32 s0, 0
	s_mov_b32 s1, -1
	v_cndmask_b32_e64 v1, 0, 1, vcc_lo
	global_store_b8 v[2:3], v1, off
.LBB22_387:
	s_mov_b32 s2, 0
.LBB22_388:
	s_delay_alu instid0(SALU_CYCLE_1)
	s_and_b32 vcc_lo, exec_lo, s2
	s_cbranch_vccz .LBB22_427
; %bb.389:
	v_cmp_gt_i16_e32 vcc_lo, 5, v4
	s_mov_b32 s1, -1
	s_cbranch_vccnz .LBB22_410
; %bb.390:
	v_cmp_gt_i16_e32 vcc_lo, 8, v4
	s_cbranch_vccnz .LBB22_400
; %bb.391:
	v_cmp_gt_i16_e32 vcc_lo, 9, v4
	s_cbranch_vccnz .LBB22_397
; %bb.392:
	v_cmp_lt_i16_e32 vcc_lo, 9, v4
	s_cbranch_vccz .LBB22_394
; %bb.393:
	v_cvt_f64_f32_e32 v[5:6], v0
	v_mov_b32_e32 v7, 0
	s_mov_b32 s1, 0
	s_delay_alu instid0(VALU_DEP_1)
	v_mov_b32_e32 v8, v7
	global_store_b128 v[2:3], v[5:8], off
.LBB22_394:
	s_and_not1_b32 vcc_lo, exec_lo, s1
	s_cbranch_vccnz .LBB22_396
; %bb.395:
	v_mov_b32_e32 v1, 0
	global_store_b64 v[2:3], v[0:1], off
.LBB22_396:
	s_mov_b32 s1, 0
.LBB22_397:
	s_delay_alu instid0(SALU_CYCLE_1)
	s_and_not1_b32 vcc_lo, exec_lo, s1
	s_cbranch_vccnz .LBB22_399
; %bb.398:
	v_cvt_f16_f32_e32 v1, v0
	s_delay_alu instid0(VALU_DEP_1)
	v_and_b32_e32 v1, 0xffff, v1
	global_store_b32 v[2:3], v1, off
.LBB22_399:
	s_mov_b32 s1, 0
.LBB22_400:
	s_delay_alu instid0(SALU_CYCLE_1)
	s_and_not1_b32 vcc_lo, exec_lo, s1
	s_cbranch_vccnz .LBB22_409
; %bb.401:
	v_cmp_gt_i16_e32 vcc_lo, 6, v4
	s_mov_b32 s1, -1
	s_cbranch_vccnz .LBB22_407
; %bb.402:
	v_cmp_lt_i16_e32 vcc_lo, 6, v4
	s_cbranch_vccz .LBB22_404
; %bb.403:
	v_cvt_f64_f32_e32 v[5:6], v0
	s_mov_b32 s1, 0
	global_store_b64 v[2:3], v[5:6], off
.LBB22_404:
	s_and_not1_b32 vcc_lo, exec_lo, s1
	s_cbranch_vccnz .LBB22_406
; %bb.405:
	global_store_b32 v[2:3], v0, off
.LBB22_406:
	s_mov_b32 s1, 0
.LBB22_407:
	s_delay_alu instid0(SALU_CYCLE_1)
	s_and_not1_b32 vcc_lo, exec_lo, s1
	s_cbranch_vccnz .LBB22_409
; %bb.408:
	v_cvt_f16_f32_e32 v1, v0
	global_store_b16 v[2:3], v1, off
.LBB22_409:
	s_mov_b32 s1, 0
.LBB22_410:
	s_delay_alu instid0(SALU_CYCLE_1)
	s_and_not1_b32 vcc_lo, exec_lo, s1
	s_cbranch_vccnz .LBB22_426
; %bb.411:
	v_cmp_gt_i16_e32 vcc_lo, 2, v4
	s_mov_b32 s1, -1
	s_cbranch_vccnz .LBB22_421
; %bb.412:
	v_cmp_gt_i16_e32 vcc_lo, 3, v4
	s_cbranch_vccnz .LBB22_418
; %bb.413:
	v_cmp_lt_i16_e32 vcc_lo, 3, v4
	s_cbranch_vccz .LBB22_415
; %bb.414:
	v_trunc_f32_e32 v1, v0
	s_mov_b32 s1, 0
	s_delay_alu instid0(VALU_DEP_1) | instskip(NEXT) | instid1(VALU_DEP_1)
	v_mul_f32_e64 v5, 0x2f800000, |v1|
	v_floor_f32_e32 v5, v5
	s_delay_alu instid0(VALU_DEP_1) | instskip(SKIP_2) | instid1(VALU_DEP_3)
	v_fma_f32 v6, 0xcf800000, v5, |v1|
	v_ashrrev_i32_e32 v1, 31, v1
	v_cvt_u32_f32_e32 v5, v5
	v_cvt_u32_f32_e32 v6, v6
	s_delay_alu instid0(VALU_DEP_2) | instskip(NEXT) | instid1(VALU_DEP_2)
	v_xor_b32_e32 v7, v5, v1
	v_xor_b32_e32 v6, v6, v1
	s_delay_alu instid0(VALU_DEP_1) | instskip(NEXT) | instid1(VALU_DEP_3)
	v_sub_co_u32 v5, vcc_lo, v6, v1
	v_sub_co_ci_u32_e32 v6, vcc_lo, v7, v1, vcc_lo
	global_store_b64 v[2:3], v[5:6], off
.LBB22_415:
	s_and_not1_b32 vcc_lo, exec_lo, s1
	s_cbranch_vccnz .LBB22_417
; %bb.416:
	v_cvt_i32_f32_e32 v1, v0
	global_store_b32 v[2:3], v1, off
.LBB22_417:
	s_mov_b32 s1, 0
.LBB22_418:
	s_delay_alu instid0(SALU_CYCLE_1)
	s_and_not1_b32 vcc_lo, exec_lo, s1
	s_cbranch_vccnz .LBB22_420
; %bb.419:
	v_cvt_i32_f32_e32 v1, v0
	global_store_b16 v[2:3], v1, off
.LBB22_420:
	s_mov_b32 s1, 0
.LBB22_421:
	s_delay_alu instid0(SALU_CYCLE_1)
	s_and_not1_b32 vcc_lo, exec_lo, s1
	s_cbranch_vccnz .LBB22_426
; %bb.422:
	v_cmp_lt_i16_e32 vcc_lo, 0, v4
	s_mov_b32 s1, -1
	s_cbranch_vccz .LBB22_424
; %bb.423:
	v_cvt_i32_f32_e32 v1, v0
	s_mov_b32 s1, 0
	global_store_b8 v[2:3], v1, off
.LBB22_424:
	s_and_not1_b32 vcc_lo, exec_lo, s1
	s_cbranch_vccnz .LBB22_426
; %bb.425:
	v_trunc_f32_e32 v0, v0
	s_delay_alu instid0(VALU_DEP_1) | instskip(NEXT) | instid1(VALU_DEP_1)
	v_mul_f32_e64 v1, 0x2f800000, |v0|
	v_floor_f32_e32 v1, v1
	s_delay_alu instid0(VALU_DEP_1) | instskip(SKIP_1) | instid1(VALU_DEP_2)
	v_fma_f32 v1, 0xcf800000, v1, |v0|
	v_ashrrev_i32_e32 v0, 31, v0
	v_cvt_u32_f32_e32 v1, v1
	s_delay_alu instid0(VALU_DEP_1) | instskip(NEXT) | instid1(VALU_DEP_1)
	v_xor_b32_e32 v1, v1, v0
	v_sub_nc_u32_e32 v0, v1, v0
	global_store_b8 v[2:3], v0, off
.LBB22_426:
	s_mov_b32 s1, -1
.LBB22_427:
	s_delay_alu instid0(SALU_CYCLE_1)
	s_and_not1_b32 vcc_lo, exec_lo, s1
	s_cbranch_vccnz .LBB22_429
; %bb.428:
	v_add_nc_u32_e32 v45, 0x80, v45
	s_mov_b32 s1, -1
	s_branch .LBB22_542
.LBB22_429:
	s_mov_b32 s1, 0
	s_branch .LBB22_541
.LBB22_430:
	s_mov_b32 s47, -1
                                        ; implicit-def: $vgpr41
.LBB22_431:
	s_mov_b32 s1, 0
.LBB22_432:
	s_delay_alu instid0(SALU_CYCLE_1)
	s_and_b32 vcc_lo, exec_lo, s1
	s_cbranch_vccz .LBB22_436
; %bb.433:
	v_cmp_eq_u16_e32 vcc_lo, 29, v47
	s_cbranch_vccz .LBB22_435
; %bb.434:
	global_load_b64 v[2:3], v[0:1], off
	s_mov_b32 s0, -1
	s_mov_b32 s47, 0
	s_mov_b32 s1, 0
	s_waitcnt vmcnt(0)
	v_clz_i32_u32_e32 v4, v3
	s_delay_alu instid0(VALU_DEP_1) | instskip(NEXT) | instid1(VALU_DEP_1)
	v_min_u32_e32 v4, 32, v4
	v_lshlrev_b64 v[2:3], v4, v[2:3]
	s_delay_alu instid0(VALU_DEP_1) | instskip(NEXT) | instid1(VALU_DEP_1)
	v_min_u32_e32 v2, 1, v2
	v_or_b32_e32 v2, v3, v2
	v_sub_nc_u32_e32 v3, 32, v4
	s_delay_alu instid0(VALU_DEP_2) | instskip(NEXT) | instid1(VALU_DEP_1)
	v_cvt_f32_u32_e32 v2, v2
	v_ldexp_f32 v41, v2, v3
	s_branch .LBB22_437
.LBB22_435:
	s_mov_b32 s47, -1
                                        ; implicit-def: $vgpr41
.LBB22_436:
	s_mov_b32 s1, 0
.LBB22_437:
	s_delay_alu instid0(SALU_CYCLE_1)
	s_and_b32 vcc_lo, exec_lo, s1
	s_cbranch_vccz .LBB22_455
; %bb.438:
	v_cmp_gt_i16_e32 vcc_lo, 27, v47
	s_cbranch_vccnz .LBB22_441
; %bb.439:
	v_cmp_lt_i16_e32 vcc_lo, 27, v47
	s_cbranch_vccz .LBB22_442
; %bb.440:
	global_load_b32 v2, v[0:1], off
	s_mov_b32 s0, 0
	s_waitcnt vmcnt(0)
	v_cvt_f32_u32_e32 v41, v2
	s_branch .LBB22_443
.LBB22_441:
	s_mov_b32 s0, -1
                                        ; implicit-def: $vgpr41
	s_branch .LBB22_446
.LBB22_442:
	s_mov_b32 s0, -1
                                        ; implicit-def: $vgpr41
.LBB22_443:
	s_delay_alu instid0(SALU_CYCLE_1)
	s_and_not1_b32 vcc_lo, exec_lo, s0
	s_cbranch_vccnz .LBB22_445
; %bb.444:
	global_load_u16 v2, v[0:1], off
	s_waitcnt vmcnt(0)
	v_cvt_f32_u32_e32 v41, v2
.LBB22_445:
	s_mov_b32 s0, 0
.LBB22_446:
	s_delay_alu instid0(SALU_CYCLE_1)
	s_and_not1_b32 vcc_lo, exec_lo, s0
	s_cbranch_vccnz .LBB22_454
; %bb.447:
	global_load_u8 v2, v[0:1], off
	s_mov_b32 s0, 0
	s_mov_b32 s2, exec_lo
                                        ; implicit-def: $sgpr1
	s_waitcnt vmcnt(0)
	v_cmpx_lt_i16_e32 0x7f, v2
	s_xor_b32 s2, exec_lo, s2
	s_cbranch_execz .LBB22_468
; %bb.448:
	s_mov_b32 s0, -1
	s_mov_b32 s3, exec_lo
                                        ; implicit-def: $sgpr1
	v_cmpx_eq_u16_e32 0x80, v2
; %bb.449:
	s_mov_b32 s1, 0x7f800001
	s_xor_b32 s0, exec_lo, -1
; %bb.450:
	s_or_b32 exec_lo, exec_lo, s3
	s_delay_alu instid0(SALU_CYCLE_1)
	s_and_b32 s0, s0, exec_lo
	s_or_saveexec_b32 s2, s2
	v_mov_b32_e32 v41, s1
	s_xor_b32 exec_lo, exec_lo, s2
	s_cbranch_execnz .LBB22_469
.LBB22_451:
	s_or_b32 exec_lo, exec_lo, s2
	s_and_saveexec_b32 s1, s0
	s_cbranch_execz .LBB22_453
.LBB22_452:
	v_and_b32_e32 v3, 0xffff, v2
	v_lshlrev_b32_e32 v2, 24, v2
	s_delay_alu instid0(VALU_DEP_2) | instskip(NEXT) | instid1(VALU_DEP_2)
	v_and_b32_e32 v4, 7, v3
	v_and_b32_e32 v2, 0x80000000, v2
	s_delay_alu instid0(VALU_DEP_2) | instskip(NEXT) | instid1(VALU_DEP_1)
	v_clz_i32_u32_e32 v5, v4
	v_min_u32_e32 v5, 32, v5
	s_delay_alu instid0(VALU_DEP_1) | instskip(SKIP_1) | instid1(VALU_DEP_2)
	v_subrev_nc_u32_e32 v6, 28, v5
	v_sub_nc_u32_e32 v5, 29, v5
	v_lshlrev_b32_e32 v6, v6, v3
	v_bfe_u32 v3, v3, 3, 4
	s_delay_alu instid0(VALU_DEP_2) | instskip(NEXT) | instid1(VALU_DEP_2)
	v_and_b32_e32 v6, 7, v6
	v_cmp_eq_u32_e32 vcc_lo, 0, v3
	s_delay_alu instid0(VALU_DEP_2) | instskip(NEXT) | instid1(VALU_DEP_1)
	v_dual_cndmask_b32 v3, v3, v5 :: v_dual_cndmask_b32 v4, v4, v6
	v_lshl_add_u32 v3, v3, 23, 0x3b800000
	s_delay_alu instid0(VALU_DEP_2) | instskip(NEXT) | instid1(VALU_DEP_1)
	v_lshlrev_b32_e32 v4, 20, v4
	v_or3_b32 v41, v2, v3, v4
.LBB22_453:
	s_or_b32 exec_lo, exec_lo, s1
.LBB22_454:
	s_mov_b32 s0, -1
.LBB22_455:
	s_mov_b32 s1, 0
.LBB22_456:
	s_delay_alu instid0(SALU_CYCLE_1)
	s_and_b32 vcc_lo, exec_lo, s1
	s_cbranch_vccz .LBB22_491
; %bb.457:
	v_cmp_lt_i16_e32 vcc_lo, 22, v47
	s_cbranch_vccz .LBB22_467
; %bb.458:
	v_cmp_gt_i16_e32 vcc_lo, 24, v47
	s_cbranch_vccnz .LBB22_470
; %bb.459:
	v_cmp_lt_i16_e32 vcc_lo, 24, v47
	s_cbranch_vccz .LBB22_471
; %bb.460:
	global_load_u8 v2, v[0:1], off
	s_mov_b32 s0, 0
	s_mov_b32 s2, exec_lo
                                        ; implicit-def: $sgpr1
	s_waitcnt vmcnt(0)
	v_cmpx_lt_i16_e32 0x7f, v2
	s_xor_b32 s2, exec_lo, s2
	s_cbranch_execz .LBB22_483
; %bb.461:
	s_mov_b32 s0, -1
	s_mov_b32 s3, exec_lo
                                        ; implicit-def: $sgpr1
	v_cmpx_eq_u16_e32 0x80, v2
; %bb.462:
	s_mov_b32 s1, 0x7f800001
	s_xor_b32 s0, exec_lo, -1
; %bb.463:
	s_or_b32 exec_lo, exec_lo, s3
	s_delay_alu instid0(SALU_CYCLE_1)
	s_and_b32 s0, s0, exec_lo
	s_or_saveexec_b32 s2, s2
	v_mov_b32_e32 v41, s1
	s_xor_b32 exec_lo, exec_lo, s2
	s_cbranch_execnz .LBB22_484
.LBB22_464:
	s_or_b32 exec_lo, exec_lo, s2
	s_and_saveexec_b32 s1, s0
	s_cbranch_execz .LBB22_466
.LBB22_465:
	v_and_b32_e32 v3, 0xffff, v2
	v_lshlrev_b32_e32 v2, 24, v2
	s_delay_alu instid0(VALU_DEP_2) | instskip(NEXT) | instid1(VALU_DEP_2)
	v_and_b32_e32 v4, 3, v3
	v_and_b32_e32 v2, 0x80000000, v2
	s_delay_alu instid0(VALU_DEP_2) | instskip(NEXT) | instid1(VALU_DEP_1)
	v_clz_i32_u32_e32 v5, v4
	v_min_u32_e32 v5, 32, v5
	s_delay_alu instid0(VALU_DEP_1) | instskip(SKIP_1) | instid1(VALU_DEP_2)
	v_subrev_nc_u32_e32 v6, 29, v5
	v_sub_nc_u32_e32 v5, 30, v5
	v_lshlrev_b32_e32 v6, v6, v3
	v_bfe_u32 v3, v3, 2, 5
	s_delay_alu instid0(VALU_DEP_2) | instskip(NEXT) | instid1(VALU_DEP_2)
	v_and_b32_e32 v6, 3, v6
	v_cmp_eq_u32_e32 vcc_lo, 0, v3
	s_delay_alu instid0(VALU_DEP_2) | instskip(NEXT) | instid1(VALU_DEP_1)
	v_dual_cndmask_b32 v3, v3, v5 :: v_dual_cndmask_b32 v4, v4, v6
	v_lshl_add_u32 v3, v3, 23, 0x37800000
	s_delay_alu instid0(VALU_DEP_2) | instskip(NEXT) | instid1(VALU_DEP_1)
	v_lshlrev_b32_e32 v4, 21, v4
	v_or3_b32 v41, v2, v3, v4
.LBB22_466:
	s_or_b32 exec_lo, exec_lo, s1
	s_mov_b32 s0, 0
	s_branch .LBB22_472
.LBB22_467:
	s_mov_b32 s1, -1
                                        ; implicit-def: $vgpr41
	s_branch .LBB22_478
.LBB22_468:
	s_or_saveexec_b32 s2, s2
	v_mov_b32_e32 v41, s1
	s_xor_b32 exec_lo, exec_lo, s2
	s_cbranch_execz .LBB22_451
.LBB22_469:
	v_cmp_ne_u16_e32 vcc_lo, 0, v2
	v_mov_b32_e32 v41, 0
	s_and_not1_b32 s0, s0, exec_lo
	s_and_b32 s1, vcc_lo, exec_lo
	s_delay_alu instid0(SALU_CYCLE_1)
	s_or_b32 s0, s0, s1
	s_or_b32 exec_lo, exec_lo, s2
	s_and_saveexec_b32 s1, s0
	s_cbranch_execnz .LBB22_452
	s_branch .LBB22_453
.LBB22_470:
	s_mov_b32 s0, -1
                                        ; implicit-def: $vgpr41
	s_branch .LBB22_475
.LBB22_471:
	s_mov_b32 s0, -1
                                        ; implicit-def: $vgpr41
.LBB22_472:
	s_delay_alu instid0(SALU_CYCLE_1)
	s_and_b32 vcc_lo, exec_lo, s0
	s_cbranch_vccz .LBB22_474
; %bb.473:
	global_load_u8 v2, v[0:1], off
	s_waitcnt vmcnt(0)
	v_lshlrev_b32_e32 v2, 24, v2
	s_delay_alu instid0(VALU_DEP_1) | instskip(NEXT) | instid1(VALU_DEP_1)
	v_and_b32_e32 v3, 0x7f000000, v2
	v_clz_i32_u32_e32 v4, v3
	v_add_nc_u32_e32 v6, 0x1000000, v3
	v_cmp_ne_u32_e32 vcc_lo, 0, v3
	s_delay_alu instid0(VALU_DEP_3) | instskip(NEXT) | instid1(VALU_DEP_1)
	v_min_u32_e32 v4, 32, v4
	v_sub_nc_u32_e64 v4, v4, 4 clamp
	s_delay_alu instid0(VALU_DEP_1) | instskip(SKIP_1) | instid1(VALU_DEP_2)
	v_lshlrev_b32_e32 v5, v4, v3
	v_lshlrev_b32_e32 v4, 23, v4
	v_lshrrev_b32_e32 v5, 4, v5
	s_delay_alu instid0(VALU_DEP_1) | instskip(SKIP_1) | instid1(VALU_DEP_2)
	v_sub_nc_u32_e32 v4, v5, v4
	v_ashrrev_i32_e32 v5, 8, v6
	v_add_nc_u32_e32 v4, 0x3c000000, v4
	s_delay_alu instid0(VALU_DEP_1) | instskip(NEXT) | instid1(VALU_DEP_1)
	v_and_or_b32 v4, 0x7f800000, v5, v4
	v_cndmask_b32_e32 v3, 0, v4, vcc_lo
	s_delay_alu instid0(VALU_DEP_1)
	v_and_or_b32 v41, 0x80000000, v2, v3
.LBB22_474:
	s_mov_b32 s0, 0
.LBB22_475:
	s_delay_alu instid0(SALU_CYCLE_1)
	s_and_not1_b32 vcc_lo, exec_lo, s0
	s_cbranch_vccnz .LBB22_477
; %bb.476:
	global_load_u8 v2, v[0:1], off
	s_waitcnt vmcnt(0)
	v_lshlrev_b32_e32 v3, 25, v2
	v_lshlrev_b16 v2, 8, v2
	s_delay_alu instid0(VALU_DEP_2) | instskip(NEXT) | instid1(VALU_DEP_2)
	v_lshrrev_b32_e32 v4, 4, v3
	v_and_or_b32 v5, 0x7f00, v2, 0.5
	v_bfe_i32 v2, v2, 0, 16
	s_delay_alu instid0(VALU_DEP_3) | instskip(NEXT) | instid1(VALU_DEP_1)
	v_or_b32_e32 v4, 0x70000000, v4
	v_dual_add_f32 v5, -0.5, v5 :: v_dual_mul_f32 v4, 0x7800000, v4
	v_cmp_gt_u32_e32 vcc_lo, 0x8000000, v3
	s_delay_alu instid0(VALU_DEP_2) | instskip(NEXT) | instid1(VALU_DEP_1)
	v_cndmask_b32_e32 v3, v4, v5, vcc_lo
	v_and_or_b32 v41, 0x80000000, v2, v3
.LBB22_477:
	s_mov_b32 s1, 0
	s_mov_b32 s0, -1
.LBB22_478:
	s_and_not1_b32 vcc_lo, exec_lo, s1
	s_cbranch_vccnz .LBB22_491
; %bb.479:
	v_cmp_lt_i16_e32 vcc_lo, 14, v47
	s_cbranch_vccz .LBB22_482
; %bb.480:
	v_cmp_eq_u16_e32 vcc_lo, 15, v47
	s_cbranch_vccz .LBB22_485
; %bb.481:
	global_load_u16 v2, v[0:1], off
	s_mov_b32 s0, -1
	s_mov_b32 s47, 0
	s_waitcnt vmcnt(0)
	v_lshlrev_b32_e32 v41, 16, v2
	s_branch .LBB22_486
.LBB22_482:
	s_mov_b32 s1, -1
                                        ; implicit-def: $vgpr41
	s_branch .LBB22_487
.LBB22_483:
	s_or_saveexec_b32 s2, s2
	v_mov_b32_e32 v41, s1
	s_xor_b32 exec_lo, exec_lo, s2
	s_cbranch_execz .LBB22_464
.LBB22_484:
	v_cmp_ne_u16_e32 vcc_lo, 0, v2
	v_mov_b32_e32 v41, 0
	s_and_not1_b32 s0, s0, exec_lo
	s_and_b32 s1, vcc_lo, exec_lo
	s_delay_alu instid0(SALU_CYCLE_1)
	s_or_b32 s0, s0, s1
	s_or_b32 exec_lo, exec_lo, s2
	s_and_saveexec_b32 s1, s0
	s_cbranch_execnz .LBB22_465
	s_branch .LBB22_466
.LBB22_485:
	s_mov_b32 s47, -1
                                        ; implicit-def: $vgpr41
.LBB22_486:
	s_mov_b32 s1, 0
.LBB22_487:
	s_delay_alu instid0(SALU_CYCLE_1)
	s_and_b32 vcc_lo, exec_lo, s1
	s_cbranch_vccz .LBB22_491
; %bb.488:
	v_cmp_eq_u16_e32 vcc_lo, 11, v47
	s_cbranch_vccz .LBB22_490
; %bb.489:
	global_load_u8 v2, v[0:1], off
	s_mov_b32 s47, 0
	s_mov_b32 s0, -1
	s_waitcnt vmcnt(0)
	v_cmp_ne_u16_e32 vcc_lo, 0, v2
	v_cndmask_b32_e64 v41, 0, 1.0, vcc_lo
	s_branch .LBB22_491
.LBB22_490:
	s_mov_b32 s47, -1
                                        ; implicit-def: $vgpr41
.LBB22_491:
	s_branch .LBB22_277
.LBB22_492:
	v_cmp_gt_i16_e32 vcc_lo, 5, v47
	s_cbranch_vccnz .LBB22_497
; %bb.493:
	v_cmp_gt_i16_e32 vcc_lo, 8, v47
	s_cbranch_vccnz .LBB22_498
; %bb.494:
	;; [unrolled: 3-line block ×3, first 2 shown]
	v_cmp_lt_i16_e32 vcc_lo, 9, v47
	s_cbranch_vccz .LBB22_500
; %bb.496:
	global_load_b64 v[2:3], v[0:1], off
	s_mov_b32 s0, 0
	s_waitcnt vmcnt(0)
	v_cvt_f32_f64_e32 v41, v[2:3]
	s_branch .LBB22_501
.LBB22_497:
	s_mov_b32 s0, -1
                                        ; implicit-def: $vgpr41
	s_branch .LBB22_519
.LBB22_498:
	s_mov_b32 s0, -1
                                        ; implicit-def: $vgpr41
	s_branch .LBB22_507
.LBB22_499:
	s_mov_b32 s0, -1
                                        ; implicit-def: $vgpr41
	s_branch .LBB22_504
.LBB22_500:
	s_mov_b32 s0, -1
                                        ; implicit-def: $vgpr41
.LBB22_501:
	s_delay_alu instid0(SALU_CYCLE_1)
	s_and_not1_b32 vcc_lo, exec_lo, s0
	s_cbranch_vccnz .LBB22_503
; %bb.502:
	global_load_b32 v41, v[0:1], off
.LBB22_503:
	s_mov_b32 s0, 0
.LBB22_504:
	s_delay_alu instid0(SALU_CYCLE_1)
	s_and_not1_b32 vcc_lo, exec_lo, s0
	s_cbranch_vccnz .LBB22_506
; %bb.505:
	global_load_b32 v2, v[0:1], off
	s_waitcnt vmcnt(0)
	v_cvt_f32_f16_e32 v41, v2
.LBB22_506:
	s_mov_b32 s0, 0
.LBB22_507:
	s_delay_alu instid0(SALU_CYCLE_1)
	s_and_not1_b32 vcc_lo, exec_lo, s0
	s_cbranch_vccnz .LBB22_518
; %bb.508:
	v_cmp_gt_i16_e32 vcc_lo, 6, v47
	s_cbranch_vccnz .LBB22_511
; %bb.509:
	v_cmp_lt_i16_e32 vcc_lo, 6, v47
	s_cbranch_vccz .LBB22_512
; %bb.510:
	global_load_b64 v[2:3], v[0:1], off
	s_mov_b32 s0, 0
	s_waitcnt vmcnt(0)
	v_cvt_f32_f64_e32 v41, v[2:3]
	s_branch .LBB22_513
.LBB22_511:
	s_mov_b32 s0, -1
                                        ; implicit-def: $vgpr41
	s_branch .LBB22_516
.LBB22_512:
	s_mov_b32 s0, -1
                                        ; implicit-def: $vgpr41
.LBB22_513:
	s_delay_alu instid0(SALU_CYCLE_1)
	s_and_not1_b32 vcc_lo, exec_lo, s0
	s_cbranch_vccnz .LBB22_515
; %bb.514:
	global_load_b32 v41, v[0:1], off
.LBB22_515:
	s_mov_b32 s0, 0
.LBB22_516:
	s_delay_alu instid0(SALU_CYCLE_1)
	s_and_not1_b32 vcc_lo, exec_lo, s0
	s_cbranch_vccnz .LBB22_518
; %bb.517:
	global_load_u16 v2, v[0:1], off
	s_waitcnt vmcnt(0)
	v_cvt_f32_f16_e32 v41, v2
.LBB22_518:
	s_mov_b32 s0, 0
.LBB22_519:
	s_delay_alu instid0(SALU_CYCLE_1)
	s_and_not1_b32 vcc_lo, exec_lo, s0
	s_cbranch_vccnz .LBB22_539
; %bb.520:
	v_cmp_gt_i16_e32 vcc_lo, 2, v47
	s_cbranch_vccnz .LBB22_524
; %bb.521:
	v_cmp_gt_i16_e32 vcc_lo, 3, v47
	s_cbranch_vccnz .LBB22_525
; %bb.522:
	v_cmp_lt_i16_e32 vcc_lo, 3, v47
	s_cbranch_vccz .LBB22_526
; %bb.523:
	global_load_b64 v[2:3], v[0:1], off
	s_mov_b32 s0, 0
	s_waitcnt vmcnt(0)
	v_xor_b32_e32 v4, v2, v3
	v_cls_i32_e32 v5, v3
	s_delay_alu instid0(VALU_DEP_2) | instskip(NEXT) | instid1(VALU_DEP_2)
	v_ashrrev_i32_e32 v4, 31, v4
	v_add_nc_u32_e32 v5, -1, v5
	s_delay_alu instid0(VALU_DEP_2) | instskip(NEXT) | instid1(VALU_DEP_1)
	v_add_nc_u32_e32 v4, 32, v4
	v_min_u32_e32 v4, v5, v4
	s_delay_alu instid0(VALU_DEP_1) | instskip(NEXT) | instid1(VALU_DEP_1)
	v_lshlrev_b64 v[2:3], v4, v[2:3]
	v_min_u32_e32 v2, 1, v2
	s_delay_alu instid0(VALU_DEP_1) | instskip(SKIP_1) | instid1(VALU_DEP_2)
	v_or_b32_e32 v2, v3, v2
	v_sub_nc_u32_e32 v3, 32, v4
	v_cvt_f32_i32_e32 v2, v2
	s_delay_alu instid0(VALU_DEP_1)
	v_ldexp_f32 v41, v2, v3
	s_branch .LBB22_527
.LBB22_524:
	s_mov_b32 s0, -1
                                        ; implicit-def: $vgpr41
	s_branch .LBB22_533
.LBB22_525:
	s_mov_b32 s0, -1
                                        ; implicit-def: $vgpr41
	s_branch .LBB22_530
.LBB22_526:
	s_mov_b32 s0, -1
                                        ; implicit-def: $vgpr41
.LBB22_527:
	s_delay_alu instid0(SALU_CYCLE_1)
	s_and_not1_b32 vcc_lo, exec_lo, s0
	s_cbranch_vccnz .LBB22_529
; %bb.528:
	global_load_b32 v2, v[0:1], off
	s_waitcnt vmcnt(0)
	v_cvt_f32_i32_e32 v41, v2
.LBB22_529:
	s_mov_b32 s0, 0
.LBB22_530:
	s_delay_alu instid0(SALU_CYCLE_1)
	s_and_not1_b32 vcc_lo, exec_lo, s0
	s_cbranch_vccnz .LBB22_532
; %bb.531:
	global_load_i16 v2, v[0:1], off
	s_waitcnt vmcnt(0)
	v_cvt_f32_i32_e32 v41, v2
.LBB22_532:
	s_mov_b32 s0, 0
.LBB22_533:
	s_delay_alu instid0(SALU_CYCLE_1)
	s_and_not1_b32 vcc_lo, exec_lo, s0
	s_cbranch_vccnz .LBB22_539
; %bb.534:
	v_cmp_lt_i16_e32 vcc_lo, 0, v47
	s_mov_b32 s0, 0
	s_cbranch_vccz .LBB22_536
; %bb.535:
	global_load_i8 v2, v[0:1], off
	s_waitcnt vmcnt(0)
	v_cvt_f32_i32_e32 v41, v2
	s_branch .LBB22_537
.LBB22_536:
	s_mov_b32 s0, -1
                                        ; implicit-def: $vgpr41
.LBB22_537:
	s_delay_alu instid0(SALU_CYCLE_1)
	s_and_not1_b32 vcc_lo, exec_lo, s0
	s_cbranch_vccnz .LBB22_539
; %bb.538:
	global_load_u8 v0, v[0:1], off
	s_waitcnt vmcnt(0)
	v_cvt_f32_ubyte0_e32 v41, v0
.LBB22_539:
	s_branch .LBB22_278
.LBB22_540:
	s_mov_b32 s1, 0
	s_mov_b32 s0, s43
.LBB22_541:
                                        ; implicit-def: $vgpr45
.LBB22_542:
	s_and_not1_b32 s2, s43, exec_lo
	s_and_b32 s0, s0, exec_lo
	s_and_not1_b32 s3, s45, exec_lo
	s_and_b32 s4, s47, exec_lo
	s_or_b32 s48, s2, s0
	s_or_b32 s47, s3, s4
	s_or_not1_b32 s3, s1, exec_lo
.LBB22_543:
	s_or_b32 exec_lo, exec_lo, s49
	s_mov_b32 s1, 0
	s_mov_b32 s2, 0
	;; [unrolled: 1-line block ×3, first 2 shown]
                                        ; implicit-def: $vgpr0_vgpr1
                                        ; implicit-def: $vgpr41
	s_and_saveexec_b32 s49, s3
	s_cbranch_execz .LBB22_906
; %bb.544:
	s_mov_b32 s0, -1
	s_mov_b32 s1, s47
	s_mov_b32 s2, s48
	s_mov_b32 s50, exec_lo
	v_cmpx_gt_i32_e64 s44, v45
	s_cbranch_execz .LBB22_820
; %bb.545:
	v_mul_lo_u32 v0, v45, s41
	v_cmp_gt_i16_e32 vcc_lo, 11, v47
	s_delay_alu instid0(VALU_DEP_2) | instskip(SKIP_1) | instid1(VALU_DEP_1)
	v_ashrrev_i32_e32 v1, 31, v0
	v_add_co_u32 v0, s0, s38, v0
	v_add_co_ci_u32_e64 v1, s0, s39, v1, s0
	s_cbranch_vccnz .LBB22_552
; %bb.546:
	v_cmp_lt_i16_e32 vcc_lo, 25, v47
	s_cbranch_vccz .LBB22_553
; %bb.547:
	v_cmp_lt_i16_e32 vcc_lo, 28, v47
	s_cbranch_vccz .LBB22_554
	;; [unrolled: 3-line block ×4, first 2 shown]
; %bb.550:
	v_cmp_eq_u16_e32 vcc_lo, 46, v47
	s_mov_b32 s1, 0
	s_cbranch_vccz .LBB22_561
; %bb.551:
	global_load_b32 v2, v[0:1], off
	s_mov_b32 s0, -1
	s_mov_b32 s51, 0
	s_waitcnt vmcnt(0)
	v_lshlrev_b32_e32 v41, 16, v2
	s_branch .LBB22_563
.LBB22_552:
	s_mov_b32 s1, -1
	s_mov_b32 s0, 0
	s_mov_b32 s51, s47
                                        ; implicit-def: $vgpr41
	s_branch .LBB22_628
.LBB22_553:
	s_mov_b32 s1, -1
	s_mov_b32 s0, 0
	s_mov_b32 s51, s47
                                        ; implicit-def: $vgpr41
	s_branch .LBB22_592
.LBB22_554:
	s_mov_b32 s1, -1
	s_mov_b32 s0, 0
	s_mov_b32 s51, s47
                                        ; implicit-def: $vgpr41
	s_branch .LBB22_573
.LBB22_555:
	s_mov_b32 s1, -1
	s_mov_b32 s0, 0
	s_mov_b32 s51, s47
                                        ; implicit-def: $vgpr41
	s_branch .LBB22_568
.LBB22_556:
	s_or_saveexec_b32 s3, s3
                                        ; implicit-def: $sgpr4
	s_delay_alu instid0(SALU_CYCLE_1)
	s_xor_b32 exec_lo, exec_lo, s3
	s_cbranch_execz .LBB22_340
.LBB22_557:
	v_add_f32_e64 v1, 0x46000000, |v0|
	s_and_not1_b32 s2, s2, exec_lo
	s_mov_b32 s4, 0
	s_delay_alu instid0(VALU_DEP_1) | instskip(NEXT) | instid1(VALU_DEP_1)
	v_and_b32_e32 v1, 0xff, v1
	v_cmp_ne_u32_e32 vcc_lo, 0, v1
	s_and_b32 s5, vcc_lo, exec_lo
	s_delay_alu instid0(SALU_CYCLE_1)
	s_or_b32 s2, s2, s5
	s_or_b32 exec_lo, exec_lo, s3
	v_mov_b32_e32 v5, s4
	s_and_saveexec_b32 s3, s2
	s_cbranch_execnz .LBB22_341
	s_branch .LBB22_342
.LBB22_558:
	s_mov_b32 s1, -1
	s_mov_b32 s0, 0
	s_mov_b32 s51, s47
	s_branch .LBB22_562
.LBB22_559:
	s_or_saveexec_b32 s3, s3
                                        ; implicit-def: $sgpr4
	s_delay_alu instid0(SALU_CYCLE_1)
	s_xor_b32 exec_lo, exec_lo, s3
	s_cbranch_execz .LBB22_353
.LBB22_560:
	v_add_f32_e64 v1, 0x42800000, |v0|
	s_and_not1_b32 s2, s2, exec_lo
	s_mov_b32 s4, 0
	s_delay_alu instid0(VALU_DEP_1) | instskip(NEXT) | instid1(VALU_DEP_1)
	v_and_b32_e32 v1, 0xff, v1
	v_cmp_ne_u32_e32 vcc_lo, 0, v1
	s_and_b32 s5, vcc_lo, exec_lo
	s_delay_alu instid0(SALU_CYCLE_1)
	s_or_b32 s2, s2, s5
	s_or_b32 exec_lo, exec_lo, s3
	v_mov_b32_e32 v5, s4
	s_and_saveexec_b32 s3, s2
	s_cbranch_execnz .LBB22_354
	s_branch .LBB22_355
.LBB22_561:
	s_mov_b32 s51, -1
	s_mov_b32 s0, 0
.LBB22_562:
                                        ; implicit-def: $vgpr41
.LBB22_563:
	s_and_b32 vcc_lo, exec_lo, s1
	s_cbranch_vccz .LBB22_567
; %bb.564:
	v_cmp_eq_u16_e32 vcc_lo, 44, v47
	s_cbranch_vccz .LBB22_566
; %bb.565:
	global_load_u8 v2, v[0:1], off
	s_mov_b32 s51, 0
	s_mov_b32 s0, -1
	s_waitcnt vmcnt(0)
	v_lshlrev_b32_e32 v3, 23, v2
	v_cmp_ne_u32_e32 vcc_lo, 0xff, v2
	s_delay_alu instid0(VALU_DEP_2) | instskip(SKIP_1) | instid1(VALU_DEP_2)
	v_cndmask_b32_e32 v3, 0x7f800001, v3, vcc_lo
	v_cmp_ne_u32_e32 vcc_lo, 0, v2
	v_cndmask_b32_e32 v41, 0x400000, v3, vcc_lo
	s_branch .LBB22_567
.LBB22_566:
	s_mov_b32 s51, -1
                                        ; implicit-def: $vgpr41
.LBB22_567:
	s_mov_b32 s1, 0
.LBB22_568:
	s_delay_alu instid0(SALU_CYCLE_1)
	s_and_b32 vcc_lo, exec_lo, s1
	s_cbranch_vccz .LBB22_572
; %bb.569:
	v_cmp_eq_u16_e32 vcc_lo, 29, v47
	s_cbranch_vccz .LBB22_571
; %bb.570:
	global_load_b64 v[2:3], v[0:1], off
	s_mov_b32 s0, -1
	s_mov_b32 s51, 0
	s_mov_b32 s1, 0
	s_waitcnt vmcnt(0)
	v_clz_i32_u32_e32 v4, v3
	s_delay_alu instid0(VALU_DEP_1) | instskip(NEXT) | instid1(VALU_DEP_1)
	v_min_u32_e32 v4, 32, v4
	v_lshlrev_b64 v[2:3], v4, v[2:3]
	s_delay_alu instid0(VALU_DEP_1) | instskip(NEXT) | instid1(VALU_DEP_1)
	v_min_u32_e32 v2, 1, v2
	v_or_b32_e32 v2, v3, v2
	v_sub_nc_u32_e32 v3, 32, v4
	s_delay_alu instid0(VALU_DEP_2) | instskip(NEXT) | instid1(VALU_DEP_1)
	v_cvt_f32_u32_e32 v2, v2
	v_ldexp_f32 v41, v2, v3
	s_branch .LBB22_573
.LBB22_571:
	s_mov_b32 s51, -1
                                        ; implicit-def: $vgpr41
.LBB22_572:
	s_mov_b32 s1, 0
.LBB22_573:
	s_delay_alu instid0(SALU_CYCLE_1)
	s_and_b32 vcc_lo, exec_lo, s1
	s_cbranch_vccz .LBB22_591
; %bb.574:
	v_cmp_gt_i16_e32 vcc_lo, 27, v47
	s_cbranch_vccnz .LBB22_577
; %bb.575:
	v_cmp_lt_i16_e32 vcc_lo, 27, v47
	s_cbranch_vccz .LBB22_578
; %bb.576:
	global_load_b32 v2, v[0:1], off
	s_mov_b32 s0, 0
	s_waitcnt vmcnt(0)
	v_cvt_f32_u32_e32 v41, v2
	s_branch .LBB22_579
.LBB22_577:
	s_mov_b32 s0, -1
                                        ; implicit-def: $vgpr41
	s_branch .LBB22_582
.LBB22_578:
	s_mov_b32 s0, -1
                                        ; implicit-def: $vgpr41
.LBB22_579:
	s_delay_alu instid0(SALU_CYCLE_1)
	s_and_not1_b32 vcc_lo, exec_lo, s0
	s_cbranch_vccnz .LBB22_581
; %bb.580:
	global_load_u16 v2, v[0:1], off
	s_waitcnt vmcnt(0)
	v_cvt_f32_u32_e32 v41, v2
.LBB22_581:
	s_mov_b32 s0, 0
.LBB22_582:
	s_delay_alu instid0(SALU_CYCLE_1)
	s_and_not1_b32 vcc_lo, exec_lo, s0
	s_cbranch_vccnz .LBB22_590
; %bb.583:
	global_load_u8 v2, v[0:1], off
	s_mov_b32 s0, 0
	s_mov_b32 s2, exec_lo
                                        ; implicit-def: $sgpr1
	s_waitcnt vmcnt(0)
	v_cmpx_lt_i16_e32 0x7f, v2
	s_xor_b32 s2, exec_lo, s2
	s_cbranch_execz .LBB22_604
; %bb.584:
	s_mov_b32 s0, -1
	s_mov_b32 s3, exec_lo
                                        ; implicit-def: $sgpr1
	v_cmpx_eq_u16_e32 0x80, v2
; %bb.585:
	s_mov_b32 s1, 0x7f800001
	s_xor_b32 s0, exec_lo, -1
; %bb.586:
	s_or_b32 exec_lo, exec_lo, s3
	s_delay_alu instid0(SALU_CYCLE_1)
	s_and_b32 s0, s0, exec_lo
	s_or_saveexec_b32 s2, s2
	v_mov_b32_e32 v41, s1
	s_xor_b32 exec_lo, exec_lo, s2
	s_cbranch_execnz .LBB22_605
.LBB22_587:
	s_or_b32 exec_lo, exec_lo, s2
	s_and_saveexec_b32 s1, s0
	s_cbranch_execz .LBB22_589
.LBB22_588:
	v_and_b32_e32 v3, 0xffff, v2
	v_lshlrev_b32_e32 v2, 24, v2
	s_delay_alu instid0(VALU_DEP_2) | instskip(NEXT) | instid1(VALU_DEP_2)
	v_and_b32_e32 v4, 7, v3
	v_and_b32_e32 v2, 0x80000000, v2
	s_delay_alu instid0(VALU_DEP_2) | instskip(NEXT) | instid1(VALU_DEP_1)
	v_clz_i32_u32_e32 v5, v4
	v_min_u32_e32 v5, 32, v5
	s_delay_alu instid0(VALU_DEP_1) | instskip(SKIP_1) | instid1(VALU_DEP_2)
	v_subrev_nc_u32_e32 v6, 28, v5
	v_sub_nc_u32_e32 v5, 29, v5
	v_lshlrev_b32_e32 v6, v6, v3
	v_bfe_u32 v3, v3, 3, 4
	s_delay_alu instid0(VALU_DEP_2) | instskip(NEXT) | instid1(VALU_DEP_2)
	v_and_b32_e32 v6, 7, v6
	v_cmp_eq_u32_e32 vcc_lo, 0, v3
	s_delay_alu instid0(VALU_DEP_2) | instskip(NEXT) | instid1(VALU_DEP_1)
	v_dual_cndmask_b32 v3, v3, v5 :: v_dual_cndmask_b32 v4, v4, v6
	v_lshl_add_u32 v3, v3, 23, 0x3b800000
	s_delay_alu instid0(VALU_DEP_2) | instskip(NEXT) | instid1(VALU_DEP_1)
	v_lshlrev_b32_e32 v4, 20, v4
	v_or3_b32 v41, v2, v3, v4
.LBB22_589:
	s_or_b32 exec_lo, exec_lo, s1
.LBB22_590:
	s_mov_b32 s0, -1
.LBB22_591:
	s_mov_b32 s1, 0
.LBB22_592:
	s_delay_alu instid0(SALU_CYCLE_1)
	s_and_b32 vcc_lo, exec_lo, s1
	s_cbranch_vccz .LBB22_627
; %bb.593:
	v_cmp_lt_i16_e32 vcc_lo, 22, v47
	s_cbranch_vccz .LBB22_603
; %bb.594:
	v_cmp_gt_i16_e32 vcc_lo, 24, v47
	s_cbranch_vccnz .LBB22_606
; %bb.595:
	v_cmp_lt_i16_e32 vcc_lo, 24, v47
	s_cbranch_vccz .LBB22_607
; %bb.596:
	global_load_u8 v2, v[0:1], off
	s_mov_b32 s0, 0
	s_mov_b32 s2, exec_lo
                                        ; implicit-def: $sgpr1
	s_waitcnt vmcnt(0)
	v_cmpx_lt_i16_e32 0x7f, v2
	s_xor_b32 s2, exec_lo, s2
	s_cbranch_execz .LBB22_619
; %bb.597:
	s_mov_b32 s0, -1
	s_mov_b32 s3, exec_lo
                                        ; implicit-def: $sgpr1
	v_cmpx_eq_u16_e32 0x80, v2
; %bb.598:
	s_mov_b32 s1, 0x7f800001
	s_xor_b32 s0, exec_lo, -1
; %bb.599:
	s_or_b32 exec_lo, exec_lo, s3
	s_delay_alu instid0(SALU_CYCLE_1)
	s_and_b32 s0, s0, exec_lo
	s_or_saveexec_b32 s2, s2
	v_mov_b32_e32 v41, s1
	s_xor_b32 exec_lo, exec_lo, s2
	s_cbranch_execnz .LBB22_620
.LBB22_600:
	s_or_b32 exec_lo, exec_lo, s2
	s_and_saveexec_b32 s1, s0
	s_cbranch_execz .LBB22_602
.LBB22_601:
	v_and_b32_e32 v3, 0xffff, v2
	v_lshlrev_b32_e32 v2, 24, v2
	s_delay_alu instid0(VALU_DEP_2) | instskip(NEXT) | instid1(VALU_DEP_2)
	v_and_b32_e32 v4, 3, v3
	v_and_b32_e32 v2, 0x80000000, v2
	s_delay_alu instid0(VALU_DEP_2) | instskip(NEXT) | instid1(VALU_DEP_1)
	v_clz_i32_u32_e32 v5, v4
	v_min_u32_e32 v5, 32, v5
	s_delay_alu instid0(VALU_DEP_1) | instskip(SKIP_1) | instid1(VALU_DEP_2)
	v_subrev_nc_u32_e32 v6, 29, v5
	v_sub_nc_u32_e32 v5, 30, v5
	v_lshlrev_b32_e32 v6, v6, v3
	v_bfe_u32 v3, v3, 2, 5
	s_delay_alu instid0(VALU_DEP_2) | instskip(NEXT) | instid1(VALU_DEP_2)
	v_and_b32_e32 v6, 3, v6
	v_cmp_eq_u32_e32 vcc_lo, 0, v3
	s_delay_alu instid0(VALU_DEP_2) | instskip(NEXT) | instid1(VALU_DEP_1)
	v_dual_cndmask_b32 v3, v3, v5 :: v_dual_cndmask_b32 v4, v4, v6
	v_lshl_add_u32 v3, v3, 23, 0x37800000
	s_delay_alu instid0(VALU_DEP_2) | instskip(NEXT) | instid1(VALU_DEP_1)
	v_lshlrev_b32_e32 v4, 21, v4
	v_or3_b32 v41, v2, v3, v4
.LBB22_602:
	s_or_b32 exec_lo, exec_lo, s1
	s_mov_b32 s0, 0
	s_branch .LBB22_608
.LBB22_603:
	s_mov_b32 s1, -1
                                        ; implicit-def: $vgpr41
	s_branch .LBB22_614
.LBB22_604:
	s_or_saveexec_b32 s2, s2
	v_mov_b32_e32 v41, s1
	s_xor_b32 exec_lo, exec_lo, s2
	s_cbranch_execz .LBB22_587
.LBB22_605:
	v_cmp_ne_u16_e32 vcc_lo, 0, v2
	v_mov_b32_e32 v41, 0
	s_and_not1_b32 s0, s0, exec_lo
	s_and_b32 s1, vcc_lo, exec_lo
	s_delay_alu instid0(SALU_CYCLE_1)
	s_or_b32 s0, s0, s1
	s_or_b32 exec_lo, exec_lo, s2
	s_and_saveexec_b32 s1, s0
	s_cbranch_execnz .LBB22_588
	s_branch .LBB22_589
.LBB22_606:
	s_mov_b32 s0, -1
                                        ; implicit-def: $vgpr41
	s_branch .LBB22_611
.LBB22_607:
	s_mov_b32 s0, -1
                                        ; implicit-def: $vgpr41
.LBB22_608:
	s_delay_alu instid0(SALU_CYCLE_1)
	s_and_b32 vcc_lo, exec_lo, s0
	s_cbranch_vccz .LBB22_610
; %bb.609:
	global_load_u8 v2, v[0:1], off
	s_waitcnt vmcnt(0)
	v_lshlrev_b32_e32 v2, 24, v2
	s_delay_alu instid0(VALU_DEP_1) | instskip(NEXT) | instid1(VALU_DEP_1)
	v_and_b32_e32 v3, 0x7f000000, v2
	v_clz_i32_u32_e32 v4, v3
	v_add_nc_u32_e32 v6, 0x1000000, v3
	v_cmp_ne_u32_e32 vcc_lo, 0, v3
	s_delay_alu instid0(VALU_DEP_3) | instskip(NEXT) | instid1(VALU_DEP_1)
	v_min_u32_e32 v4, 32, v4
	v_sub_nc_u32_e64 v4, v4, 4 clamp
	s_delay_alu instid0(VALU_DEP_1) | instskip(SKIP_1) | instid1(VALU_DEP_2)
	v_lshlrev_b32_e32 v5, v4, v3
	v_lshlrev_b32_e32 v4, 23, v4
	v_lshrrev_b32_e32 v5, 4, v5
	s_delay_alu instid0(VALU_DEP_1) | instskip(SKIP_1) | instid1(VALU_DEP_2)
	v_sub_nc_u32_e32 v4, v5, v4
	v_ashrrev_i32_e32 v5, 8, v6
	v_add_nc_u32_e32 v4, 0x3c000000, v4
	s_delay_alu instid0(VALU_DEP_1) | instskip(NEXT) | instid1(VALU_DEP_1)
	v_and_or_b32 v4, 0x7f800000, v5, v4
	v_cndmask_b32_e32 v3, 0, v4, vcc_lo
	s_delay_alu instid0(VALU_DEP_1)
	v_and_or_b32 v41, 0x80000000, v2, v3
.LBB22_610:
	s_mov_b32 s0, 0
.LBB22_611:
	s_delay_alu instid0(SALU_CYCLE_1)
	s_and_not1_b32 vcc_lo, exec_lo, s0
	s_cbranch_vccnz .LBB22_613
; %bb.612:
	global_load_u8 v2, v[0:1], off
	s_waitcnt vmcnt(0)
	v_lshlrev_b32_e32 v3, 25, v2
	v_lshlrev_b16 v2, 8, v2
	s_delay_alu instid0(VALU_DEP_2) | instskip(NEXT) | instid1(VALU_DEP_2)
	v_lshrrev_b32_e32 v4, 4, v3
	v_and_or_b32 v5, 0x7f00, v2, 0.5
	v_bfe_i32 v2, v2, 0, 16
	s_delay_alu instid0(VALU_DEP_3) | instskip(NEXT) | instid1(VALU_DEP_1)
	v_or_b32_e32 v4, 0x70000000, v4
	v_dual_add_f32 v5, -0.5, v5 :: v_dual_mul_f32 v4, 0x7800000, v4
	v_cmp_gt_u32_e32 vcc_lo, 0x8000000, v3
	s_delay_alu instid0(VALU_DEP_2) | instskip(NEXT) | instid1(VALU_DEP_1)
	v_cndmask_b32_e32 v3, v4, v5, vcc_lo
	v_and_or_b32 v41, 0x80000000, v2, v3
.LBB22_613:
	s_mov_b32 s1, 0
	s_mov_b32 s0, -1
.LBB22_614:
	s_and_not1_b32 vcc_lo, exec_lo, s1
	s_cbranch_vccnz .LBB22_627
; %bb.615:
	v_cmp_lt_i16_e32 vcc_lo, 14, v47
	s_cbranch_vccz .LBB22_618
; %bb.616:
	v_cmp_eq_u16_e32 vcc_lo, 15, v47
	s_cbranch_vccz .LBB22_621
; %bb.617:
	global_load_u16 v2, v[0:1], off
	s_mov_b32 s0, -1
	s_mov_b32 s51, 0
	s_waitcnt vmcnt(0)
	v_lshlrev_b32_e32 v41, 16, v2
	s_branch .LBB22_622
.LBB22_618:
	s_mov_b32 s1, -1
                                        ; implicit-def: $vgpr41
	s_branch .LBB22_623
.LBB22_619:
	s_or_saveexec_b32 s2, s2
	v_mov_b32_e32 v41, s1
	s_xor_b32 exec_lo, exec_lo, s2
	s_cbranch_execz .LBB22_600
.LBB22_620:
	v_cmp_ne_u16_e32 vcc_lo, 0, v2
	v_mov_b32_e32 v41, 0
	s_and_not1_b32 s0, s0, exec_lo
	s_and_b32 s1, vcc_lo, exec_lo
	s_delay_alu instid0(SALU_CYCLE_1)
	s_or_b32 s0, s0, s1
	s_or_b32 exec_lo, exec_lo, s2
	s_and_saveexec_b32 s1, s0
	s_cbranch_execnz .LBB22_601
	s_branch .LBB22_602
.LBB22_621:
	s_mov_b32 s51, -1
                                        ; implicit-def: $vgpr41
.LBB22_622:
	s_mov_b32 s1, 0
.LBB22_623:
	s_delay_alu instid0(SALU_CYCLE_1)
	s_and_b32 vcc_lo, exec_lo, s1
	s_cbranch_vccz .LBB22_627
; %bb.624:
	v_cmp_eq_u16_e32 vcc_lo, 11, v47
	s_cbranch_vccz .LBB22_626
; %bb.625:
	global_load_u8 v2, v[0:1], off
	s_mov_b32 s51, 0
	s_mov_b32 s0, -1
	s_waitcnt vmcnt(0)
	v_cmp_ne_u16_e32 vcc_lo, 0, v2
	v_cndmask_b32_e64 v41, 0, 1.0, vcc_lo
	s_branch .LBB22_627
.LBB22_626:
	s_mov_b32 s51, -1
                                        ; implicit-def: $vgpr41
.LBB22_627:
	s_mov_b32 s1, 0
.LBB22_628:
	s_delay_alu instid0(SALU_CYCLE_1)
	s_and_b32 vcc_lo, exec_lo, s1
	s_cbranch_vccz .LBB22_677
; %bb.629:
	v_cmp_gt_i16_e32 vcc_lo, 5, v47
	s_cbranch_vccnz .LBB22_634
; %bb.630:
	v_cmp_gt_i16_e32 vcc_lo, 8, v47
	s_cbranch_vccnz .LBB22_635
	;; [unrolled: 3-line block ×3, first 2 shown]
; %bb.632:
	v_cmp_lt_i16_e32 vcc_lo, 9, v47
	s_cbranch_vccz .LBB22_637
; %bb.633:
	global_load_b64 v[2:3], v[0:1], off
	s_mov_b32 s0, 0
	s_waitcnt vmcnt(0)
	v_cvt_f32_f64_e32 v41, v[2:3]
	s_branch .LBB22_638
.LBB22_634:
	s_mov_b32 s0, -1
                                        ; implicit-def: $vgpr41
	s_branch .LBB22_656
.LBB22_635:
	s_mov_b32 s0, -1
                                        ; implicit-def: $vgpr41
	s_branch .LBB22_644
.LBB22_636:
	s_mov_b32 s0, -1
                                        ; implicit-def: $vgpr41
	s_branch .LBB22_641
.LBB22_637:
	s_mov_b32 s0, -1
                                        ; implicit-def: $vgpr41
.LBB22_638:
	s_delay_alu instid0(SALU_CYCLE_1)
	s_and_not1_b32 vcc_lo, exec_lo, s0
	s_cbranch_vccnz .LBB22_640
; %bb.639:
	global_load_b32 v41, v[0:1], off
.LBB22_640:
	s_mov_b32 s0, 0
.LBB22_641:
	s_delay_alu instid0(SALU_CYCLE_1)
	s_and_not1_b32 vcc_lo, exec_lo, s0
	s_cbranch_vccnz .LBB22_643
; %bb.642:
	global_load_b32 v2, v[0:1], off
	s_waitcnt vmcnt(0)
	v_cvt_f32_f16_e32 v41, v2
.LBB22_643:
	s_mov_b32 s0, 0
.LBB22_644:
	s_delay_alu instid0(SALU_CYCLE_1)
	s_and_not1_b32 vcc_lo, exec_lo, s0
	s_cbranch_vccnz .LBB22_655
; %bb.645:
	v_cmp_gt_i16_e32 vcc_lo, 6, v47
	s_cbranch_vccnz .LBB22_648
; %bb.646:
	v_cmp_lt_i16_e32 vcc_lo, 6, v47
	s_cbranch_vccz .LBB22_649
; %bb.647:
	global_load_b64 v[2:3], v[0:1], off
	s_mov_b32 s0, 0
	s_waitcnt vmcnt(0)
	v_cvt_f32_f64_e32 v41, v[2:3]
	s_branch .LBB22_650
.LBB22_648:
	s_mov_b32 s0, -1
                                        ; implicit-def: $vgpr41
	s_branch .LBB22_653
.LBB22_649:
	s_mov_b32 s0, -1
                                        ; implicit-def: $vgpr41
.LBB22_650:
	s_delay_alu instid0(SALU_CYCLE_1)
	s_and_not1_b32 vcc_lo, exec_lo, s0
	s_cbranch_vccnz .LBB22_652
; %bb.651:
	global_load_b32 v41, v[0:1], off
.LBB22_652:
	s_mov_b32 s0, 0
.LBB22_653:
	s_delay_alu instid0(SALU_CYCLE_1)
	s_and_not1_b32 vcc_lo, exec_lo, s0
	s_cbranch_vccnz .LBB22_655
; %bb.654:
	global_load_u16 v2, v[0:1], off
	s_waitcnt vmcnt(0)
	v_cvt_f32_f16_e32 v41, v2
.LBB22_655:
	s_mov_b32 s0, 0
.LBB22_656:
	s_delay_alu instid0(SALU_CYCLE_1)
	s_and_not1_b32 vcc_lo, exec_lo, s0
	s_cbranch_vccnz .LBB22_676
; %bb.657:
	v_cmp_gt_i16_e32 vcc_lo, 2, v47
	s_cbranch_vccnz .LBB22_661
; %bb.658:
	v_cmp_gt_i16_e32 vcc_lo, 3, v47
	s_cbranch_vccnz .LBB22_662
; %bb.659:
	v_cmp_lt_i16_e32 vcc_lo, 3, v47
	s_cbranch_vccz .LBB22_663
; %bb.660:
	global_load_b64 v[2:3], v[0:1], off
	s_mov_b32 s0, 0
	s_waitcnt vmcnt(0)
	v_xor_b32_e32 v4, v2, v3
	v_cls_i32_e32 v5, v3
	s_delay_alu instid0(VALU_DEP_2) | instskip(NEXT) | instid1(VALU_DEP_2)
	v_ashrrev_i32_e32 v4, 31, v4
	v_add_nc_u32_e32 v5, -1, v5
	s_delay_alu instid0(VALU_DEP_2) | instskip(NEXT) | instid1(VALU_DEP_1)
	v_add_nc_u32_e32 v4, 32, v4
	v_min_u32_e32 v4, v5, v4
	s_delay_alu instid0(VALU_DEP_1) | instskip(NEXT) | instid1(VALU_DEP_1)
	v_lshlrev_b64 v[2:3], v4, v[2:3]
	v_min_u32_e32 v2, 1, v2
	s_delay_alu instid0(VALU_DEP_1) | instskip(SKIP_1) | instid1(VALU_DEP_2)
	v_or_b32_e32 v2, v3, v2
	v_sub_nc_u32_e32 v3, 32, v4
	v_cvt_f32_i32_e32 v2, v2
	s_delay_alu instid0(VALU_DEP_1)
	v_ldexp_f32 v41, v2, v3
	s_branch .LBB22_664
.LBB22_661:
	s_mov_b32 s0, -1
                                        ; implicit-def: $vgpr41
	s_branch .LBB22_670
.LBB22_662:
	s_mov_b32 s0, -1
                                        ; implicit-def: $vgpr41
	s_branch .LBB22_667
.LBB22_663:
	s_mov_b32 s0, -1
                                        ; implicit-def: $vgpr41
.LBB22_664:
	s_delay_alu instid0(SALU_CYCLE_1)
	s_and_not1_b32 vcc_lo, exec_lo, s0
	s_cbranch_vccnz .LBB22_666
; %bb.665:
	global_load_b32 v2, v[0:1], off
	s_waitcnt vmcnt(0)
	v_cvt_f32_i32_e32 v41, v2
.LBB22_666:
	s_mov_b32 s0, 0
.LBB22_667:
	s_delay_alu instid0(SALU_CYCLE_1)
	s_and_not1_b32 vcc_lo, exec_lo, s0
	s_cbranch_vccnz .LBB22_669
; %bb.668:
	global_load_i16 v2, v[0:1], off
	s_waitcnt vmcnt(0)
	v_cvt_f32_i32_e32 v41, v2
.LBB22_669:
	s_mov_b32 s0, 0
.LBB22_670:
	s_delay_alu instid0(SALU_CYCLE_1)
	s_and_not1_b32 vcc_lo, exec_lo, s0
	s_cbranch_vccnz .LBB22_676
; %bb.671:
	v_cmp_lt_i16_e32 vcc_lo, 0, v47
	s_mov_b32 s0, 0
	s_cbranch_vccz .LBB22_673
; %bb.672:
	global_load_i8 v2, v[0:1], off
	s_waitcnt vmcnt(0)
	v_cvt_f32_i32_e32 v41, v2
	s_branch .LBB22_674
.LBB22_673:
	s_mov_b32 s0, -1
                                        ; implicit-def: $vgpr41
.LBB22_674:
	s_delay_alu instid0(SALU_CYCLE_1)
	s_and_not1_b32 vcc_lo, exec_lo, s0
	s_cbranch_vccnz .LBB22_676
; %bb.675:
	global_load_u8 v0, v[0:1], off
	s_waitcnt vmcnt(0)
	v_cvt_f32_ubyte0_e32 v41, v0
.LBB22_676:
	s_mov_b32 s0, -1
.LBB22_677:
	s_delay_alu instid0(SALU_CYCLE_1)
	s_and_not1_b32 vcc_lo, exec_lo, s0
	s_cbranch_vccnz .LBB22_687
; %bb.678:
                                        ; implicit-def: $vgpr0
	s_mov_b32 s0, exec_lo
	s_waitcnt vmcnt(0)
	s_delay_alu instid0(VALU_DEP_1)
	v_cmpx_ge_f32_e32 0x40a00000, v41
	s_xor_b32 s52, exec_lo, s0
	s_cbranch_execz .LBB22_684
; %bb.679:
	v_mov_b32_e32 v0, 0xff800000
	s_mov_b32 s53, exec_lo
	v_cmpx_neq_f32_e32 0, v41
	s_cbranch_execz .LBB22_683
; %bb.680:
	v_mov_b32_e32 v0, 0x7fc00000
	s_mov_b32 s54, exec_lo
	v_cmpx_nge_f32_e32 0, v41
	s_cbranch_execz .LBB22_682
; %bb.681:
	v_mul_f32_e32 v0, v41, v41
	s_getpc_b64 s[0:1]
	s_add_u32 s0, s0, _Z17bessel_j1_forwardIfET_S0_@rel32@lo+4
	s_addc_u32 s1, s1, _Z17bessel_j1_forwardIfET_S0_@rel32@hi+12
	s_delay_alu instid0(VALU_DEP_1) | instskip(SKIP_1) | instid1(VALU_DEP_2)
	v_fmaak_f32 v1, 0, v0, 0x4414934d
	v_fmaak_f32 v2, 0, v0, 0x4e9695f3
	;; [unrolled: 1-line block ×3, first 2 shown]
	s_delay_alu instid0(VALU_DEP_2) | instskip(NEXT) | instid1(VALU_DEP_2)
	v_fmaak_f32 v2, v0, v2, 0xd316b96b
	v_fmaak_f32 v1, v0, v1, 0x4c8c277d
	s_delay_alu instid0(VALU_DEP_2) | instskip(NEXT) | instid1(VALU_DEP_2)
	v_fmaak_f32 v2, v0, v2, 0x56d04aa6
	v_fmaak_f32 v1, v0, v1, 0x508bc61d
	;; [unrolled: 3-line block ×5, first 2 shown]
	s_delay_alu instid0(VALU_DEP_1) | instskip(NEXT) | instid1(VALU_DEP_1)
	v_fmaak_f32 v0, v0, v1, 0x5e5c878d
	v_div_scale_f32 v1, null, v0, v0, v2
	v_div_scale_f32 v5, vcc_lo, v2, v0, v2
	s_delay_alu instid0(VALU_DEP_2) | instskip(SKIP_2) | instid1(VALU_DEP_1)
	v_rcp_f32_e32 v3, v1
	s_waitcnt_depctr 0xfff
	v_fma_f32 v4, -v1, v3, 1.0
	v_fmac_f32_e32 v3, v4, v3
	s_delay_alu instid0(VALU_DEP_1) | instskip(NEXT) | instid1(VALU_DEP_1)
	v_mul_f32_e32 v4, v5, v3
	v_fma_f32 v6, -v1, v4, v5
	s_delay_alu instid0(VALU_DEP_1) | instskip(NEXT) | instid1(VALU_DEP_1)
	v_fmac_f32_e32 v4, v6, v3
	v_fma_f32 v1, -v1, v4, v5
	s_delay_alu instid0(VALU_DEP_1) | instskip(NEXT) | instid1(VALU_DEP_1)
	v_div_fmas_f32 v1, v1, v3, v4
	v_div_fixup_f32 v42, v1, v0, v2
	v_mov_b32_e32 v0, v41
	s_swappc_b64 s[30:31], s[0:1]
	v_div_scale_f32 v1, null, v41, v41, -1.0
	v_cmp_gt_f32_e32 vcc_lo, 0x800000, v41
	v_div_scale_f32 v5, s0, -1.0, v41, -1.0
	s_delay_alu instid0(VALU_DEP_3) | instskip(SKIP_3) | instid1(VALU_DEP_1)
	v_rcp_f32_e32 v3, v1
	v_cndmask_b32_e64 v2, 1.0, 0x4f800000, vcc_lo
	s_waitcnt_depctr 0xfff
	v_fma_f32 v4, -v1, v3, 1.0
	v_dual_mul_f32 v2, v41, v2 :: v_dual_fmac_f32 v3, v4, v3
	s_delay_alu instid0(VALU_DEP_1) | instskip(SKIP_3) | instid1(VALU_DEP_2)
	v_log_f32_e32 v2, v2
	s_waitcnt_depctr 0xfff
	v_mul_f32_e32 v4, 0x3f317217, v2
	v_cmp_gt_f32_e64 s1, 0x7f800000, |v2|
	v_fma_f32 v7, 0x3f317217, v2, -v4
	s_delay_alu instid0(VALU_DEP_1) | instskip(NEXT) | instid1(VALU_DEP_1)
	v_dual_mul_f32 v6, v5, v3 :: v_dual_fmamk_f32 v7, v2, 0x3377d1cf, v7
	v_fma_f32 v8, -v1, v6, v5
	s_delay_alu instid0(VALU_DEP_2) | instskip(NEXT) | instid1(VALU_DEP_2)
	v_add_f32_e32 v4, v4, v7
	v_fmac_f32_e32 v6, v8, v3
	s_delay_alu instid0(VALU_DEP_2) | instskip(NEXT) | instid1(VALU_DEP_2)
	v_cndmask_b32_e64 v2, v2, v4, s1
	v_fma_f32 v1, -v1, v6, v5
	v_cndmask_b32_e64 v4, 0, 0x41b17218, vcc_lo
	s_mov_b32 vcc_lo, s0
	s_delay_alu instid0(VALU_DEP_2) | instskip(NEXT) | instid1(VALU_DEP_2)
	v_div_fmas_f32 v1, v1, v3, v6
	v_sub_f32_e32 v2, v2, v4
	s_delay_alu instid0(VALU_DEP_2) | instskip(NEXT) | instid1(VALU_DEP_1)
	v_div_fixup_f32 v1, v1, v41, -1.0
	v_fmac_f32_e32 v1, v2, v0
	s_delay_alu instid0(VALU_DEP_1) | instskip(NEXT) | instid1(VALU_DEP_1)
	v_mul_f32_e32 v0, 0x3f22f983, v1
	v_fmac_f32_e32 v0, v41, v42
.LBB22_682:
	s_or_b32 exec_lo, exec_lo, s54
.LBB22_683:
	s_delay_alu instid0(SALU_CYCLE_1)
	s_or_b32 exec_lo, exec_lo, s53
                                        ; implicit-def: $vgpr41
.LBB22_684:
	s_and_not1_saveexec_b32 s3, s52
	s_cbranch_execz .LBB22_695
; %bb.685:
	v_add_f32_e32 v0, 0xc016cbe4, v41
                                        ; implicit-def: $vgpr3
                                        ; implicit-def: $vgpr2
	s_delay_alu instid0(VALU_DEP_1) | instskip(SKIP_1) | instid1(VALU_DEP_2)
	v_and_b32_e32 v1, 0x7fffffff, v0
	v_cmp_ngt_f32_e64 s4, 0x48000000, |v0|
	v_lshrrev_b32_e32 v5, 23, v1
	s_delay_alu instid0(VALU_DEP_2) | instskip(NEXT) | instid1(SALU_CYCLE_1)
	s_and_saveexec_b32 s0, s4
	s_xor_b32 s5, exec_lo, s0
	s_cbranch_execz .LBB22_688
; %bb.686:
	s_mov_b32 s0, 0x7fffff
	v_mov_b32_e32 v4, 0
	v_and_or_b32 v13, v1, s0, 0x800000
	v_add_nc_u32_e32 v11, 0xffffff88, v5
	s_delay_alu instid0(VALU_DEP_2) | instskip(NEXT) | instid1(VALU_DEP_2)
	v_mad_u64_u32 v[2:3], null, 0xfe5163ab, v13, 0
	v_cmp_lt_u32_e32 vcc_lo, 63, v11
	v_cndmask_b32_e64 v12, 0, 0xffffffc0, vcc_lo
	s_delay_alu instid0(VALU_DEP_3) | instskip(NEXT) | instid1(VALU_DEP_1)
	v_mad_u64_u32 v[6:7], null, 0x3c439041, v13, v[3:4]
	v_dual_mov_b32 v3, v7 :: v_dual_add_nc_u32 v12, v12, v11
	s_delay_alu instid0(VALU_DEP_1) | instskip(NEXT) | instid1(VALU_DEP_2)
	v_cmp_lt_u32_e64 s0, 31, v12
	v_mad_u64_u32 v[7:8], null, 0xdb629599, v13, v[3:4]
	s_delay_alu instid0(VALU_DEP_2) | instskip(NEXT) | instid1(VALU_DEP_1)
	v_cndmask_b32_e64 v14, 0, 0xffffffe0, s0
	v_dual_mov_b32 v3, v8 :: v_dual_add_nc_u32 v14, v14, v12
	s_delay_alu instid0(VALU_DEP_3) | instskip(NEXT) | instid1(VALU_DEP_2)
	v_cndmask_b32_e32 v2, v7, v2, vcc_lo
	v_cmp_lt_u32_e64 s1, 31, v14
	s_delay_alu instid0(VALU_DEP_3) | instskip(NEXT) | instid1(VALU_DEP_1)
	v_mad_u64_u32 v[8:9], null, 0xf534ddc0, v13, v[3:4]
	v_dual_mov_b32 v3, v9 :: v_dual_cndmask_b32 v6, v8, v6
	s_delay_alu instid0(VALU_DEP_1) | instskip(NEXT) | instid1(VALU_DEP_2)
	v_mad_u64_u32 v[9:10], null, 0xfc2757d1, v13, v[3:4]
	v_cndmask_b32_e64 v2, v6, v2, s0
	s_delay_alu instid0(VALU_DEP_2) | instskip(NEXT) | instid1(VALU_DEP_1)
	v_mov_b32_e32 v3, v10
	v_mad_u64_u32 v[10:11], null, 0x4e441529, v13, v[3:4]
	s_delay_alu instid0(VALU_DEP_1) | instskip(NEXT) | instid1(VALU_DEP_1)
	v_mov_b32_e32 v3, v11
	v_mad_u64_u32 v[11:12], null, 0xa2f9836e, v13, v[3:4]
	v_cndmask_b32_e64 v3, 0, 0xffffffe0, s1
	s_delay_alu instid0(VALU_DEP_1) | instskip(NEXT) | instid1(VALU_DEP_3)
	v_dual_cndmask_b32 v4, v10, v8 :: v_dual_add_nc_u32 v3, v3, v14
	v_dual_cndmask_b32 v11, v11, v9 :: v_dual_cndmask_b32 v10, v12, v10
	v_cndmask_b32_e32 v9, v9, v7, vcc_lo
	s_delay_alu instid0(VALU_DEP_3) | instskip(NEXT) | instid1(VALU_DEP_3)
	v_cmp_eq_u32_e64 s2, 0, v3
	v_cndmask_b32_e64 v8, v11, v4, s0
	s_delay_alu instid0(VALU_DEP_4) | instskip(NEXT) | instid1(VALU_DEP_4)
	v_cndmask_b32_e64 v10, v10, v11, s0
	v_cndmask_b32_e64 v4, v4, v9, s0
	v_sub_nc_u32_e32 v11, 32, v3
	v_cndmask_b32_e64 v9, v9, v6, s0
	s_delay_alu instid0(VALU_DEP_4) | instskip(NEXT) | instid1(VALU_DEP_4)
	v_cndmask_b32_e64 v10, v10, v8, s1
	v_cndmask_b32_e64 v8, v8, v4, s1
	s_delay_alu instid0(VALU_DEP_3) | instskip(SKIP_1) | instid1(VALU_DEP_3)
	v_cndmask_b32_e64 v4, v4, v9, s1
	v_cndmask_b32_e64 v2, v9, v2, s1
	v_alignbit_b32 v12, v10, v8, v11
	s_delay_alu instid0(VALU_DEP_3) | instskip(NEXT) | instid1(VALU_DEP_3)
	v_alignbit_b32 v13, v8, v4, v11
	v_alignbit_b32 v11, v4, v2, v11
	s_delay_alu instid0(VALU_DEP_3) | instskip(NEXT) | instid1(VALU_DEP_3)
	v_cndmask_b32_e64 v3, v12, v10, s2
	v_cndmask_b32_e64 v7, v13, v8, s2
	s_delay_alu instid0(VALU_DEP_3) | instskip(NEXT) | instid1(VALU_DEP_3)
	v_cndmask_b32_e64 v4, v11, v4, s2
	v_bfe_u32 v8, v3, 29, 1
	s_delay_alu instid0(VALU_DEP_3) | instskip(NEXT) | instid1(VALU_DEP_3)
	v_alignbit_b32 v6, v3, v7, 30
	v_alignbit_b32 v7, v7, v4, 30
	;; [unrolled: 1-line block ×3, first 2 shown]
	s_delay_alu instid0(VALU_DEP_4) | instskip(NEXT) | instid1(VALU_DEP_1)
	v_sub_nc_u32_e32 v10, 0, v8
	v_xor_b32_e32 v9, v6, v10
	v_cmp_ne_u32_e32 vcc_lo, v6, v10
	v_xor_b32_e32 v4, v7, v10
	v_xor_b32_e32 v2, v2, v10
	s_delay_alu instid0(VALU_DEP_4) | instskip(NEXT) | instid1(VALU_DEP_1)
	v_clz_i32_u32_e32 v12, v9
	v_add_nc_u32_e32 v11, 1, v12
	s_delay_alu instid0(VALU_DEP_1) | instskip(NEXT) | instid1(VALU_DEP_1)
	v_cndmask_b32_e32 v6, 33, v11, vcc_lo
	v_sub_nc_u32_e32 v7, 32, v6
	s_delay_alu instid0(VALU_DEP_1) | instskip(SKIP_3) | instid1(VALU_DEP_3)
	v_alignbit_b32 v9, v9, v4, v7
	v_alignbit_b32 v2, v4, v2, v7
	v_lshrrev_b32_e32 v4, 29, v3
	v_lshrrev_b32_e32 v3, 30, v3
	v_alignbit_b32 v7, v9, v2, 9
	s_delay_alu instid0(VALU_DEP_3) | instskip(SKIP_1) | instid1(VALU_DEP_4)
	v_lshlrev_b32_e32 v4, 31, v4
	v_alignbit_b32 v9, v6, v9, 9
	v_add_nc_u32_e32 v3, v8, v3
	s_delay_alu instid0(VALU_DEP_4) | instskip(NEXT) | instid1(VALU_DEP_3)
	v_clz_i32_u32_e32 v10, v7
	v_or_b32_e32 v9, v9, v4
	v_or_b32_e32 v4, 0x33800000, v4
	s_delay_alu instid0(VALU_DEP_3) | instskip(NEXT) | instid1(VALU_DEP_3)
	v_min_u32_e32 v10, 32, v10
	v_xor_b32_e32 v9, 1.0, v9
	s_delay_alu instid0(VALU_DEP_2) | instskip(SKIP_1) | instid1(VALU_DEP_3)
	v_sub_nc_u32_e32 v11, 31, v10
	v_add_lshl_u32 v6, v10, v6, 23
	v_mul_f32_e32 v10, 0x3fc90fda, v9
	s_delay_alu instid0(VALU_DEP_3) | instskip(NEXT) | instid1(VALU_DEP_3)
	v_alignbit_b32 v2, v7, v2, v11
	v_sub_nc_u32_e32 v4, v4, v6
	s_delay_alu instid0(VALU_DEP_3) | instskip(NEXT) | instid1(VALU_DEP_3)
	v_fma_f32 v6, 0x3fc90fda, v9, -v10
	v_lshrrev_b32_e32 v2, 9, v2
	s_delay_alu instid0(VALU_DEP_2) | instskip(NEXT) | instid1(VALU_DEP_2)
	v_fmamk_f32 v6, v9, 0x33a22168, v6
	v_or_b32_e32 v2, v4, v2
	s_delay_alu instid0(VALU_DEP_1) | instskip(NEXT) | instid1(VALU_DEP_1)
	v_fmac_f32_e32 v6, 0x3fc90fda, v2
	v_add_f32_e32 v2, v10, v6
	s_or_saveexec_b32 s0, s5
	v_mul_f32_e64 v7, 0x3f22f983, |v0|
	s_xor_b32 exec_lo, exec_lo, s0
	s_branch .LBB22_689
.LBB22_687:
	s_mov_b32 s3, 0
	s_mov_b32 s0, s48
	s_branch .LBB22_818
.LBB22_688:
	s_or_saveexec_b32 s0, s5
	v_mul_f32_e64 v7, 0x3f22f983, |v0|
	s_xor_b32 exec_lo, exec_lo, s0
.LBB22_689:
	s_delay_alu instid0(VALU_DEP_1) | instskip(NEXT) | instid1(VALU_DEP_1)
	v_rndne_f32_e32 v3, v7
	v_fma_f32 v2, 0xbfc90fda, v3, |v0|
	s_delay_alu instid0(VALU_DEP_1) | instskip(NEXT) | instid1(VALU_DEP_1)
	v_fmamk_f32 v2, v3, 0xb3a22168, v2
	v_fmamk_f32 v2, v3, 0xa7c234c4, v2
	v_cvt_i32_f32_e32 v3, v3
; %bb.690:
	s_or_b32 exec_lo, exec_lo, s0
                                        ; implicit-def: $vgpr6
                                        ; implicit-def: $vgpr4
	s_and_saveexec_b32 s0, s4
	s_delay_alu instid0(SALU_CYCLE_1)
	s_xor_b32 s4, exec_lo, s0
	s_cbranch_execz .LBB22_692
; %bb.691:
	s_mov_b32 s0, 0x7fffff
	v_mov_b32_e32 v8, 0
	v_and_or_b32 v15, v1, s0, 0x800000
	s_delay_alu instid0(VALU_DEP_1) | instskip(NEXT) | instid1(VALU_DEP_1)
	v_mad_u64_u32 v[6:7], null, 0xfe5163ab, v15, 0
	v_mad_u64_u32 v[9:10], null, 0x3c439041, v15, v[7:8]
	s_delay_alu instid0(VALU_DEP_1) | instskip(NEXT) | instid1(VALU_DEP_1)
	v_mov_b32_e32 v7, v10
	v_mad_u64_u32 v[10:11], null, 0xdb629599, v15, v[7:8]
	s_delay_alu instid0(VALU_DEP_1) | instskip(NEXT) | instid1(VALU_DEP_1)
	v_mov_b32_e32 v7, v11
	v_mad_u64_u32 v[11:12], null, 0xf534ddc0, v15, v[7:8]
	s_delay_alu instid0(VALU_DEP_1) | instskip(NEXT) | instid1(VALU_DEP_1)
	v_dual_mov_b32 v7, v12 :: v_dual_add_nc_u32 v12, 0xffffff88, v5
	v_mad_u64_u32 v[4:5], null, 0xfc2757d1, v15, v[7:8]
	s_delay_alu instid0(VALU_DEP_2) | instskip(SKIP_1) | instid1(VALU_DEP_3)
	v_cmp_lt_u32_e32 vcc_lo, 63, v12
	v_cndmask_b32_e64 v13, 0, 0xffffffc0, vcc_lo
	v_dual_mov_b32 v7, v5 :: v_dual_cndmask_b32 v6, v10, v6
	s_delay_alu instid0(VALU_DEP_2) | instskip(NEXT) | instid1(VALU_DEP_2)
	v_add_nc_u32_e32 v5, v13, v12
	v_mad_u64_u32 v[12:13], null, 0x4e441529, v15, v[7:8]
	s_delay_alu instid0(VALU_DEP_2) | instskip(NEXT) | instid1(VALU_DEP_2)
	v_cmp_lt_u32_e64 s0, 31, v5
	v_mov_b32_e32 v7, v13
	s_delay_alu instid0(VALU_DEP_2) | instskip(NEXT) | instid1(VALU_DEP_1)
	v_cndmask_b32_e64 v14, 0, 0xffffffe0, s0
	v_add_nc_u32_e32 v5, v14, v5
	s_delay_alu instid0(VALU_DEP_3) | instskip(SKIP_1) | instid1(VALU_DEP_3)
	v_mad_u64_u32 v[13:14], null, 0xa2f9836e, v15, v[7:8]
	v_cndmask_b32_e32 v8, v12, v11, vcc_lo
	v_cmp_lt_u32_e64 s1, 31, v5
	s_delay_alu instid0(VALU_DEP_3) | instskip(NEXT) | instid1(VALU_DEP_2)
	v_cndmask_b32_e32 v13, v13, v4, vcc_lo
	v_cndmask_b32_e64 v7, 0, 0xffffffe0, s1
	v_cndmask_b32_e32 v12, v14, v12, vcc_lo
	s_delay_alu instid0(VALU_DEP_2) | instskip(SKIP_2) | instid1(VALU_DEP_4)
	v_dual_cndmask_b32 v4, v4, v10 :: v_dual_add_nc_u32 v5, v7, v5
	v_cndmask_b32_e32 v7, v11, v9, vcc_lo
	v_cndmask_b32_e64 v9, v13, v8, s0
	v_cndmask_b32_e64 v11, v12, v13, s0
	s_delay_alu instid0(VALU_DEP_4)
	v_cndmask_b32_e64 v8, v8, v4, s0
	v_sub_nc_u32_e32 v12, 32, v5
	v_cndmask_b32_e64 v4, v4, v7, s0
	v_cmp_eq_u32_e64 s2, 0, v5
	v_cndmask_b32_e64 v11, v11, v9, s1
	v_cndmask_b32_e64 v9, v9, v8, s1
	;; [unrolled: 1-line block ×4, first 2 shown]
	s_delay_alu instid0(VALU_DEP_3) | instskip(NEXT) | instid1(VALU_DEP_3)
	v_alignbit_b32 v13, v11, v9, v12
	v_cndmask_b32_e64 v4, v4, v6, s1
	s_delay_alu instid0(VALU_DEP_3) | instskip(NEXT) | instid1(VALU_DEP_3)
	v_alignbit_b32 v14, v9, v8, v12
	v_cndmask_b32_e64 v5, v13, v11, s2
	s_delay_alu instid0(VALU_DEP_3) | instskip(NEXT) | instid1(VALU_DEP_3)
	v_alignbit_b32 v12, v8, v4, v12
	v_cndmask_b32_e64 v9, v14, v9, s2
	s_delay_alu instid0(VALU_DEP_3) | instskip(NEXT) | instid1(VALU_DEP_3)
	v_bfe_u32 v10, v5, 29, 1
	v_cndmask_b32_e64 v8, v12, v8, s2
	s_delay_alu instid0(VALU_DEP_3) | instskip(NEXT) | instid1(VALU_DEP_3)
	v_alignbit_b32 v7, v5, v9, 30
	v_sub_nc_u32_e32 v11, 0, v10
	s_delay_alu instid0(VALU_DEP_3) | instskip(SKIP_1) | instid1(VALU_DEP_3)
	v_alignbit_b32 v9, v9, v8, 30
	v_alignbit_b32 v4, v8, v4, 30
	v_xor_b32_e32 v6, v7, v11
	v_cmp_ne_u32_e32 vcc_lo, v7, v11
	s_delay_alu instid0(VALU_DEP_4) | instskip(NEXT) | instid1(VALU_DEP_4)
	v_xor_b32_e32 v8, v9, v11
	v_xor_b32_e32 v4, v4, v11
	s_delay_alu instid0(VALU_DEP_4) | instskip(NEXT) | instid1(VALU_DEP_1)
	v_clz_i32_u32_e32 v13, v6
	v_add_nc_u32_e32 v12, 1, v13
	s_delay_alu instid0(VALU_DEP_1) | instskip(NEXT) | instid1(VALU_DEP_1)
	v_cndmask_b32_e32 v7, 33, v12, vcc_lo
	v_sub_nc_u32_e32 v9, 32, v7
	s_delay_alu instid0(VALU_DEP_1) | instskip(SKIP_3) | instid1(VALU_DEP_3)
	v_alignbit_b32 v6, v6, v8, v9
	v_alignbit_b32 v4, v8, v4, v9
	v_lshrrev_b32_e32 v8, 29, v5
	v_lshrrev_b32_e32 v5, 30, v5
	v_alignbit_b32 v9, v6, v4, 9
	s_delay_alu instid0(VALU_DEP_3) | instskip(SKIP_1) | instid1(VALU_DEP_3)
	v_lshlrev_b32_e32 v8, 31, v8
	v_alignbit_b32 v6, v7, v6, 9
	v_clz_i32_u32_e32 v11, v9
	s_delay_alu instid0(VALU_DEP_2) | instskip(SKIP_1) | instid1(VALU_DEP_3)
	v_or_b32_e32 v6, v6, v8
	v_or_b32_e32 v8, 0x33800000, v8
	v_min_u32_e32 v11, 32, v11
	s_delay_alu instid0(VALU_DEP_3) | instskip(NEXT) | instid1(VALU_DEP_2)
	v_xor_b32_e32 v6, 1.0, v6
	v_sub_nc_u32_e32 v12, 31, v11
	v_add_lshl_u32 v7, v11, v7, 23
	s_delay_alu instid0(VALU_DEP_3) | instskip(NEXT) | instid1(VALU_DEP_3)
	v_mul_f32_e32 v11, 0x3fc90fda, v6
	v_alignbit_b32 v4, v9, v4, v12
	s_delay_alu instid0(VALU_DEP_3) | instskip(NEXT) | instid1(VALU_DEP_3)
	v_sub_nc_u32_e32 v7, v8, v7
	v_fma_f32 v8, 0x3fc90fda, v6, -v11
	s_delay_alu instid0(VALU_DEP_3) | instskip(NEXT) | instid1(VALU_DEP_2)
	v_lshrrev_b32_e32 v4, 9, v4
	v_fmamk_f32 v6, v6, 0x33a22168, v8
	s_delay_alu instid0(VALU_DEP_2) | instskip(NEXT) | instid1(VALU_DEP_1)
	v_or_b32_e32 v4, v7, v4
                                        ; implicit-def: $vgpr7
	v_fmac_f32_e32 v6, 0x3fc90fda, v4
	s_delay_alu instid0(VALU_DEP_1)
	v_add_f32_e32 v4, v11, v6
	v_add_nc_u32_e32 v6, v10, v5
	s_and_not1_saveexec_b32 s0, s4
	s_cbranch_execnz .LBB22_693
	s_branch .LBB22_694
.LBB22_692:
	s_and_not1_saveexec_b32 s0, s4
.LBB22_693:
	v_rndne_f32_e32 v5, v7
	s_delay_alu instid0(VALU_DEP_1) | instskip(SKIP_1) | instid1(VALU_DEP_2)
	v_fma_f32 v4, 0xbfc90fda, v5, |v0|
	v_cvt_i32_f32_e32 v6, v5
	v_fmamk_f32 v4, v5, 0xb3a22168, v4
	s_delay_alu instid0(VALU_DEP_1)
	v_fmamk_f32 v4, v5, 0xa7c234c4, v4
.LBB22_694:
	s_or_b32 exec_lo, exec_lo, s0
	v_div_scale_f32 v5, null, v41, v41, 0x40a00000
	v_div_scale_f32 v9, vcc_lo, 0x40a00000, v41, 0x40a00000
	s_mov_b32 s0, 0xb94c1982
	s_delay_alu instid0(VALU_DEP_2) | instskip(SKIP_4) | instid1(VALU_DEP_1)
	v_rcp_f32_e32 v7, v5
	s_mov_b32 s1, 0x37d75334
	v_xor_b32_e32 v1, v1, v0
	s_waitcnt_depctr 0xfff
	v_fma_f32 v8, -v5, v7, 1.0
	v_fmac_f32_e32 v7, v8, v7
	s_delay_alu instid0(VALU_DEP_1) | instskip(NEXT) | instid1(VALU_DEP_1)
	v_mul_f32_e32 v8, v9, v7
	v_fma_f32 v10, -v5, v8, v9
	s_delay_alu instid0(VALU_DEP_1) | instskip(SKIP_1) | instid1(VALU_DEP_2)
	v_fmac_f32_e32 v8, v10, v7
	v_mul_f32_e32 v10, v4, v4
	v_fma_f32 v5, -v5, v8, v9
	s_delay_alu instid0(VALU_DEP_2) | instskip(SKIP_1) | instid1(VALU_DEP_3)
	v_fmaak_f32 v19, s0, v10, 0x3c0881c4
	v_fmaak_f32 v20, s1, v10, 0xbab64f3b
	v_div_fmas_f32 v5, v5, v7, v8
	v_mul_f32_e32 v7, v2, v2
	s_delay_alu instid0(VALU_DEP_4)
	v_fmaak_f32 v19, v10, v19, 0xbe2aaa9d
	v_mul_f32_e32 v16, 0x4f800000, v41
	v_fmaak_f32 v20, v10, v20, 0x3d2aabf7
	v_div_fixup_f32 v5, v5, v41, 0x40a00000
	v_fmaak_f32 v17, s0, v7, 0x3c0881c4
	v_cmp_gt_f32_e64 s0, 0xf800000, v41
	v_fmaak_f32 v18, s1, v7, 0xbab64f3b
	v_mul_f32_e32 v19, v10, v19
	v_dual_mul_f32 v9, v5, v5 :: v_dual_and_b32 v8, 1, v3
	v_lshlrev_b32_e32 v3, 30, v3
	v_and_b32_e32 v11, 1, v6
	v_cndmask_b32_e64 v16, v41, v16, s0
	s_delay_alu instid0(VALU_DEP_4) | instskip(SKIP_3) | instid1(VALU_DEP_4)
	v_fmaak_f32 v14, 0, v9, 0x3a47c962
	v_fmaak_f32 v13, 0, v9, 0x3a15c4d9
	;; [unrolled: 1-line block ×3, first 2 shown]
	v_dual_fmaak_f32 v15, 0, v9, 0x42947983 :: v_dual_lshlrev_b32 v6, 30, v6
	v_fmaak_f32 v14, v9, v14, 0x3d95ca45
	s_delay_alu instid0(VALU_DEP_4) | instskip(SKIP_2) | instid1(VALU_DEP_3)
	v_dual_fmaak_f32 v13, v9, v13, 0x3d8cfeeb :: v_dual_fmac_f32 v4, v4, v19
	v_sqrt_f32_e32 v24, v16
	v_fmaak_f32 v17, v7, v17, 0xbe2aaa9d
	v_fmaak_f32 v14, v9, v14, 0x3f9047f6
	s_delay_alu instid0(VALU_DEP_3)
	v_fmaak_f32 v13, v9, v13, 0x3f8d754e
	v_fmaak_f32 v12, v9, v12, 0x409f6dae
	;; [unrolled: 1-line block ×3, first 2 shown]
	v_mul_f32_e32 v17, v7, v17
	v_fmaak_f32 v15, v9, v15, 0x44840e5d
	v_fmaak_f32 v20, v10, v20, 0xbf000004
	v_cmp_eq_u32_e64 s2, 0, v8
	v_fmaak_f32 v18, v7, v18, 0xbf000004
	v_fmac_f32_e32 v2, v2, v17
	v_fmaak_f32 v13, v9, v13, 0x40a25d18
	v_fmaak_f32 v15, v9, v15, 0x459bd349
	v_fma_f32 v10, v10, v20, 1.0
	v_fma_f32 v7, v7, v18, 1.0
	v_and_b32_e32 v3, 0x80000000, v3
	v_dual_fmaak_f32 v14, v9, v14, 0x40a39628 :: v_dual_add_nc_u32 v19, -1, v24
	v_fmaak_f32 v13, v9, v13, 0x410665cf
	v_fmaak_f32 v15, v9, v15, 0x46156947
	v_cndmask_b32_e64 v2, v7, v2, s2
	v_cmp_eq_u32_e64 s2, 0, v11
	v_fmaak_f32 v14, v9, v14, 0x4106c8e4
	v_fmaak_f32 v13, v9, v13, 0x40a6b6ea
	;; [unrolled: 1-line block ×3, first 2 shown]
	v_fma_f32 v7, -v19, v24, v16
	v_cndmask_b32_e64 v4, -v4, v10, s2
	v_fmaak_f32 v14, v9, v14, 0x40a6dd51
	v_fma_f32 v13, v9, v13, 1.0
	v_fmaak_f32 v15, v9, v15, 0x4530a316
	v_xor3_b32 v1, v1, v3, v2
	v_and_b32_e32 v6, 0x80000000, v6
	v_fma_f32 v14, v9, v14, 1.0
	s_delay_alu instid0(VALU_DEP_4) | instskip(NEXT) | instid1(VALU_DEP_3)
	v_fmaak_f32 v15, v9, v15, 0x43a80bfb
	v_xor_b32_e32 v4, v6, v4
	s_delay_alu instid0(VALU_DEP_3) | instskip(SKIP_1) | instid1(VALU_DEP_1)
	v_div_scale_f32 v27, vcc_lo, v14, v13, v14
	v_fmaak_f32 v12, v9, v12, 0x4297a5cd
	v_fmaak_f32 v12, v9, v12, 0x43b763ca
	s_delay_alu instid0(VALU_DEP_1) | instskip(NEXT) | instid1(VALU_DEP_1)
	v_fmaak_f32 v12, v9, v12, 0x4431b6ce
	v_fmaak_f32 v12, v9, v12, 0x44155f56
	s_delay_alu instid0(VALU_DEP_1) | instskip(NEXT) | instid1(VALU_DEP_1)
	v_fmaak_f32 v12, v9, v12, 0x4353b052
	v_fmaak_f32 v9, v9, v12, 0x41c9a7fa
	v_div_scale_f32 v12, null, v13, v13, v14
	s_delay_alu instid0(VALU_DEP_2) | instskip(NEXT) | instid1(VALU_DEP_2)
	v_div_scale_f32 v21, null, v15, v15, v9
	v_rcp_f32_e32 v22, v12
	s_delay_alu instid0(VALU_DEP_1) | instskip(SKIP_3) | instid1(VALU_DEP_2)
	v_rcp_f32_e32 v23, v21
	s_waitcnt_depctr 0xfff
	v_fma_f32 v25, -v12, v22, 1.0
	v_fma_f32 v26, -v21, v23, 1.0
	v_fmac_f32_e32 v22, v25, v22
	v_div_scale_f32 v25, s1, v9, v15, v9
	s_delay_alu instid0(VALU_DEP_3) | instskip(NEXT) | instid1(VALU_DEP_1)
	v_dual_fmac_f32 v23, v26, v23 :: v_dual_add_nc_u32 v26, 1, v24
	v_dual_mul_f32 v17, v27, v22 :: v_dual_mul_f32 v18, v25, v23
	s_delay_alu instid0(VALU_DEP_2) | instskip(NEXT) | instid1(VALU_DEP_2)
	v_fma_f32 v8, -v26, v24, v16
	v_fma_f32 v20, -v12, v17, v27
	s_delay_alu instid0(VALU_DEP_3) | instskip(NEXT) | instid1(VALU_DEP_2)
	v_fma_f32 v28, -v21, v18, v25
	v_fmac_f32_e32 v17, v20, v22
	s_delay_alu instid0(VALU_DEP_2) | instskip(NEXT) | instid1(VALU_DEP_2)
	v_fmac_f32_e32 v18, v28, v23
	v_fma_f32 v10, -v12, v17, v27
	s_delay_alu instid0(VALU_DEP_2) | instskip(NEXT) | instid1(VALU_DEP_2)
	v_fma_f32 v2, -v21, v18, v25
	v_div_fmas_f32 v3, v10, v22, v17
	s_mov_b32 vcc_lo, s1
	v_cmp_lt_f32_e64 s1, 0, v8
	s_delay_alu instid0(VALU_DEP_3)
	v_div_fmas_f32 v2, v2, v23, v18
	v_cmp_ge_f32_e32 vcc_lo, 0, v7
	v_div_fixup_f32 v3, v3, v13, v14
	v_cndmask_b32_e32 v6, v24, v19, vcc_lo
	v_cmp_class_f32_e64 vcc_lo, v0, 0x1f8
	v_div_fixup_f32 v0, v2, v15, v9
	s_delay_alu instid0(VALU_DEP_3) | instskip(SKIP_1) | instid1(VALU_DEP_3)
	v_cndmask_b32_e64 v2, v6, v26, s1
	v_cndmask_b32_e32 v4, 0x7fc00000, v4, vcc_lo
	v_dual_mul_f32 v0, v5, v0 :: v_dual_cndmask_b32 v1, 0x7fc00000, v1
	v_cmp_class_f32_e64 vcc_lo, v16, 0x260
	s_delay_alu instid0(VALU_DEP_2) | instskip(NEXT) | instid1(VALU_DEP_1)
	v_dual_mul_f32 v5, 0x37800000, v2 :: v_dual_mul_f32 v0, v0, v4
	v_cndmask_b32_e64 v2, v2, v5, s0
	s_delay_alu instid0(VALU_DEP_1) | instskip(NEXT) | instid1(VALU_DEP_1)
	v_dual_fmac_f32 v0, v3, v1 :: v_dual_cndmask_b32 v1, v2, v16
	v_mul_f32_e32 v0, 0x3f4c422a, v0
	s_delay_alu instid0(VALU_DEP_1) | instskip(NEXT) | instid1(VALU_DEP_1)
	v_div_scale_f32 v2, null, v1, v1, v0
	v_rcp_f32_e32 v3, v2
	s_waitcnt_depctr 0xfff
	v_fma_f32 v4, -v2, v3, 1.0
	s_delay_alu instid0(VALU_DEP_1) | instskip(SKIP_1) | instid1(VALU_DEP_1)
	v_fmac_f32_e32 v3, v4, v3
	v_div_scale_f32 v4, vcc_lo, v0, v1, v0
	v_mul_f32_e32 v5, v4, v3
	s_delay_alu instid0(VALU_DEP_1) | instskip(NEXT) | instid1(VALU_DEP_1)
	v_fma_f32 v6, -v2, v5, v4
	v_fmac_f32_e32 v5, v6, v3
	s_delay_alu instid0(VALU_DEP_1) | instskip(NEXT) | instid1(VALU_DEP_1)
	v_fma_f32 v2, -v2, v5, v4
	v_div_fmas_f32 v2, v2, v3, v5
	s_delay_alu instid0(VALU_DEP_1)
	v_div_fixup_f32 v0, v2, v1, v0
.LBB22_695:
	s_or_b32 exec_lo, exec_lo, s3
	v_mul_lo_u32 v1, v45, s40
	v_and_b32_e32 v4, 0xff, v43
	s_delay_alu instid0(VALU_DEP_1) | instskip(NEXT) | instid1(VALU_DEP_3)
	v_cmp_gt_i16_e32 vcc_lo, 11, v4
	v_ashrrev_i32_e32 v3, 31, v1
	v_add_co_u32 v2, s0, s36, v1
	s_delay_alu instid0(VALU_DEP_1)
	v_add_co_ci_u32_e64 v3, s0, s37, v3, s0
	s_cbranch_vccnz .LBB22_702
; %bb.696:
	v_cmp_lt_i16_e32 vcc_lo, 25, v4
	s_cbranch_vccz .LBB22_703
; %bb.697:
	v_cmp_lt_i16_e32 vcc_lo, 28, v4
	s_cbranch_vccz .LBB22_704
	;; [unrolled: 3-line block ×4, first 2 shown]
; %bb.700:
	v_cmp_eq_u16_e32 vcc_lo, 46, v4
	s_mov_b32 s2, 0
	s_mov_b32 s0, -1
	s_mov_b32 s1, 0
	s_cbranch_vccz .LBB22_707
; %bb.701:
	v_bfe_u32 v1, v0, 16, 1
	v_cmp_o_f32_e32 vcc_lo, v0, v0
	s_mov_b32 s1, -1
	s_mov_b32 s0, 0
	s_delay_alu instid0(VALU_DEP_2) | instskip(NEXT) | instid1(VALU_DEP_1)
	v_add3_u32 v1, v0, v1, 0x7fff
	v_lshrrev_b32_e32 v1, 16, v1
	s_delay_alu instid0(VALU_DEP_1)
	v_cndmask_b32_e32 v1, 0x7fc0, v1, vcc_lo
	global_store_b32 v[2:3], v1, off
	s_branch .LBB22_707
.LBB22_702:
	s_mov_b32 s2, -1
	s_mov_b32 s1, 0
	s_mov_b32 s0, s48
	s_branch .LBB22_776
.LBB22_703:
	s_mov_b32 s2, -1
	s_mov_b32 s1, 0
	s_mov_b32 s0, s48
	s_branch .LBB22_734
.LBB22_704:
	s_mov_b32 s2, -1
	s_mov_b32 s1, 0
	s_mov_b32 s0, s48
	s_branch .LBB22_717
.LBB22_705:
	s_mov_b32 s2, -1
	s_mov_b32 s1, 0
	s_mov_b32 s0, s48
	s_branch .LBB22_713
.LBB22_706:
	s_mov_b32 s2, -1
	s_mov_b32 s1, 0
	s_mov_b32 s0, s48
.LBB22_707:
	s_and_b32 vcc_lo, exec_lo, s2
	s_cbranch_vccz .LBB22_712
; %bb.708:
	v_cmp_eq_u16_e32 vcc_lo, 44, v4
	s_mov_b32 s0, -1
	s_cbranch_vccz .LBB22_712
; %bb.709:
	v_bfe_u32 v5, v0, 23, 8
	v_mov_b32_e32 v1, 0xff
	s_mov_b32 s1, exec_lo
	s_delay_alu instid0(VALU_DEP_2)
	v_cmpx_ne_u32_e32 0xff, v5
; %bb.710:
	v_and_b32_e32 v1, 0x400000, v0
	v_and_or_b32 v5, 0x3fffff, v0, v5
	s_delay_alu instid0(VALU_DEP_2) | instskip(NEXT) | instid1(VALU_DEP_2)
	v_cmp_ne_u32_e32 vcc_lo, 0, v1
	v_cmp_ne_u32_e64 s0, 0, v5
	v_lshrrev_b32_e32 v1, 23, v0
	s_delay_alu instid0(VALU_DEP_2) | instskip(NEXT) | instid1(SALU_CYCLE_1)
	s_and_b32 s0, vcc_lo, s0
	v_cndmask_b32_e64 v5, 0, 1, s0
	s_delay_alu instid0(VALU_DEP_1)
	v_add_nc_u32_e32 v1, v1, v5
; %bb.711:
	s_or_b32 exec_lo, exec_lo, s1
	s_mov_b32 s1, -1
	s_mov_b32 s0, 0
	global_store_b8 v[2:3], v1, off
.LBB22_712:
	s_mov_b32 s2, 0
.LBB22_713:
	s_delay_alu instid0(SALU_CYCLE_1)
	s_and_b32 vcc_lo, exec_lo, s2
	s_cbranch_vccz .LBB22_716
; %bb.714:
	v_cmp_eq_u16_e32 vcc_lo, 29, v4
	s_mov_b32 s0, -1
	s_cbranch_vccz .LBB22_716
; %bb.715:
	v_trunc_f32_e32 v1, v0
	s_mov_b32 s1, -1
	s_mov_b32 s0, 0
	s_mov_b32 s2, 0
	s_delay_alu instid0(VALU_DEP_1) | instskip(NEXT) | instid1(VALU_DEP_1)
	v_mul_f32_e32 v5, 0x2f800000, v1
	v_floor_f32_e32 v5, v5
	s_delay_alu instid0(VALU_DEP_1) | instskip(SKIP_1) | instid1(VALU_DEP_2)
	v_fmamk_f32 v1, v5, 0xcf800000, v1
	v_cvt_u32_f32_e32 v6, v5
	v_cvt_u32_f32_e32 v5, v1
	global_store_b64 v[2:3], v[5:6], off
	s_branch .LBB22_717
.LBB22_716:
	s_mov_b32 s2, 0
.LBB22_717:
	s_delay_alu instid0(SALU_CYCLE_1)
	s_and_b32 vcc_lo, exec_lo, s2
	s_cbranch_vccz .LBB22_733
; %bb.718:
	v_cmp_gt_i16_e32 vcc_lo, 27, v4
	s_mov_b32 s1, -1
	s_cbranch_vccnz .LBB22_724
; %bb.719:
	v_cmp_lt_i16_e32 vcc_lo, 27, v4
	s_cbranch_vccz .LBB22_721
; %bb.720:
	v_cvt_u32_f32_e32 v1, v0
	s_mov_b32 s1, 0
	global_store_b32 v[2:3], v1, off
.LBB22_721:
	s_and_not1_b32 vcc_lo, exec_lo, s1
	s_cbranch_vccnz .LBB22_723
; %bb.722:
	v_cvt_u32_f32_e32 v1, v0
	global_store_b16 v[2:3], v1, off
.LBB22_723:
	s_mov_b32 s1, 0
.LBB22_724:
	s_delay_alu instid0(SALU_CYCLE_1)
	s_and_not1_b32 vcc_lo, exec_lo, s1
	s_cbranch_vccnz .LBB22_732
; %bb.725:
	v_and_b32_e32 v1, 0x7fffffff, v0
	v_mov_b32_e32 v5, 0x80
	s_mov_b32 s1, exec_lo
	s_delay_alu instid0(VALU_DEP_2)
	v_cmpx_gt_u32_e32 0x43800000, v1
	s_cbranch_execz .LBB22_731
; %bb.726:
	v_cmp_lt_u32_e32 vcc_lo, 0x3bffffff, v1
	s_mov_b32 s2, 0
                                        ; implicit-def: $vgpr1
	s_and_saveexec_b32 s3, vcc_lo
	s_delay_alu instid0(SALU_CYCLE_1)
	s_xor_b32 s3, exec_lo, s3
	s_cbranch_execz .LBB22_833
; %bb.727:
	v_bfe_u32 v1, v0, 20, 1
	s_mov_b32 s2, exec_lo
	s_delay_alu instid0(VALU_DEP_1) | instskip(NEXT) | instid1(VALU_DEP_1)
	v_add3_u32 v1, v0, v1, 0x487ffff
	v_lshrrev_b32_e32 v1, 20, v1
	s_or_saveexec_b32 s3, s3
                                        ; implicit-def: $sgpr4
	s_delay_alu instid0(SALU_CYCLE_1)
	s_xor_b32 exec_lo, exec_lo, s3
	s_cbranch_execnz .LBB22_834
.LBB22_728:
	s_or_b32 exec_lo, exec_lo, s3
	v_mov_b32_e32 v5, s4
	s_and_saveexec_b32 s3, s2
.LBB22_729:
	v_lshrrev_b32_e32 v5, 24, v0
	s_delay_alu instid0(VALU_DEP_1)
	v_and_or_b32 v5, 0x80, v5, v1
.LBB22_730:
	s_or_b32 exec_lo, exec_lo, s3
.LBB22_731:
	s_delay_alu instid0(SALU_CYCLE_1)
	s_or_b32 exec_lo, exec_lo, s1
	global_store_b8 v[2:3], v5, off
.LBB22_732:
	s_mov_b32 s1, -1
.LBB22_733:
	s_mov_b32 s2, 0
.LBB22_734:
	s_delay_alu instid0(SALU_CYCLE_1)
	s_and_b32 vcc_lo, exec_lo, s2
	s_cbranch_vccz .LBB22_775
; %bb.735:
	v_cmp_lt_i16_e32 vcc_lo, 22, v4
	s_mov_b32 s2, -1
	s_cbranch_vccz .LBB22_767
; %bb.736:
	v_cmp_gt_i16_e32 vcc_lo, 24, v4
	s_mov_b32 s1, -1
	s_cbranch_vccnz .LBB22_756
; %bb.737:
	v_cmp_lt_i16_e32 vcc_lo, 24, v4
	s_cbranch_vccz .LBB22_745
; %bb.738:
	v_and_b32_e32 v1, 0x7fffffff, v0
	v_mov_b32_e32 v5, 0x80
	s_mov_b32 s1, exec_lo
	s_delay_alu instid0(VALU_DEP_2)
	v_cmpx_gt_u32_e32 0x47800000, v1
	s_cbranch_execz .LBB22_744
; %bb.739:
	v_cmp_lt_u32_e32 vcc_lo, 0x37ffffff, v1
	s_mov_b32 s2, 0
                                        ; implicit-def: $vgpr1
	s_and_saveexec_b32 s3, vcc_lo
	s_delay_alu instid0(SALU_CYCLE_1)
	s_xor_b32 s3, exec_lo, s3
	s_cbranch_execz .LBB22_836
; %bb.740:
	v_bfe_u32 v1, v0, 21, 1
	s_mov_b32 s2, exec_lo
	s_delay_alu instid0(VALU_DEP_1) | instskip(NEXT) | instid1(VALU_DEP_1)
	v_add3_u32 v1, v0, v1, 0x88fffff
	v_lshrrev_b32_e32 v1, 21, v1
	s_or_saveexec_b32 s3, s3
                                        ; implicit-def: $sgpr4
	s_delay_alu instid0(SALU_CYCLE_1)
	s_xor_b32 exec_lo, exec_lo, s3
	s_cbranch_execnz .LBB22_837
.LBB22_741:
	s_or_b32 exec_lo, exec_lo, s3
	v_mov_b32_e32 v5, s4
	s_and_saveexec_b32 s3, s2
.LBB22_742:
	v_lshrrev_b32_e32 v5, 24, v0
	s_delay_alu instid0(VALU_DEP_1)
	v_and_or_b32 v5, 0x80, v5, v1
.LBB22_743:
	s_or_b32 exec_lo, exec_lo, s3
.LBB22_744:
	s_delay_alu instid0(SALU_CYCLE_1)
	s_or_b32 exec_lo, exec_lo, s1
	s_mov_b32 s1, 0
	global_store_b8 v[2:3], v5, off
.LBB22_745:
	s_and_b32 vcc_lo, exec_lo, s1
	s_cbranch_vccz .LBB22_755
; %bb.746:
	v_and_b32_e32 v5, 0x7fffffff, v0
	s_mov_b32 s1, exec_lo
                                        ; implicit-def: $vgpr1
	s_delay_alu instid0(VALU_DEP_1)
	v_cmpx_gt_u32_e32 0x43f00000, v5
	s_xor_b32 s1, exec_lo, s1
	s_cbranch_execz .LBB22_752
; %bb.747:
	s_mov_b32 s2, exec_lo
                                        ; implicit-def: $vgpr1
	v_cmpx_lt_u32_e32 0x3c7fffff, v5
	s_xor_b32 s2, exec_lo, s2
; %bb.748:
	v_bfe_u32 v1, v0, 20, 1
	s_delay_alu instid0(VALU_DEP_1) | instskip(NEXT) | instid1(VALU_DEP_1)
	v_add3_u32 v1, v0, v1, 0x407ffff
	v_and_b32_e32 v5, 0xff00000, v1
	v_lshrrev_b32_e32 v1, 20, v1
	s_delay_alu instid0(VALU_DEP_2) | instskip(NEXT) | instid1(VALU_DEP_2)
	v_cmp_ne_u32_e32 vcc_lo, 0x7f00000, v5
	v_cndmask_b32_e32 v1, 0x7e, v1, vcc_lo
; %bb.749:
	s_and_not1_saveexec_b32 s2, s2
; %bb.750:
	v_add_f32_e64 v1, 0x46800000, |v0|
; %bb.751:
	s_or_b32 exec_lo, exec_lo, s2
                                        ; implicit-def: $vgpr5
.LBB22_752:
	s_and_not1_saveexec_b32 s1, s1
; %bb.753:
	v_mov_b32_e32 v1, 0x7f
	v_cmp_lt_u32_e32 vcc_lo, 0x7f800000, v5
	s_delay_alu instid0(VALU_DEP_2)
	v_cndmask_b32_e32 v1, 0x7e, v1, vcc_lo
; %bb.754:
	s_or_b32 exec_lo, exec_lo, s1
	v_lshrrev_b32_e32 v5, 24, v0
	s_delay_alu instid0(VALU_DEP_1)
	v_and_or_b32 v1, 0x80, v5, v1
	global_store_b8 v[2:3], v1, off
.LBB22_755:
	s_mov_b32 s1, 0
.LBB22_756:
	s_delay_alu instid0(SALU_CYCLE_1)
	s_and_not1_b32 vcc_lo, exec_lo, s1
	s_cbranch_vccnz .LBB22_766
; %bb.757:
	v_and_b32_e32 v5, 0x7fffffff, v0
	s_mov_b32 s1, exec_lo
                                        ; implicit-def: $vgpr1
	s_delay_alu instid0(VALU_DEP_1)
	v_cmpx_gt_u32_e32 0x47800000, v5
	s_xor_b32 s1, exec_lo, s1
	s_cbranch_execz .LBB22_763
; %bb.758:
	s_mov_b32 s2, exec_lo
                                        ; implicit-def: $vgpr1
	v_cmpx_lt_u32_e32 0x387fffff, v5
	s_xor_b32 s2, exec_lo, s2
; %bb.759:
	v_bfe_u32 v1, v0, 21, 1
	s_delay_alu instid0(VALU_DEP_1) | instskip(NEXT) | instid1(VALU_DEP_1)
	v_add3_u32 v1, v0, v1, 0x80fffff
	v_lshrrev_b32_e32 v1, 21, v1
; %bb.760:
	s_and_not1_saveexec_b32 s2, s2
; %bb.761:
	v_add_f32_e64 v1, 0x43000000, |v0|
; %bb.762:
	s_or_b32 exec_lo, exec_lo, s2
                                        ; implicit-def: $vgpr5
.LBB22_763:
	s_and_not1_saveexec_b32 s1, s1
; %bb.764:
	v_mov_b32_e32 v1, 0x7f
	v_cmp_lt_u32_e32 vcc_lo, 0x7f800000, v5
	s_delay_alu instid0(VALU_DEP_2)
	v_cndmask_b32_e32 v1, 0x7c, v1, vcc_lo
; %bb.765:
	s_or_b32 exec_lo, exec_lo, s1
	v_lshrrev_b32_e32 v5, 24, v0
	s_delay_alu instid0(VALU_DEP_1)
	v_and_or_b32 v1, 0x80, v5, v1
	global_store_b8 v[2:3], v1, off
.LBB22_766:
	s_mov_b32 s2, 0
	s_mov_b32 s1, -1
.LBB22_767:
	s_and_not1_b32 vcc_lo, exec_lo, s2
	s_cbranch_vccnz .LBB22_775
; %bb.768:
	v_cmp_lt_i16_e32 vcc_lo, 14, v4
	s_mov_b32 s2, -1
	s_cbranch_vccz .LBB22_772
; %bb.769:
	v_cmp_eq_u16_e32 vcc_lo, 15, v4
	s_mov_b32 s0, -1
	s_cbranch_vccz .LBB22_771
; %bb.770:
	v_bfe_u32 v1, v0, 16, 1
	v_cmp_o_f32_e32 vcc_lo, v0, v0
	s_mov_b32 s1, -1
	s_mov_b32 s0, 0
	s_delay_alu instid0(VALU_DEP_2) | instskip(NEXT) | instid1(VALU_DEP_1)
	v_add3_u32 v1, v0, v1, 0x7fff
	v_lshrrev_b32_e32 v1, 16, v1
	s_delay_alu instid0(VALU_DEP_1)
	v_cndmask_b32_e32 v1, 0x7fc0, v1, vcc_lo
	global_store_b16 v[2:3], v1, off
.LBB22_771:
	s_mov_b32 s2, 0
.LBB22_772:
	s_delay_alu instid0(SALU_CYCLE_1)
	s_and_b32 vcc_lo, exec_lo, s2
	s_cbranch_vccz .LBB22_775
; %bb.773:
	v_cmp_eq_u16_e32 vcc_lo, 11, v4
	s_mov_b32 s0, -1
	s_cbranch_vccz .LBB22_775
; %bb.774:
	v_cmp_neq_f32_e32 vcc_lo, 0, v0
	s_mov_b32 s0, 0
	s_mov_b32 s1, -1
	v_cndmask_b32_e64 v1, 0, 1, vcc_lo
	global_store_b8 v[2:3], v1, off
.LBB22_775:
	s_mov_b32 s2, 0
.LBB22_776:
	s_delay_alu instid0(SALU_CYCLE_1)
	s_and_b32 vcc_lo, exec_lo, s2
	s_cbranch_vccz .LBB22_815
; %bb.777:
	v_cmp_gt_i16_e32 vcc_lo, 5, v4
	s_mov_b32 s1, -1
	s_cbranch_vccnz .LBB22_798
; %bb.778:
	v_cmp_gt_i16_e32 vcc_lo, 8, v4
	s_cbranch_vccnz .LBB22_788
; %bb.779:
	v_cmp_gt_i16_e32 vcc_lo, 9, v4
	s_cbranch_vccnz .LBB22_785
; %bb.780:
	v_cmp_lt_i16_e32 vcc_lo, 9, v4
	s_cbranch_vccz .LBB22_782
; %bb.781:
	v_cvt_f64_f32_e32 v[5:6], v0
	v_mov_b32_e32 v7, 0
	s_mov_b32 s1, 0
	s_delay_alu instid0(VALU_DEP_1)
	v_mov_b32_e32 v8, v7
	global_store_b128 v[2:3], v[5:8], off
.LBB22_782:
	s_and_not1_b32 vcc_lo, exec_lo, s1
	s_cbranch_vccnz .LBB22_784
; %bb.783:
	v_mov_b32_e32 v1, 0
	global_store_b64 v[2:3], v[0:1], off
.LBB22_784:
	s_mov_b32 s1, 0
.LBB22_785:
	s_delay_alu instid0(SALU_CYCLE_1)
	s_and_not1_b32 vcc_lo, exec_lo, s1
	s_cbranch_vccnz .LBB22_787
; %bb.786:
	v_cvt_f16_f32_e32 v1, v0
	s_delay_alu instid0(VALU_DEP_1)
	v_and_b32_e32 v1, 0xffff, v1
	global_store_b32 v[2:3], v1, off
.LBB22_787:
	s_mov_b32 s1, 0
.LBB22_788:
	s_delay_alu instid0(SALU_CYCLE_1)
	s_and_not1_b32 vcc_lo, exec_lo, s1
	s_cbranch_vccnz .LBB22_797
; %bb.789:
	v_cmp_gt_i16_e32 vcc_lo, 6, v4
	s_mov_b32 s1, -1
	s_cbranch_vccnz .LBB22_795
; %bb.790:
	v_cmp_lt_i16_e32 vcc_lo, 6, v4
	s_cbranch_vccz .LBB22_792
; %bb.791:
	v_cvt_f64_f32_e32 v[5:6], v0
	s_mov_b32 s1, 0
	global_store_b64 v[2:3], v[5:6], off
.LBB22_792:
	s_and_not1_b32 vcc_lo, exec_lo, s1
	s_cbranch_vccnz .LBB22_794
; %bb.793:
	global_store_b32 v[2:3], v0, off
.LBB22_794:
	s_mov_b32 s1, 0
.LBB22_795:
	s_delay_alu instid0(SALU_CYCLE_1)
	s_and_not1_b32 vcc_lo, exec_lo, s1
	s_cbranch_vccnz .LBB22_797
; %bb.796:
	v_cvt_f16_f32_e32 v1, v0
	global_store_b16 v[2:3], v1, off
.LBB22_797:
	s_mov_b32 s1, 0
.LBB22_798:
	s_delay_alu instid0(SALU_CYCLE_1)
	s_and_not1_b32 vcc_lo, exec_lo, s1
	s_cbranch_vccnz .LBB22_814
; %bb.799:
	v_cmp_gt_i16_e32 vcc_lo, 2, v4
	s_mov_b32 s1, -1
	s_cbranch_vccnz .LBB22_809
; %bb.800:
	v_cmp_gt_i16_e32 vcc_lo, 3, v4
	s_cbranch_vccnz .LBB22_806
; %bb.801:
	v_cmp_lt_i16_e32 vcc_lo, 3, v4
	s_cbranch_vccz .LBB22_803
; %bb.802:
	v_trunc_f32_e32 v1, v0
	s_mov_b32 s1, 0
	s_delay_alu instid0(VALU_DEP_1) | instskip(NEXT) | instid1(VALU_DEP_1)
	v_mul_f32_e64 v5, 0x2f800000, |v1|
	v_floor_f32_e32 v5, v5
	s_delay_alu instid0(VALU_DEP_1) | instskip(SKIP_2) | instid1(VALU_DEP_3)
	v_fma_f32 v6, 0xcf800000, v5, |v1|
	v_ashrrev_i32_e32 v1, 31, v1
	v_cvt_u32_f32_e32 v5, v5
	v_cvt_u32_f32_e32 v6, v6
	s_delay_alu instid0(VALU_DEP_2) | instskip(NEXT) | instid1(VALU_DEP_2)
	v_xor_b32_e32 v7, v5, v1
	v_xor_b32_e32 v6, v6, v1
	s_delay_alu instid0(VALU_DEP_1) | instskip(NEXT) | instid1(VALU_DEP_3)
	v_sub_co_u32 v5, vcc_lo, v6, v1
	v_sub_co_ci_u32_e32 v6, vcc_lo, v7, v1, vcc_lo
	global_store_b64 v[2:3], v[5:6], off
.LBB22_803:
	s_and_not1_b32 vcc_lo, exec_lo, s1
	s_cbranch_vccnz .LBB22_805
; %bb.804:
	v_cvt_i32_f32_e32 v1, v0
	global_store_b32 v[2:3], v1, off
.LBB22_805:
	s_mov_b32 s1, 0
.LBB22_806:
	s_delay_alu instid0(SALU_CYCLE_1)
	s_and_not1_b32 vcc_lo, exec_lo, s1
	s_cbranch_vccnz .LBB22_808
; %bb.807:
	v_cvt_i32_f32_e32 v1, v0
	global_store_b16 v[2:3], v1, off
.LBB22_808:
	s_mov_b32 s1, 0
.LBB22_809:
	s_delay_alu instid0(SALU_CYCLE_1)
	s_and_not1_b32 vcc_lo, exec_lo, s1
	s_cbranch_vccnz .LBB22_814
; %bb.810:
	v_cmp_lt_i16_e32 vcc_lo, 0, v4
	s_mov_b32 s1, -1
	s_cbranch_vccz .LBB22_812
; %bb.811:
	v_cvt_i32_f32_e32 v1, v0
	s_mov_b32 s1, 0
	global_store_b8 v[2:3], v1, off
.LBB22_812:
	s_and_not1_b32 vcc_lo, exec_lo, s1
	s_cbranch_vccnz .LBB22_814
; %bb.813:
	v_trunc_f32_e32 v0, v0
	s_delay_alu instid0(VALU_DEP_1) | instskip(NEXT) | instid1(VALU_DEP_1)
	v_mul_f32_e64 v1, 0x2f800000, |v0|
	v_floor_f32_e32 v1, v1
	s_delay_alu instid0(VALU_DEP_1) | instskip(SKIP_1) | instid1(VALU_DEP_2)
	v_fma_f32 v1, 0xcf800000, v1, |v0|
	v_ashrrev_i32_e32 v0, 31, v0
	v_cvt_u32_f32_e32 v1, v1
	s_delay_alu instid0(VALU_DEP_1) | instskip(NEXT) | instid1(VALU_DEP_1)
	v_xor_b32_e32 v1, v1, v0
	v_sub_nc_u32_e32 v0, v1, v0
	global_store_b8 v[2:3], v0, off
.LBB22_814:
	s_mov_b32 s1, -1
.LBB22_815:
	s_delay_alu instid0(SALU_CYCLE_1)
	s_and_not1_b32 vcc_lo, exec_lo, s1
	s_cbranch_vccnz .LBB22_817
; %bb.816:
	v_add_nc_u32_e32 v45, 0x80, v45
	s_mov_b32 s3, -1
	s_branch .LBB22_819
.LBB22_817:
	s_mov_b32 s3, 0
.LBB22_818:
                                        ; implicit-def: $vgpr45
.LBB22_819:
	s_and_not1_b32 s1, s48, exec_lo
	s_and_b32 s0, s0, exec_lo
	s_and_not1_b32 s4, s47, exec_lo
	s_and_b32 s5, s51, exec_lo
	s_or_b32 s2, s1, s0
	s_or_b32 s1, s4, s5
	s_or_not1_b32 s0, s3, exec_lo
.LBB22_820:
	s_or_b32 exec_lo, exec_lo, s50
	s_mov_b32 s4, 0
	s_mov_b32 s5, 0
	;; [unrolled: 1-line block ×3, first 2 shown]
                                        ; implicit-def: $vgpr0_vgpr1
                                        ; implicit-def: $vgpr41
	s_and_saveexec_b32 s3, s0
	s_cbranch_execz .LBB22_905
; %bb.821:
	s_mov_b32 s0, 0
	s_mov_b32 s8, s1
	;; [unrolled: 1-line block ×3, first 2 shown]
	s_mov_b32 s4, exec_lo
                                        ; implicit-def: $vgpr0_vgpr1
                                        ; implicit-def: $vgpr41
	v_cmpx_gt_i32_e64 s44, v45
	s_cbranch_execz .LBB22_904
; %bb.822:
	v_mul_lo_u32 v0, v45, s41
	v_cmp_gt_i16_e32 vcc_lo, 11, v47
	s_delay_alu instid0(VALU_DEP_2) | instskip(SKIP_1) | instid1(VALU_DEP_1)
	v_ashrrev_i32_e32 v1, 31, v0
	v_add_co_u32 v0, s0, s38, v0
	v_add_co_ci_u32_e64 v1, s0, s39, v1, s0
	s_cbranch_vccnz .LBB22_829
; %bb.823:
	v_cmp_lt_i16_e32 vcc_lo, 25, v47
	s_cbranch_vccz .LBB22_830
; %bb.824:
	v_cmp_lt_i16_e32 vcc_lo, 28, v47
	s_cbranch_vccz .LBB22_831
	;; [unrolled: 3-line block ×4, first 2 shown]
; %bb.827:
	v_cmp_eq_u16_e32 vcc_lo, 46, v47
	s_cbranch_vccz .LBB22_838
; %bb.828:
	global_load_b32 v2, v[0:1], off
	s_mov_b32 s0, 0
	s_mov_b32 s6, -1
	s_waitcnt vmcnt(0)
	v_lshlrev_b32_e32 v41, 16, v2
	s_branch .LBB22_840
.LBB22_829:
	s_mov_b32 s7, -1
	s_mov_b32 s0, s1
                                        ; implicit-def: $vgpr41
	s_branch .LBB22_903
.LBB22_830:
	s_mov_b32 s7, -1
	s_mov_b32 s0, s1
                                        ; implicit-def: $vgpr41
	s_branch .LBB22_869
.LBB22_831:
	s_mov_b32 s7, -1
	s_mov_b32 s0, s1
                                        ; implicit-def: $vgpr41
	s_branch .LBB22_850
.LBB22_832:
	s_mov_b32 s7, -1
	s_mov_b32 s0, s1
                                        ; implicit-def: $vgpr41
	s_branch .LBB22_845
.LBB22_833:
	s_or_saveexec_b32 s3, s3
                                        ; implicit-def: $sgpr4
	s_delay_alu instid0(SALU_CYCLE_1)
	s_xor_b32 exec_lo, exec_lo, s3
	s_cbranch_execz .LBB22_728
.LBB22_834:
	v_add_f32_e64 v1, 0x46000000, |v0|
	s_and_not1_b32 s2, s2, exec_lo
	s_mov_b32 s4, 0
	s_delay_alu instid0(VALU_DEP_1) | instskip(NEXT) | instid1(VALU_DEP_1)
	v_and_b32_e32 v1, 0xff, v1
	v_cmp_ne_u32_e32 vcc_lo, 0, v1
	s_and_b32 s5, vcc_lo, exec_lo
	s_delay_alu instid0(SALU_CYCLE_1)
	s_or_b32 s2, s2, s5
	s_or_b32 exec_lo, exec_lo, s3
	v_mov_b32_e32 v5, s4
	s_and_saveexec_b32 s3, s2
	s_cbranch_execnz .LBB22_729
	s_branch .LBB22_730
.LBB22_835:
	s_mov_b32 s7, -1
	s_mov_b32 s0, s1
	s_branch .LBB22_839
.LBB22_836:
	s_or_saveexec_b32 s3, s3
                                        ; implicit-def: $sgpr4
	s_delay_alu instid0(SALU_CYCLE_1)
	s_xor_b32 exec_lo, exec_lo, s3
	s_cbranch_execz .LBB22_741
.LBB22_837:
	v_add_f32_e64 v1, 0x42800000, |v0|
	s_and_not1_b32 s2, s2, exec_lo
	s_mov_b32 s4, 0
	s_delay_alu instid0(VALU_DEP_1) | instskip(NEXT) | instid1(VALU_DEP_1)
	v_and_b32_e32 v1, 0xff, v1
	v_cmp_ne_u32_e32 vcc_lo, 0, v1
	s_and_b32 s5, vcc_lo, exec_lo
	s_delay_alu instid0(SALU_CYCLE_1)
	s_or_b32 s2, s2, s5
	s_or_b32 exec_lo, exec_lo, s3
	v_mov_b32_e32 v5, s4
	s_and_saveexec_b32 s3, s2
	s_cbranch_execnz .LBB22_742
	s_branch .LBB22_743
.LBB22_838:
	s_mov_b32 s0, -1
.LBB22_839:
                                        ; implicit-def: $vgpr41
.LBB22_840:
	s_and_b32 vcc_lo, exec_lo, s7
	s_cbranch_vccz .LBB22_844
; %bb.841:
	v_cmp_eq_u16_e32 vcc_lo, 44, v47
	s_cbranch_vccz .LBB22_843
; %bb.842:
	global_load_u8 v2, v[0:1], off
	s_mov_b32 s0, 0
	s_mov_b32 s6, -1
	s_waitcnt vmcnt(0)
	v_lshlrev_b32_e32 v3, 23, v2
	v_cmp_ne_u32_e32 vcc_lo, 0xff, v2
	s_delay_alu instid0(VALU_DEP_2) | instskip(SKIP_1) | instid1(VALU_DEP_2)
	v_cndmask_b32_e32 v3, 0x7f800001, v3, vcc_lo
	v_cmp_ne_u32_e32 vcc_lo, 0, v2
	v_cndmask_b32_e32 v41, 0x400000, v3, vcc_lo
	s_branch .LBB22_844
.LBB22_843:
	s_mov_b32 s0, -1
                                        ; implicit-def: $vgpr41
.LBB22_844:
	s_mov_b32 s7, 0
.LBB22_845:
	s_delay_alu instid0(SALU_CYCLE_1)
	s_and_b32 vcc_lo, exec_lo, s7
	s_cbranch_vccz .LBB22_849
; %bb.846:
	v_cmp_eq_u16_e32 vcc_lo, 29, v47
	s_cbranch_vccz .LBB22_848
; %bb.847:
	global_load_b64 v[2:3], v[0:1], off
	s_mov_b32 s0, 0
	s_mov_b32 s6, -1
	s_mov_b32 s7, 0
	s_waitcnt vmcnt(0)
	v_clz_i32_u32_e32 v4, v3
	s_delay_alu instid0(VALU_DEP_1) | instskip(NEXT) | instid1(VALU_DEP_1)
	v_min_u32_e32 v4, 32, v4
	v_lshlrev_b64 v[2:3], v4, v[2:3]
	s_delay_alu instid0(VALU_DEP_1) | instskip(NEXT) | instid1(VALU_DEP_1)
	v_min_u32_e32 v2, 1, v2
	v_or_b32_e32 v2, v3, v2
	v_sub_nc_u32_e32 v3, 32, v4
	s_delay_alu instid0(VALU_DEP_2) | instskip(NEXT) | instid1(VALU_DEP_1)
	v_cvt_f32_u32_e32 v2, v2
	v_ldexp_f32 v41, v2, v3
	s_branch .LBB22_850
.LBB22_848:
	s_mov_b32 s0, -1
                                        ; implicit-def: $vgpr41
.LBB22_849:
	s_mov_b32 s7, 0
.LBB22_850:
	s_delay_alu instid0(SALU_CYCLE_1)
	s_and_b32 vcc_lo, exec_lo, s7
	s_cbranch_vccz .LBB22_868
; %bb.851:
	v_cmp_gt_i16_e32 vcc_lo, 27, v47
	s_cbranch_vccnz .LBB22_854
; %bb.852:
	v_cmp_lt_i16_e32 vcc_lo, 27, v47
	s_cbranch_vccz .LBB22_855
; %bb.853:
	global_load_b32 v2, v[0:1], off
	s_mov_b32 s6, 0
	s_waitcnt vmcnt(0)
	v_cvt_f32_u32_e32 v41, v2
	s_branch .LBB22_856
.LBB22_854:
	s_mov_b32 s6, -1
                                        ; implicit-def: $vgpr41
	s_branch .LBB22_859
.LBB22_855:
	s_mov_b32 s6, -1
                                        ; implicit-def: $vgpr41
.LBB22_856:
	s_delay_alu instid0(SALU_CYCLE_1)
	s_and_not1_b32 vcc_lo, exec_lo, s6
	s_cbranch_vccnz .LBB22_858
; %bb.857:
	global_load_u16 v2, v[0:1], off
	s_waitcnt vmcnt(0)
	v_cvt_f32_u32_e32 v41, v2
.LBB22_858:
	s_mov_b32 s6, 0
.LBB22_859:
	s_delay_alu instid0(SALU_CYCLE_1)
	s_and_not1_b32 vcc_lo, exec_lo, s6
	s_cbranch_vccnz .LBB22_867
; %bb.860:
	global_load_u8 v2, v[0:1], off
	s_mov_b32 s6, 0
	s_mov_b32 s8, exec_lo
                                        ; implicit-def: $sgpr7
	s_waitcnt vmcnt(0)
	v_cmpx_lt_i16_e32 0x7f, v2
	s_xor_b32 s8, exec_lo, s8
	s_cbranch_execz .LBB22_881
; %bb.861:
	s_mov_b32 s6, -1
	s_mov_b32 s9, exec_lo
                                        ; implicit-def: $sgpr7
	v_cmpx_eq_u16_e32 0x80, v2
; %bb.862:
	s_mov_b32 s7, 0x7f800001
	s_xor_b32 s6, exec_lo, -1
; %bb.863:
	s_or_b32 exec_lo, exec_lo, s9
	s_delay_alu instid0(SALU_CYCLE_1)
	s_and_b32 s6, s6, exec_lo
	s_or_saveexec_b32 s8, s8
	v_mov_b32_e32 v41, s7
	s_xor_b32 exec_lo, exec_lo, s8
	s_cbranch_execnz .LBB22_882
.LBB22_864:
	s_or_b32 exec_lo, exec_lo, s8
	s_and_saveexec_b32 s7, s6
	s_cbranch_execz .LBB22_866
.LBB22_865:
	v_and_b32_e32 v3, 0xffff, v2
	v_lshlrev_b32_e32 v2, 24, v2
	s_delay_alu instid0(VALU_DEP_2) | instskip(NEXT) | instid1(VALU_DEP_2)
	v_and_b32_e32 v4, 7, v3
	v_and_b32_e32 v2, 0x80000000, v2
	s_delay_alu instid0(VALU_DEP_2) | instskip(NEXT) | instid1(VALU_DEP_1)
	v_clz_i32_u32_e32 v5, v4
	v_min_u32_e32 v5, 32, v5
	s_delay_alu instid0(VALU_DEP_1) | instskip(SKIP_1) | instid1(VALU_DEP_2)
	v_subrev_nc_u32_e32 v6, 28, v5
	v_sub_nc_u32_e32 v5, 29, v5
	v_lshlrev_b32_e32 v6, v6, v3
	v_bfe_u32 v3, v3, 3, 4
	s_delay_alu instid0(VALU_DEP_2) | instskip(NEXT) | instid1(VALU_DEP_2)
	v_and_b32_e32 v6, 7, v6
	v_cmp_eq_u32_e32 vcc_lo, 0, v3
	s_delay_alu instid0(VALU_DEP_2) | instskip(NEXT) | instid1(VALU_DEP_1)
	v_dual_cndmask_b32 v3, v3, v5 :: v_dual_cndmask_b32 v4, v4, v6
	v_lshl_add_u32 v3, v3, 23, 0x3b800000
	s_delay_alu instid0(VALU_DEP_2) | instskip(NEXT) | instid1(VALU_DEP_1)
	v_lshlrev_b32_e32 v4, 20, v4
	v_or3_b32 v41, v2, v3, v4
.LBB22_866:
	s_or_b32 exec_lo, exec_lo, s7
.LBB22_867:
	s_mov_b32 s6, -1
.LBB22_868:
	s_mov_b32 s7, 0
.LBB22_869:
	s_delay_alu instid0(SALU_CYCLE_1)
	s_and_b32 vcc_lo, exec_lo, s7
	s_cbranch_vccz .LBB22_902
; %bb.870:
	v_cmp_lt_i16_e32 vcc_lo, 22, v47
	s_cbranch_vccz .LBB22_880
; %bb.871:
	v_cmp_gt_i16_e32 vcc_lo, 24, v47
	s_cbranch_vccnz .LBB22_883
; %bb.872:
	v_cmp_lt_i16_e32 vcc_lo, 24, v47
	s_cbranch_vccz .LBB22_884
; %bb.873:
	global_load_u8 v2, v[0:1], off
	s_mov_b32 s7, exec_lo
                                        ; implicit-def: $sgpr6
	s_waitcnt vmcnt(0)
	v_cmpx_lt_i16_e32 0x7f, v2
	s_xor_b32 s7, exec_lo, s7
	s_cbranch_execz .LBB22_896
; %bb.874:
	s_mov_b32 s5, -1
	s_mov_b32 s8, exec_lo
                                        ; implicit-def: $sgpr6
	v_cmpx_eq_u16_e32 0x80, v2
; %bb.875:
	s_mov_b32 s6, 0x7f800001
	s_xor_b32 s5, exec_lo, -1
; %bb.876:
	s_or_b32 exec_lo, exec_lo, s8
	s_delay_alu instid0(SALU_CYCLE_1)
	s_and_b32 s5, s5, exec_lo
	s_or_saveexec_b32 s7, s7
	v_mov_b32_e32 v41, s6
	s_xor_b32 exec_lo, exec_lo, s7
	s_cbranch_execnz .LBB22_897
.LBB22_877:
	s_or_b32 exec_lo, exec_lo, s7
	s_and_saveexec_b32 s6, s5
	s_cbranch_execz .LBB22_879
.LBB22_878:
	v_and_b32_e32 v3, 0xffff, v2
	v_lshlrev_b32_e32 v2, 24, v2
	s_delay_alu instid0(VALU_DEP_2) | instskip(NEXT) | instid1(VALU_DEP_2)
	v_and_b32_e32 v4, 3, v3
	v_and_b32_e32 v2, 0x80000000, v2
	s_delay_alu instid0(VALU_DEP_2) | instskip(NEXT) | instid1(VALU_DEP_1)
	v_clz_i32_u32_e32 v5, v4
	v_min_u32_e32 v5, 32, v5
	s_delay_alu instid0(VALU_DEP_1) | instskip(SKIP_1) | instid1(VALU_DEP_2)
	v_subrev_nc_u32_e32 v6, 29, v5
	v_sub_nc_u32_e32 v5, 30, v5
	v_lshlrev_b32_e32 v6, v6, v3
	v_bfe_u32 v3, v3, 2, 5
	s_delay_alu instid0(VALU_DEP_2) | instskip(NEXT) | instid1(VALU_DEP_2)
	v_and_b32_e32 v6, 3, v6
	v_cmp_eq_u32_e32 vcc_lo, 0, v3
	s_delay_alu instid0(VALU_DEP_2) | instskip(NEXT) | instid1(VALU_DEP_1)
	v_dual_cndmask_b32 v3, v3, v5 :: v_dual_cndmask_b32 v4, v4, v6
	v_lshl_add_u32 v3, v3, 23, 0x37800000
	s_delay_alu instid0(VALU_DEP_2) | instskip(NEXT) | instid1(VALU_DEP_1)
	v_lshlrev_b32_e32 v4, 21, v4
	v_or3_b32 v41, v2, v3, v4
.LBB22_879:
	s_or_b32 exec_lo, exec_lo, s6
	s_mov_b32 s5, 0
	s_branch .LBB22_885
.LBB22_880:
	s_mov_b32 s5, -1
                                        ; implicit-def: $vgpr41
	s_branch .LBB22_891
.LBB22_881:
	s_or_saveexec_b32 s8, s8
	v_mov_b32_e32 v41, s7
	s_xor_b32 exec_lo, exec_lo, s8
	s_cbranch_execz .LBB22_864
.LBB22_882:
	v_cmp_ne_u16_e32 vcc_lo, 0, v2
	v_mov_b32_e32 v41, 0
	s_and_not1_b32 s6, s6, exec_lo
	s_and_b32 s7, vcc_lo, exec_lo
	s_delay_alu instid0(SALU_CYCLE_1)
	s_or_b32 s6, s6, s7
	s_or_b32 exec_lo, exec_lo, s8
	s_and_saveexec_b32 s7, s6
	s_cbranch_execnz .LBB22_865
	s_branch .LBB22_866
.LBB22_883:
	s_mov_b32 s5, -1
                                        ; implicit-def: $vgpr41
	s_branch .LBB22_888
.LBB22_884:
	s_mov_b32 s5, -1
                                        ; implicit-def: $vgpr41
.LBB22_885:
	s_delay_alu instid0(SALU_CYCLE_1)
	s_and_b32 vcc_lo, exec_lo, s5
	s_cbranch_vccz .LBB22_887
; %bb.886:
	global_load_u8 v2, v[0:1], off
	s_waitcnt vmcnt(0)
	v_lshlrev_b32_e32 v2, 24, v2
	s_delay_alu instid0(VALU_DEP_1) | instskip(NEXT) | instid1(VALU_DEP_1)
	v_and_b32_e32 v3, 0x7f000000, v2
	v_clz_i32_u32_e32 v4, v3
	v_add_nc_u32_e32 v6, 0x1000000, v3
	v_cmp_ne_u32_e32 vcc_lo, 0, v3
	s_delay_alu instid0(VALU_DEP_3) | instskip(NEXT) | instid1(VALU_DEP_1)
	v_min_u32_e32 v4, 32, v4
	v_sub_nc_u32_e64 v4, v4, 4 clamp
	s_delay_alu instid0(VALU_DEP_1) | instskip(SKIP_1) | instid1(VALU_DEP_2)
	v_lshlrev_b32_e32 v5, v4, v3
	v_lshlrev_b32_e32 v4, 23, v4
	v_lshrrev_b32_e32 v5, 4, v5
	s_delay_alu instid0(VALU_DEP_1) | instskip(SKIP_1) | instid1(VALU_DEP_2)
	v_sub_nc_u32_e32 v4, v5, v4
	v_ashrrev_i32_e32 v5, 8, v6
	v_add_nc_u32_e32 v4, 0x3c000000, v4
	s_delay_alu instid0(VALU_DEP_1) | instskip(NEXT) | instid1(VALU_DEP_1)
	v_and_or_b32 v4, 0x7f800000, v5, v4
	v_cndmask_b32_e32 v3, 0, v4, vcc_lo
	s_delay_alu instid0(VALU_DEP_1)
	v_and_or_b32 v41, 0x80000000, v2, v3
.LBB22_887:
	s_mov_b32 s5, 0
.LBB22_888:
	s_delay_alu instid0(SALU_CYCLE_1)
	s_and_not1_b32 vcc_lo, exec_lo, s5
	s_cbranch_vccnz .LBB22_890
; %bb.889:
	global_load_u8 v2, v[0:1], off
	s_waitcnt vmcnt(0)
	v_lshlrev_b32_e32 v3, 25, v2
	v_lshlrev_b16 v2, 8, v2
	s_delay_alu instid0(VALU_DEP_2) | instskip(NEXT) | instid1(VALU_DEP_2)
	v_lshrrev_b32_e32 v4, 4, v3
	v_and_or_b32 v5, 0x7f00, v2, 0.5
	v_bfe_i32 v2, v2, 0, 16
	s_delay_alu instid0(VALU_DEP_3) | instskip(NEXT) | instid1(VALU_DEP_1)
	v_or_b32_e32 v4, 0x70000000, v4
	v_dual_add_f32 v5, -0.5, v5 :: v_dual_mul_f32 v4, 0x7800000, v4
	v_cmp_gt_u32_e32 vcc_lo, 0x8000000, v3
	s_delay_alu instid0(VALU_DEP_2) | instskip(NEXT) | instid1(VALU_DEP_1)
	v_cndmask_b32_e32 v3, v4, v5, vcc_lo
	v_and_or_b32 v41, 0x80000000, v2, v3
.LBB22_890:
	s_mov_b32 s5, 0
	s_mov_b32 s6, -1
.LBB22_891:
	s_and_not1_b32 vcc_lo, exec_lo, s5
	s_mov_b32 s5, 0
	s_cbranch_vccnz .LBB22_902
; %bb.892:
	v_cmp_lt_i16_e32 vcc_lo, 14, v47
	s_cbranch_vccz .LBB22_895
; %bb.893:
	v_cmp_eq_u16_e32 vcc_lo, 15, v47
	s_cbranch_vccz .LBB22_898
; %bb.894:
	global_load_u16 v2, v[0:1], off
	s_mov_b32 s0, 0
	s_mov_b32 s6, -1
	s_waitcnt vmcnt(0)
	v_lshlrev_b32_e32 v41, 16, v2
	s_branch .LBB22_900
.LBB22_895:
	s_mov_b32 s5, -1
	s_branch .LBB22_899
.LBB22_896:
	s_or_saveexec_b32 s7, s7
	v_mov_b32_e32 v41, s6
	s_xor_b32 exec_lo, exec_lo, s7
	s_cbranch_execz .LBB22_877
.LBB22_897:
	v_cmp_ne_u16_e32 vcc_lo, 0, v2
	v_mov_b32_e32 v41, 0
	s_and_not1_b32 s5, s5, exec_lo
	s_and_b32 s6, vcc_lo, exec_lo
	s_delay_alu instid0(SALU_CYCLE_1)
	s_or_b32 s5, s5, s6
	s_or_b32 exec_lo, exec_lo, s7
	s_and_saveexec_b32 s6, s5
	s_cbranch_execnz .LBB22_878
	s_branch .LBB22_879
.LBB22_898:
	s_mov_b32 s0, -1
.LBB22_899:
                                        ; implicit-def: $vgpr41
.LBB22_900:
	s_and_b32 vcc_lo, exec_lo, s5
	s_mov_b32 s5, 0
	s_cbranch_vccz .LBB22_902
; %bb.901:
	v_cmp_ne_u16_e32 vcc_lo, 11, v47
	s_and_not1_b32 s0, s0, exec_lo
	s_mov_b32 s5, -1
                                        ; implicit-def: $vgpr41
	s_and_b32 s7, vcc_lo, exec_lo
	s_delay_alu instid0(SALU_CYCLE_1)
	s_or_b32 s0, s0, s7
.LBB22_902:
	s_mov_b32 s7, 0
.LBB22_903:
	s_and_not1_b32 s8, s1, exec_lo
	s_and_b32 s9, s0, exec_lo
	s_and_b32 s6, s6, exec_lo
	;; [unrolled: 1-line block ×4, first 2 shown]
	s_or_b32 s8, s8, s9
.LBB22_904:
	s_or_b32 exec_lo, exec_lo, s4
	s_delay_alu instid0(SALU_CYCLE_1)
	s_and_b32 s5, s7, exec_lo
	s_and_not1_b32 s1, s1, exec_lo
	s_and_b32 s7, s8, exec_lo
	s_and_b32 s6, s6, exec_lo
	;; [unrolled: 1-line block ×3, first 2 shown]
	s_or_b32 s1, s1, s7
.LBB22_905:
	s_or_b32 exec_lo, exec_lo, s3
	s_delay_alu instid0(SALU_CYCLE_1)
	s_and_not1_b32 s0, s48, exec_lo
	s_and_b32 s2, s2, exec_lo
	s_and_not1_b32 s3, s47, exec_lo
	s_or_b32 s48, s0, s2
	s_and_b32 s2, s5, exec_lo
	s_and_b32 s5, s1, exec_lo
	;; [unrolled: 1-line block ×4, first 2 shown]
	s_or_b32 s47, s3, s5
.LBB22_906:
	s_or_b32 exec_lo, exec_lo, s49
	s_delay_alu instid0(SALU_CYCLE_1)
	s_and_not1_b32 s3, s43, exec_lo
	s_and_b32 s4, s48, exec_lo
	s_and_b32 s0, s0, exec_lo
	s_or_b32 s43, s3, s4
	s_and_not1_b32 s3, s45, exec_lo
	s_and_b32 s4, s47, exec_lo
	s_and_b32 s2, s2, exec_lo
	;; [unrolled: 1-line block ×3, first 2 shown]
	s_or_b32 s45, s3, s4
.LBB22_907:
	s_or_b32 exec_lo, exec_lo, s46
	s_mov_b32 s44, 0
	s_and_saveexec_b32 s1, s45
	s_cbranch_execnz .LBB22_919
; %bb.908:
	s_or_b32 exec_lo, exec_lo, s1
	s_and_saveexec_b32 s1, s47
	s_delay_alu instid0(SALU_CYCLE_1)
	s_xor_b32 s1, exec_lo, s1
	s_cbranch_execz .LBB22_910
.LBB22_909:
	global_load_u8 v2, v[0:1], off
	s_or_b32 s0, s0, exec_lo
	s_waitcnt vmcnt(0)
	v_cmp_ne_u16_e32 vcc_lo, 0, v2
	v_cndmask_b32_e64 v41, 0, 1.0, vcc_lo
.LBB22_910:
	s_or_b32 exec_lo, exec_lo, s1
	s_and_saveexec_b32 s1, s2
	s_cbranch_execz .LBB22_958
; %bb.911:
	v_cmp_gt_i16_e32 vcc_lo, 5, v47
	s_cbranch_vccnz .LBB22_916
; %bb.912:
	v_cmp_gt_i16_e32 vcc_lo, 8, v47
	s_cbranch_vccnz .LBB22_917
	;; [unrolled: 3-line block ×3, first 2 shown]
; %bb.914:
	v_cmp_lt_i16_e32 vcc_lo, 9, v47
	s_cbranch_vccz .LBB22_921
; %bb.915:
	global_load_b64 v[2:3], v[0:1], off
	s_mov_b32 s2, 0
	s_waitcnt vmcnt(0)
	v_cvt_f32_f64_e32 v41, v[2:3]
	s_branch .LBB22_922
.LBB22_916:
                                        ; implicit-def: $vgpr41
	s_branch .LBB22_939
.LBB22_917:
                                        ; implicit-def: $vgpr41
	s_branch .LBB22_928
.LBB22_918:
	s_mov_b32 s2, -1
                                        ; implicit-def: $vgpr41
	s_branch .LBB22_925
.LBB22_919:
	s_cbranch_execnz .LBB22_983
; %bb.920:
	s_mov_b32 s44, exec_lo
	s_and_not1_b32 s47, s47, exec_lo
                                        ; implicit-def: $vgpr41
	s_or_b32 exec_lo, exec_lo, s1
	s_and_saveexec_b32 s1, s47
	s_delay_alu instid0(SALU_CYCLE_1)
	s_xor_b32 s1, exec_lo, s1
	s_cbranch_execnz .LBB22_909
	s_branch .LBB22_910
.LBB22_921:
	s_mov_b32 s2, -1
                                        ; implicit-def: $vgpr41
.LBB22_922:
	s_delay_alu instid0(SALU_CYCLE_1)
	s_and_not1_b32 vcc_lo, exec_lo, s2
	s_cbranch_vccnz .LBB22_924
; %bb.923:
	global_load_b32 v41, v[0:1], off
.LBB22_924:
	s_mov_b32 s2, 0
.LBB22_925:
	s_delay_alu instid0(SALU_CYCLE_1)
	s_and_not1_b32 vcc_lo, exec_lo, s2
	s_cbranch_vccnz .LBB22_927
; %bb.926:
	global_load_b32 v2, v[0:1], off
	s_waitcnt vmcnt(0)
	v_cvt_f32_f16_e32 v41, v2
.LBB22_927:
	s_cbranch_execnz .LBB22_938
.LBB22_928:
	v_cmp_gt_i16_e32 vcc_lo, 6, v47
	s_cbranch_vccnz .LBB22_931
; %bb.929:
	v_cmp_lt_i16_e32 vcc_lo, 6, v47
	s_cbranch_vccz .LBB22_932
; %bb.930:
	global_load_b64 v[2:3], v[0:1], off
	s_mov_b32 s2, 0
	s_waitcnt vmcnt(0)
	v_cvt_f32_f64_e32 v41, v[2:3]
	s_branch .LBB22_933
.LBB22_931:
	s_mov_b32 s2, -1
                                        ; implicit-def: $vgpr41
	s_branch .LBB22_936
.LBB22_932:
	s_mov_b32 s2, -1
                                        ; implicit-def: $vgpr41
.LBB22_933:
	s_delay_alu instid0(SALU_CYCLE_1)
	s_and_not1_b32 vcc_lo, exec_lo, s2
	s_cbranch_vccnz .LBB22_935
; %bb.934:
	global_load_b32 v41, v[0:1], off
.LBB22_935:
	s_mov_b32 s2, 0
.LBB22_936:
	s_delay_alu instid0(SALU_CYCLE_1)
	s_and_not1_b32 vcc_lo, exec_lo, s2
	s_cbranch_vccnz .LBB22_938
; %bb.937:
	global_load_u16 v2, v[0:1], off
	s_waitcnt vmcnt(0)
	v_cvt_f32_f16_e32 v41, v2
.LBB22_938:
	s_cbranch_execnz .LBB22_957
.LBB22_939:
	v_cmp_gt_i16_e32 vcc_lo, 2, v47
	s_cbranch_vccnz .LBB22_943
; %bb.940:
	v_cmp_gt_i16_e32 vcc_lo, 3, v47
	s_cbranch_vccnz .LBB22_944
; %bb.941:
	v_cmp_lt_i16_e32 vcc_lo, 3, v47
	s_cbranch_vccz .LBB22_945
; %bb.942:
	global_load_b64 v[2:3], v[0:1], off
	s_mov_b32 s2, 0
	s_waitcnt vmcnt(0)
	v_xor_b32_e32 v4, v2, v3
	v_cls_i32_e32 v5, v3
	s_delay_alu instid0(VALU_DEP_2) | instskip(NEXT) | instid1(VALU_DEP_2)
	v_ashrrev_i32_e32 v4, 31, v4
	v_add_nc_u32_e32 v5, -1, v5
	s_delay_alu instid0(VALU_DEP_2) | instskip(NEXT) | instid1(VALU_DEP_1)
	v_add_nc_u32_e32 v4, 32, v4
	v_min_u32_e32 v4, v5, v4
	s_delay_alu instid0(VALU_DEP_1) | instskip(NEXT) | instid1(VALU_DEP_1)
	v_lshlrev_b64 v[2:3], v4, v[2:3]
	v_min_u32_e32 v2, 1, v2
	s_delay_alu instid0(VALU_DEP_1) | instskip(SKIP_1) | instid1(VALU_DEP_2)
	v_or_b32_e32 v2, v3, v2
	v_sub_nc_u32_e32 v3, 32, v4
	v_cvt_f32_i32_e32 v2, v2
	s_delay_alu instid0(VALU_DEP_1)
	v_ldexp_f32 v41, v2, v3
	s_branch .LBB22_946
.LBB22_943:
                                        ; implicit-def: $vgpr41
	s_branch .LBB22_952
.LBB22_944:
	s_mov_b32 s2, -1
                                        ; implicit-def: $vgpr41
	s_branch .LBB22_949
.LBB22_945:
	s_mov_b32 s2, -1
                                        ; implicit-def: $vgpr41
.LBB22_946:
	s_delay_alu instid0(SALU_CYCLE_1)
	s_and_not1_b32 vcc_lo, exec_lo, s2
	s_cbranch_vccnz .LBB22_948
; %bb.947:
	global_load_b32 v2, v[0:1], off
	s_waitcnt vmcnt(0)
	v_cvt_f32_i32_e32 v41, v2
.LBB22_948:
	s_mov_b32 s2, 0
.LBB22_949:
	s_delay_alu instid0(SALU_CYCLE_1)
	s_and_not1_b32 vcc_lo, exec_lo, s2
	s_cbranch_vccnz .LBB22_951
; %bb.950:
	global_load_i16 v2, v[0:1], off
	s_waitcnt vmcnt(0)
	v_cvt_f32_i32_e32 v41, v2
.LBB22_951:
	s_cbranch_execnz .LBB22_957
.LBB22_952:
	v_cmp_lt_i16_e32 vcc_lo, 0, v47
	s_mov_b32 s2, 0
	s_cbranch_vccz .LBB22_954
; %bb.953:
	global_load_i8 v2, v[0:1], off
	s_waitcnt vmcnt(0)
	v_cvt_f32_i32_e32 v41, v2
	s_branch .LBB22_955
.LBB22_954:
	s_mov_b32 s2, -1
                                        ; implicit-def: $vgpr41
.LBB22_955:
	s_delay_alu instid0(SALU_CYCLE_1)
	s_and_not1_b32 vcc_lo, exec_lo, s2
	s_cbranch_vccnz .LBB22_957
; %bb.956:
	global_load_u8 v0, v[0:1], off
	s_waitcnt vmcnt(0)
	v_cvt_f32_ubyte0_e32 v41, v0
.LBB22_957:
	s_or_b32 s0, s0, exec_lo
.LBB22_958:
	s_or_b32 exec_lo, exec_lo, s1
	s_mov_b32 s2, 0
	s_mov_b32 s1, 0
                                        ; implicit-def: $vgpr4
                                        ; implicit-def: $vgpr2_vgpr3
                                        ; implicit-def: $vgpr0
	s_and_saveexec_b32 s45, s0
	s_cbranch_execz .LBB22_1054
; %bb.959:
                                        ; implicit-def: $vgpr0
	s_mov_b32 s0, exec_lo
	s_waitcnt vmcnt(0)
	s_delay_alu instid0(VALU_DEP_1)
	v_cmpx_ge_f32_e32 0x40a00000, v41
	s_xor_b32 s46, exec_lo, s0
	s_cbranch_execz .LBB22_965
; %bb.960:
	v_mov_b32_e32 v0, 0xff800000
	s_mov_b32 s47, exec_lo
	v_cmpx_neq_f32_e32 0, v41
	s_cbranch_execz .LBB22_964
; %bb.961:
	v_mov_b32_e32 v0, 0x7fc00000
	s_mov_b32 s48, exec_lo
	v_cmpx_nge_f32_e32 0, v41
	s_cbranch_execz .LBB22_963
; %bb.962:
	v_mul_f32_e32 v0, v41, v41
	s_getpc_b64 s[0:1]
	s_add_u32 s0, s0, _Z17bessel_j1_forwardIfET_S0_@rel32@lo+4
	s_addc_u32 s1, s1, _Z17bessel_j1_forwardIfET_S0_@rel32@hi+12
	s_delay_alu instid0(VALU_DEP_1) | instskip(SKIP_1) | instid1(VALU_DEP_2)
	v_fmaak_f32 v1, 0, v0, 0x4414934d
	v_fmaak_f32 v2, 0, v0, 0x4e9695f3
	;; [unrolled: 1-line block ×3, first 2 shown]
	s_delay_alu instid0(VALU_DEP_2) | instskip(NEXT) | instid1(VALU_DEP_2)
	v_fmaak_f32 v2, v0, v2, 0xd316b96b
	v_fmaak_f32 v1, v0, v1, 0x4c8c277d
	s_delay_alu instid0(VALU_DEP_2) | instskip(NEXT) | instid1(VALU_DEP_2)
	v_fmaak_f32 v2, v0, v2, 0x56d04aa6
	v_fmaak_f32 v1, v0, v1, 0x508bc61d
	;; [unrolled: 3-line block ×5, first 2 shown]
	s_delay_alu instid0(VALU_DEP_1) | instskip(NEXT) | instid1(VALU_DEP_1)
	v_fmaak_f32 v0, v0, v1, 0x5e5c878d
	v_div_scale_f32 v1, null, v0, v0, v2
	v_div_scale_f32 v5, vcc_lo, v2, v0, v2
	s_delay_alu instid0(VALU_DEP_2) | instskip(SKIP_2) | instid1(VALU_DEP_1)
	v_rcp_f32_e32 v3, v1
	s_waitcnt_depctr 0xfff
	v_fma_f32 v4, -v1, v3, 1.0
	v_fmac_f32_e32 v3, v4, v3
	s_delay_alu instid0(VALU_DEP_1) | instskip(NEXT) | instid1(VALU_DEP_1)
	v_mul_f32_e32 v4, v5, v3
	v_fma_f32 v6, -v1, v4, v5
	s_delay_alu instid0(VALU_DEP_1) | instskip(NEXT) | instid1(VALU_DEP_1)
	v_fmac_f32_e32 v4, v6, v3
	v_fma_f32 v1, -v1, v4, v5
	s_delay_alu instid0(VALU_DEP_1) | instskip(NEXT) | instid1(VALU_DEP_1)
	v_div_fmas_f32 v1, v1, v3, v4
	v_div_fixup_f32 v42, v1, v0, v2
	v_mov_b32_e32 v0, v41
	s_swappc_b64 s[30:31], s[0:1]
	v_div_scale_f32 v1, null, v41, v41, -1.0
	v_cmp_gt_f32_e32 vcc_lo, 0x800000, v41
	v_div_scale_f32 v5, s0, -1.0, v41, -1.0
	s_delay_alu instid0(VALU_DEP_3) | instskip(SKIP_3) | instid1(VALU_DEP_1)
	v_rcp_f32_e32 v3, v1
	v_cndmask_b32_e64 v2, 1.0, 0x4f800000, vcc_lo
	s_waitcnt_depctr 0xfff
	v_fma_f32 v4, -v1, v3, 1.0
	v_dual_mul_f32 v2, v41, v2 :: v_dual_fmac_f32 v3, v4, v3
	s_delay_alu instid0(VALU_DEP_1) | instskip(SKIP_3) | instid1(VALU_DEP_2)
	v_log_f32_e32 v2, v2
	s_waitcnt_depctr 0xfff
	v_mul_f32_e32 v4, 0x3f317217, v2
	v_cmp_gt_f32_e64 s1, 0x7f800000, |v2|
	v_fma_f32 v7, 0x3f317217, v2, -v4
	s_delay_alu instid0(VALU_DEP_1) | instskip(NEXT) | instid1(VALU_DEP_1)
	v_dual_mul_f32 v6, v5, v3 :: v_dual_fmamk_f32 v7, v2, 0x3377d1cf, v7
	v_fma_f32 v8, -v1, v6, v5
	s_delay_alu instid0(VALU_DEP_2) | instskip(NEXT) | instid1(VALU_DEP_2)
	v_add_f32_e32 v4, v4, v7
	v_fmac_f32_e32 v6, v8, v3
	s_delay_alu instid0(VALU_DEP_2) | instskip(NEXT) | instid1(VALU_DEP_2)
	v_cndmask_b32_e64 v2, v2, v4, s1
	v_fma_f32 v1, -v1, v6, v5
	v_cndmask_b32_e64 v4, 0, 0x41b17218, vcc_lo
	s_mov_b32 vcc_lo, s0
	s_delay_alu instid0(VALU_DEP_2) | instskip(NEXT) | instid1(VALU_DEP_2)
	v_div_fmas_f32 v1, v1, v3, v6
	v_sub_f32_e32 v2, v2, v4
	s_delay_alu instid0(VALU_DEP_2) | instskip(NEXT) | instid1(VALU_DEP_1)
	v_div_fixup_f32 v1, v1, v41, -1.0
	v_fmac_f32_e32 v1, v2, v0
	s_delay_alu instid0(VALU_DEP_1) | instskip(NEXT) | instid1(VALU_DEP_1)
	v_mul_f32_e32 v0, 0x3f22f983, v1
	v_fmac_f32_e32 v0, v41, v42
.LBB22_963:
	s_or_b32 exec_lo, exec_lo, s48
.LBB22_964:
	s_delay_alu instid0(SALU_CYCLE_1)
	s_or_b32 exec_lo, exec_lo, s47
                                        ; implicit-def: $vgpr41
.LBB22_965:
	s_and_not1_saveexec_b32 s3, s46
	s_cbranch_execz .LBB22_975
; %bb.966:
	v_add_f32_e32 v0, 0xc016cbe4, v41
                                        ; implicit-def: $vgpr3
                                        ; implicit-def: $vgpr2
	s_delay_alu instid0(VALU_DEP_1) | instskip(SKIP_1) | instid1(VALU_DEP_2)
	v_and_b32_e32 v1, 0x7fffffff, v0
	v_cmp_ngt_f32_e64 s4, 0x48000000, |v0|
	v_lshrrev_b32_e32 v5, 23, v1
	s_delay_alu instid0(VALU_DEP_2) | instskip(NEXT) | instid1(SALU_CYCLE_1)
	s_and_saveexec_b32 s0, s4
	s_xor_b32 s5, exec_lo, s0
	s_cbranch_execz .LBB22_968
; %bb.967:
	s_mov_b32 s0, 0x7fffff
	v_mov_b32_e32 v4, 0
	v_and_or_b32 v13, v1, s0, 0x800000
	v_add_nc_u32_e32 v11, 0xffffff88, v5
	s_delay_alu instid0(VALU_DEP_2) | instskip(NEXT) | instid1(VALU_DEP_2)
	v_mad_u64_u32 v[2:3], null, 0xfe5163ab, v13, 0
	v_cmp_lt_u32_e32 vcc_lo, 63, v11
	v_cndmask_b32_e64 v12, 0, 0xffffffc0, vcc_lo
	s_delay_alu instid0(VALU_DEP_3) | instskip(NEXT) | instid1(VALU_DEP_1)
	v_mad_u64_u32 v[6:7], null, 0x3c439041, v13, v[3:4]
	v_dual_mov_b32 v3, v7 :: v_dual_add_nc_u32 v12, v12, v11
	s_delay_alu instid0(VALU_DEP_1) | instskip(NEXT) | instid1(VALU_DEP_2)
	v_cmp_lt_u32_e64 s0, 31, v12
	v_mad_u64_u32 v[7:8], null, 0xdb629599, v13, v[3:4]
	s_delay_alu instid0(VALU_DEP_2) | instskip(NEXT) | instid1(VALU_DEP_1)
	v_cndmask_b32_e64 v14, 0, 0xffffffe0, s0
	v_dual_mov_b32 v3, v8 :: v_dual_add_nc_u32 v14, v14, v12
	s_delay_alu instid0(VALU_DEP_3) | instskip(NEXT) | instid1(VALU_DEP_2)
	v_cndmask_b32_e32 v2, v7, v2, vcc_lo
	v_cmp_lt_u32_e64 s1, 31, v14
	s_delay_alu instid0(VALU_DEP_3) | instskip(NEXT) | instid1(VALU_DEP_1)
	v_mad_u64_u32 v[8:9], null, 0xf534ddc0, v13, v[3:4]
	v_dual_mov_b32 v3, v9 :: v_dual_cndmask_b32 v6, v8, v6
	s_delay_alu instid0(VALU_DEP_1) | instskip(NEXT) | instid1(VALU_DEP_2)
	v_mad_u64_u32 v[9:10], null, 0xfc2757d1, v13, v[3:4]
	v_cndmask_b32_e64 v2, v6, v2, s0
	s_delay_alu instid0(VALU_DEP_2) | instskip(NEXT) | instid1(VALU_DEP_1)
	v_mov_b32_e32 v3, v10
	v_mad_u64_u32 v[10:11], null, 0x4e441529, v13, v[3:4]
	s_delay_alu instid0(VALU_DEP_1) | instskip(NEXT) | instid1(VALU_DEP_1)
	v_mov_b32_e32 v3, v11
	v_mad_u64_u32 v[11:12], null, 0xa2f9836e, v13, v[3:4]
	v_cndmask_b32_e64 v3, 0, 0xffffffe0, s1
	s_delay_alu instid0(VALU_DEP_1) | instskip(NEXT) | instid1(VALU_DEP_3)
	v_dual_cndmask_b32 v4, v10, v8 :: v_dual_add_nc_u32 v3, v3, v14
	v_dual_cndmask_b32 v11, v11, v9 :: v_dual_cndmask_b32 v10, v12, v10
	v_cndmask_b32_e32 v9, v9, v7, vcc_lo
	s_delay_alu instid0(VALU_DEP_3) | instskip(NEXT) | instid1(VALU_DEP_3)
	v_cmp_eq_u32_e64 s2, 0, v3
	v_cndmask_b32_e64 v8, v11, v4, s0
	s_delay_alu instid0(VALU_DEP_4) | instskip(NEXT) | instid1(VALU_DEP_4)
	v_cndmask_b32_e64 v10, v10, v11, s0
	v_cndmask_b32_e64 v4, v4, v9, s0
	v_sub_nc_u32_e32 v11, 32, v3
	v_cndmask_b32_e64 v9, v9, v6, s0
	s_delay_alu instid0(VALU_DEP_4) | instskip(NEXT) | instid1(VALU_DEP_4)
	v_cndmask_b32_e64 v10, v10, v8, s1
	v_cndmask_b32_e64 v8, v8, v4, s1
	s_delay_alu instid0(VALU_DEP_3) | instskip(SKIP_1) | instid1(VALU_DEP_3)
	v_cndmask_b32_e64 v4, v4, v9, s1
	v_cndmask_b32_e64 v2, v9, v2, s1
	v_alignbit_b32 v12, v10, v8, v11
	s_delay_alu instid0(VALU_DEP_3) | instskip(NEXT) | instid1(VALU_DEP_3)
	v_alignbit_b32 v13, v8, v4, v11
	v_alignbit_b32 v11, v4, v2, v11
	s_delay_alu instid0(VALU_DEP_3) | instskip(NEXT) | instid1(VALU_DEP_3)
	v_cndmask_b32_e64 v3, v12, v10, s2
	v_cndmask_b32_e64 v7, v13, v8, s2
	s_delay_alu instid0(VALU_DEP_3) | instskip(NEXT) | instid1(VALU_DEP_3)
	v_cndmask_b32_e64 v4, v11, v4, s2
	v_bfe_u32 v8, v3, 29, 1
	s_delay_alu instid0(VALU_DEP_3) | instskip(NEXT) | instid1(VALU_DEP_3)
	v_alignbit_b32 v6, v3, v7, 30
	v_alignbit_b32 v7, v7, v4, 30
	;; [unrolled: 1-line block ×3, first 2 shown]
	s_delay_alu instid0(VALU_DEP_4) | instskip(NEXT) | instid1(VALU_DEP_1)
	v_sub_nc_u32_e32 v10, 0, v8
	v_xor_b32_e32 v9, v6, v10
	v_cmp_ne_u32_e32 vcc_lo, v6, v10
	v_xor_b32_e32 v4, v7, v10
	v_xor_b32_e32 v2, v2, v10
	s_delay_alu instid0(VALU_DEP_4) | instskip(NEXT) | instid1(VALU_DEP_1)
	v_clz_i32_u32_e32 v12, v9
	v_add_nc_u32_e32 v11, 1, v12
	s_delay_alu instid0(VALU_DEP_1) | instskip(NEXT) | instid1(VALU_DEP_1)
	v_cndmask_b32_e32 v6, 33, v11, vcc_lo
	v_sub_nc_u32_e32 v7, 32, v6
	s_delay_alu instid0(VALU_DEP_1) | instskip(SKIP_3) | instid1(VALU_DEP_3)
	v_alignbit_b32 v9, v9, v4, v7
	v_alignbit_b32 v2, v4, v2, v7
	v_lshrrev_b32_e32 v4, 29, v3
	v_lshrrev_b32_e32 v3, 30, v3
	v_alignbit_b32 v7, v9, v2, 9
	s_delay_alu instid0(VALU_DEP_3) | instskip(SKIP_1) | instid1(VALU_DEP_4)
	v_lshlrev_b32_e32 v4, 31, v4
	v_alignbit_b32 v9, v6, v9, 9
	v_add_nc_u32_e32 v3, v8, v3
	s_delay_alu instid0(VALU_DEP_4) | instskip(NEXT) | instid1(VALU_DEP_3)
	v_clz_i32_u32_e32 v10, v7
	v_or_b32_e32 v9, v9, v4
	v_or_b32_e32 v4, 0x33800000, v4
	s_delay_alu instid0(VALU_DEP_3) | instskip(NEXT) | instid1(VALU_DEP_3)
	v_min_u32_e32 v10, 32, v10
	v_xor_b32_e32 v9, 1.0, v9
	s_delay_alu instid0(VALU_DEP_2) | instskip(SKIP_1) | instid1(VALU_DEP_3)
	v_sub_nc_u32_e32 v11, 31, v10
	v_add_lshl_u32 v6, v10, v6, 23
	v_mul_f32_e32 v10, 0x3fc90fda, v9
	s_delay_alu instid0(VALU_DEP_3) | instskip(NEXT) | instid1(VALU_DEP_3)
	v_alignbit_b32 v2, v7, v2, v11
	v_sub_nc_u32_e32 v4, v4, v6
	s_delay_alu instid0(VALU_DEP_3) | instskip(NEXT) | instid1(VALU_DEP_3)
	v_fma_f32 v6, 0x3fc90fda, v9, -v10
	v_lshrrev_b32_e32 v2, 9, v2
	s_delay_alu instid0(VALU_DEP_2) | instskip(NEXT) | instid1(VALU_DEP_2)
	v_fmamk_f32 v6, v9, 0x33a22168, v6
	v_or_b32_e32 v2, v4, v2
	s_delay_alu instid0(VALU_DEP_1) | instskip(NEXT) | instid1(VALU_DEP_1)
	v_fmac_f32_e32 v6, 0x3fc90fda, v2
	v_add_f32_e32 v2, v10, v6
	s_or_saveexec_b32 s0, s5
	v_mul_f32_e64 v7, 0x3f22f983, |v0|
	s_xor_b32 exec_lo, exec_lo, s0
	s_branch .LBB22_969
.LBB22_968:
	s_or_saveexec_b32 s0, s5
	v_mul_f32_e64 v7, 0x3f22f983, |v0|
	s_xor_b32 exec_lo, exec_lo, s0
.LBB22_969:
	s_delay_alu instid0(VALU_DEP_1) | instskip(NEXT) | instid1(VALU_DEP_1)
	v_rndne_f32_e32 v3, v7
	v_fma_f32 v2, 0xbfc90fda, v3, |v0|
	s_delay_alu instid0(VALU_DEP_1) | instskip(NEXT) | instid1(VALU_DEP_1)
	v_fmamk_f32 v2, v3, 0xb3a22168, v2
	v_fmamk_f32 v2, v3, 0xa7c234c4, v2
	v_cvt_i32_f32_e32 v3, v3
; %bb.970:
	s_or_b32 exec_lo, exec_lo, s0
                                        ; implicit-def: $vgpr6
                                        ; implicit-def: $vgpr4
	s_and_saveexec_b32 s0, s4
	s_delay_alu instid0(SALU_CYCLE_1)
	s_xor_b32 s4, exec_lo, s0
	s_cbranch_execz .LBB22_972
; %bb.971:
	s_mov_b32 s0, 0x7fffff
	v_mov_b32_e32 v8, 0
	v_and_or_b32 v15, v1, s0, 0x800000
	s_delay_alu instid0(VALU_DEP_1) | instskip(NEXT) | instid1(VALU_DEP_1)
	v_mad_u64_u32 v[6:7], null, 0xfe5163ab, v15, 0
	v_mad_u64_u32 v[9:10], null, 0x3c439041, v15, v[7:8]
	s_delay_alu instid0(VALU_DEP_1) | instskip(NEXT) | instid1(VALU_DEP_1)
	v_mov_b32_e32 v7, v10
	v_mad_u64_u32 v[10:11], null, 0xdb629599, v15, v[7:8]
	s_delay_alu instid0(VALU_DEP_1) | instskip(NEXT) | instid1(VALU_DEP_1)
	v_mov_b32_e32 v7, v11
	v_mad_u64_u32 v[11:12], null, 0xf534ddc0, v15, v[7:8]
	s_delay_alu instid0(VALU_DEP_1) | instskip(NEXT) | instid1(VALU_DEP_1)
	v_dual_mov_b32 v7, v12 :: v_dual_add_nc_u32 v12, 0xffffff88, v5
	v_mad_u64_u32 v[4:5], null, 0xfc2757d1, v15, v[7:8]
	s_delay_alu instid0(VALU_DEP_2) | instskip(SKIP_1) | instid1(VALU_DEP_3)
	v_cmp_lt_u32_e32 vcc_lo, 63, v12
	v_cndmask_b32_e64 v13, 0, 0xffffffc0, vcc_lo
	v_dual_mov_b32 v7, v5 :: v_dual_cndmask_b32 v6, v10, v6
	s_delay_alu instid0(VALU_DEP_2) | instskip(NEXT) | instid1(VALU_DEP_2)
	v_add_nc_u32_e32 v5, v13, v12
	v_mad_u64_u32 v[12:13], null, 0x4e441529, v15, v[7:8]
	s_delay_alu instid0(VALU_DEP_2) | instskip(NEXT) | instid1(VALU_DEP_2)
	v_cmp_lt_u32_e64 s0, 31, v5
	v_mov_b32_e32 v7, v13
	s_delay_alu instid0(VALU_DEP_2) | instskip(NEXT) | instid1(VALU_DEP_1)
	v_cndmask_b32_e64 v14, 0, 0xffffffe0, s0
	v_add_nc_u32_e32 v5, v14, v5
	s_delay_alu instid0(VALU_DEP_3) | instskip(SKIP_1) | instid1(VALU_DEP_3)
	v_mad_u64_u32 v[13:14], null, 0xa2f9836e, v15, v[7:8]
	v_cndmask_b32_e32 v8, v12, v11, vcc_lo
	v_cmp_lt_u32_e64 s1, 31, v5
	s_delay_alu instid0(VALU_DEP_3) | instskip(NEXT) | instid1(VALU_DEP_2)
	v_cndmask_b32_e32 v13, v13, v4, vcc_lo
	v_cndmask_b32_e64 v7, 0, 0xffffffe0, s1
	v_cndmask_b32_e32 v12, v14, v12, vcc_lo
	s_delay_alu instid0(VALU_DEP_2) | instskip(SKIP_2) | instid1(VALU_DEP_4)
	v_dual_cndmask_b32 v4, v4, v10 :: v_dual_add_nc_u32 v5, v7, v5
	v_cndmask_b32_e32 v7, v11, v9, vcc_lo
	v_cndmask_b32_e64 v9, v13, v8, s0
	v_cndmask_b32_e64 v11, v12, v13, s0
	s_delay_alu instid0(VALU_DEP_4)
	v_cndmask_b32_e64 v8, v8, v4, s0
	v_sub_nc_u32_e32 v12, 32, v5
	v_cndmask_b32_e64 v4, v4, v7, s0
	v_cmp_eq_u32_e64 s2, 0, v5
	v_cndmask_b32_e64 v11, v11, v9, s1
	v_cndmask_b32_e64 v9, v9, v8, s1
	;; [unrolled: 1-line block ×4, first 2 shown]
	s_delay_alu instid0(VALU_DEP_3) | instskip(NEXT) | instid1(VALU_DEP_3)
	v_alignbit_b32 v13, v11, v9, v12
	v_cndmask_b32_e64 v4, v4, v6, s1
	s_delay_alu instid0(VALU_DEP_3) | instskip(NEXT) | instid1(VALU_DEP_3)
	v_alignbit_b32 v14, v9, v8, v12
	v_cndmask_b32_e64 v5, v13, v11, s2
	;; [unrolled: 3-line block ×3, first 2 shown]
	s_delay_alu instid0(VALU_DEP_3) | instskip(NEXT) | instid1(VALU_DEP_3)
	v_bfe_u32 v10, v5, 29, 1
	v_cndmask_b32_e64 v8, v12, v8, s2
	s_delay_alu instid0(VALU_DEP_3) | instskip(NEXT) | instid1(VALU_DEP_3)
	v_alignbit_b32 v7, v5, v9, 30
	v_sub_nc_u32_e32 v11, 0, v10
	s_delay_alu instid0(VALU_DEP_3) | instskip(SKIP_1) | instid1(VALU_DEP_3)
	v_alignbit_b32 v9, v9, v8, 30
	v_alignbit_b32 v4, v8, v4, 30
	v_xor_b32_e32 v6, v7, v11
	v_cmp_ne_u32_e32 vcc_lo, v7, v11
	s_delay_alu instid0(VALU_DEP_4) | instskip(NEXT) | instid1(VALU_DEP_4)
	v_xor_b32_e32 v8, v9, v11
	v_xor_b32_e32 v4, v4, v11
	s_delay_alu instid0(VALU_DEP_4) | instskip(NEXT) | instid1(VALU_DEP_1)
	v_clz_i32_u32_e32 v13, v6
	v_add_nc_u32_e32 v12, 1, v13
	s_delay_alu instid0(VALU_DEP_1) | instskip(NEXT) | instid1(VALU_DEP_1)
	v_cndmask_b32_e32 v7, 33, v12, vcc_lo
	v_sub_nc_u32_e32 v9, 32, v7
	s_delay_alu instid0(VALU_DEP_1) | instskip(SKIP_3) | instid1(VALU_DEP_3)
	v_alignbit_b32 v6, v6, v8, v9
	v_alignbit_b32 v4, v8, v4, v9
	v_lshrrev_b32_e32 v8, 29, v5
	v_lshrrev_b32_e32 v5, 30, v5
	v_alignbit_b32 v9, v6, v4, 9
	s_delay_alu instid0(VALU_DEP_3) | instskip(SKIP_1) | instid1(VALU_DEP_3)
	v_lshlrev_b32_e32 v8, 31, v8
	v_alignbit_b32 v6, v7, v6, 9
	v_clz_i32_u32_e32 v11, v9
	s_delay_alu instid0(VALU_DEP_2) | instskip(SKIP_1) | instid1(VALU_DEP_3)
	v_or_b32_e32 v6, v6, v8
	v_or_b32_e32 v8, 0x33800000, v8
	v_min_u32_e32 v11, 32, v11
	s_delay_alu instid0(VALU_DEP_3) | instskip(NEXT) | instid1(VALU_DEP_2)
	v_xor_b32_e32 v6, 1.0, v6
	v_sub_nc_u32_e32 v12, 31, v11
	v_add_lshl_u32 v7, v11, v7, 23
	s_delay_alu instid0(VALU_DEP_3) | instskip(NEXT) | instid1(VALU_DEP_3)
	v_mul_f32_e32 v11, 0x3fc90fda, v6
	v_alignbit_b32 v4, v9, v4, v12
	s_delay_alu instid0(VALU_DEP_3) | instskip(NEXT) | instid1(VALU_DEP_3)
	v_sub_nc_u32_e32 v7, v8, v7
	v_fma_f32 v8, 0x3fc90fda, v6, -v11
	s_delay_alu instid0(VALU_DEP_3) | instskip(NEXT) | instid1(VALU_DEP_2)
	v_lshrrev_b32_e32 v4, 9, v4
	v_fmamk_f32 v6, v6, 0x33a22168, v8
	s_delay_alu instid0(VALU_DEP_2) | instskip(NEXT) | instid1(VALU_DEP_1)
	v_or_b32_e32 v4, v7, v4
                                        ; implicit-def: $vgpr7
	v_fmac_f32_e32 v6, 0x3fc90fda, v4
	s_delay_alu instid0(VALU_DEP_1)
	v_add_f32_e32 v4, v11, v6
	v_add_nc_u32_e32 v6, v10, v5
	s_and_not1_saveexec_b32 s0, s4
	s_cbranch_execnz .LBB22_973
	s_branch .LBB22_974
.LBB22_972:
	s_and_not1_saveexec_b32 s0, s4
.LBB22_973:
	v_rndne_f32_e32 v5, v7
	s_delay_alu instid0(VALU_DEP_1) | instskip(SKIP_1) | instid1(VALU_DEP_2)
	v_fma_f32 v4, 0xbfc90fda, v5, |v0|
	v_cvt_i32_f32_e32 v6, v5
	v_fmamk_f32 v4, v5, 0xb3a22168, v4
	s_delay_alu instid0(VALU_DEP_1)
	v_fmamk_f32 v4, v5, 0xa7c234c4, v4
.LBB22_974:
	s_or_b32 exec_lo, exec_lo, s0
	v_div_scale_f32 v5, null, v41, v41, 0x40a00000
	v_div_scale_f32 v9, vcc_lo, 0x40a00000, v41, 0x40a00000
	s_mov_b32 s0, 0xb94c1982
	s_delay_alu instid0(VALU_DEP_2) | instskip(SKIP_4) | instid1(VALU_DEP_1)
	v_rcp_f32_e32 v7, v5
	s_mov_b32 s1, 0x37d75334
	v_xor_b32_e32 v1, v1, v0
	s_waitcnt_depctr 0xfff
	v_fma_f32 v8, -v5, v7, 1.0
	v_fmac_f32_e32 v7, v8, v7
	s_delay_alu instid0(VALU_DEP_1) | instskip(NEXT) | instid1(VALU_DEP_1)
	v_mul_f32_e32 v8, v9, v7
	v_fma_f32 v10, -v5, v8, v9
	s_delay_alu instid0(VALU_DEP_1) | instskip(SKIP_1) | instid1(VALU_DEP_2)
	v_fmac_f32_e32 v8, v10, v7
	v_mul_f32_e32 v10, v4, v4
	v_fma_f32 v5, -v5, v8, v9
	s_delay_alu instid0(VALU_DEP_2) | instskip(SKIP_1) | instid1(VALU_DEP_3)
	v_fmaak_f32 v19, s0, v10, 0x3c0881c4
	v_fmaak_f32 v20, s1, v10, 0xbab64f3b
	v_div_fmas_f32 v5, v5, v7, v8
	v_mul_f32_e32 v7, v2, v2
	s_delay_alu instid0(VALU_DEP_4)
	v_fmaak_f32 v19, v10, v19, 0xbe2aaa9d
	v_mul_f32_e32 v16, 0x4f800000, v41
	v_fmaak_f32 v20, v10, v20, 0x3d2aabf7
	v_div_fixup_f32 v5, v5, v41, 0x40a00000
	v_fmaak_f32 v17, s0, v7, 0x3c0881c4
	v_cmp_gt_f32_e64 s0, 0xf800000, v41
	v_fmaak_f32 v18, s1, v7, 0xbab64f3b
	v_mul_f32_e32 v19, v10, v19
	v_dual_mul_f32 v9, v5, v5 :: v_dual_and_b32 v8, 1, v3
	v_lshlrev_b32_e32 v3, 30, v3
	v_and_b32_e32 v11, 1, v6
	v_cndmask_b32_e64 v16, v41, v16, s0
	s_delay_alu instid0(VALU_DEP_4) | instskip(SKIP_3) | instid1(VALU_DEP_4)
	v_fmaak_f32 v14, 0, v9, 0x3a47c962
	v_fmaak_f32 v13, 0, v9, 0x3a15c4d9
	v_fmaak_f32 v12, 0, v9, 0x3d513fd3
	v_dual_fmaak_f32 v15, 0, v9, 0x42947983 :: v_dual_lshlrev_b32 v6, 30, v6
	v_fmaak_f32 v14, v9, v14, 0x3d95ca45
	s_delay_alu instid0(VALU_DEP_4) | instskip(SKIP_2) | instid1(VALU_DEP_3)
	v_dual_fmaak_f32 v13, v9, v13, 0x3d8cfeeb :: v_dual_fmac_f32 v4, v4, v19
	v_sqrt_f32_e32 v24, v16
	v_fmaak_f32 v17, v7, v17, 0xbe2aaa9d
	v_fmaak_f32 v14, v9, v14, 0x3f9047f6
	s_delay_alu instid0(VALU_DEP_3)
	v_fmaak_f32 v13, v9, v13, 0x3f8d754e
	v_fmaak_f32 v12, v9, v12, 0x409f6dae
	;; [unrolled: 1-line block ×3, first 2 shown]
	v_mul_f32_e32 v17, v7, v17
	v_fmaak_f32 v15, v9, v15, 0x44840e5d
	v_fmaak_f32 v20, v10, v20, 0xbf000004
	v_cmp_eq_u32_e64 s2, 0, v8
	v_fmaak_f32 v18, v7, v18, 0xbf000004
	v_fmac_f32_e32 v2, v2, v17
	v_fmaak_f32 v13, v9, v13, 0x40a25d18
	v_fmaak_f32 v15, v9, v15, 0x459bd349
	v_fma_f32 v10, v10, v20, 1.0
	v_fma_f32 v7, v7, v18, 1.0
	v_and_b32_e32 v3, 0x80000000, v3
	v_dual_fmaak_f32 v14, v9, v14, 0x40a39628 :: v_dual_add_nc_u32 v19, -1, v24
	v_fmaak_f32 v13, v9, v13, 0x410665cf
	v_fmaak_f32 v15, v9, v15, 0x46156947
	v_cndmask_b32_e64 v2, v7, v2, s2
	v_cmp_eq_u32_e64 s2, 0, v11
	v_fmaak_f32 v14, v9, v14, 0x4106c8e4
	v_fmaak_f32 v13, v9, v13, 0x40a6b6ea
	v_fmaak_f32 v15, v9, v15, 0x45f9e855
	v_fma_f32 v7, -v19, v24, v16
	v_cndmask_b32_e64 v4, -v4, v10, s2
	v_fmaak_f32 v14, v9, v14, 0x40a6dd51
	v_fma_f32 v13, v9, v13, 1.0
	v_fmaak_f32 v15, v9, v15, 0x4530a316
	v_xor3_b32 v1, v1, v3, v2
	v_and_b32_e32 v6, 0x80000000, v6
	v_fma_f32 v14, v9, v14, 1.0
	s_delay_alu instid0(VALU_DEP_4) | instskip(NEXT) | instid1(VALU_DEP_3)
	v_fmaak_f32 v15, v9, v15, 0x43a80bfb
	v_xor_b32_e32 v4, v6, v4
	s_delay_alu instid0(VALU_DEP_3) | instskip(SKIP_1) | instid1(VALU_DEP_1)
	v_div_scale_f32 v27, vcc_lo, v14, v13, v14
	v_fmaak_f32 v12, v9, v12, 0x4297a5cd
	v_fmaak_f32 v12, v9, v12, 0x43b763ca
	s_delay_alu instid0(VALU_DEP_1) | instskip(NEXT) | instid1(VALU_DEP_1)
	v_fmaak_f32 v12, v9, v12, 0x4431b6ce
	v_fmaak_f32 v12, v9, v12, 0x44155f56
	s_delay_alu instid0(VALU_DEP_1) | instskip(NEXT) | instid1(VALU_DEP_1)
	v_fmaak_f32 v12, v9, v12, 0x4353b052
	v_fmaak_f32 v9, v9, v12, 0x41c9a7fa
	v_div_scale_f32 v12, null, v13, v13, v14
	s_delay_alu instid0(VALU_DEP_2) | instskip(NEXT) | instid1(VALU_DEP_2)
	v_div_scale_f32 v21, null, v15, v15, v9
	v_rcp_f32_e32 v22, v12
	s_delay_alu instid0(VALU_DEP_1) | instskip(SKIP_3) | instid1(VALU_DEP_2)
	v_rcp_f32_e32 v23, v21
	s_waitcnt_depctr 0xfff
	v_fma_f32 v25, -v12, v22, 1.0
	v_fma_f32 v26, -v21, v23, 1.0
	v_fmac_f32_e32 v22, v25, v22
	v_div_scale_f32 v25, s1, v9, v15, v9
	s_delay_alu instid0(VALU_DEP_3) | instskip(NEXT) | instid1(VALU_DEP_1)
	v_dual_fmac_f32 v23, v26, v23 :: v_dual_add_nc_u32 v26, 1, v24
	v_dual_mul_f32 v17, v27, v22 :: v_dual_mul_f32 v18, v25, v23
	s_delay_alu instid0(VALU_DEP_2) | instskip(NEXT) | instid1(VALU_DEP_2)
	v_fma_f32 v8, -v26, v24, v16
	v_fma_f32 v20, -v12, v17, v27
	s_delay_alu instid0(VALU_DEP_3) | instskip(NEXT) | instid1(VALU_DEP_2)
	v_fma_f32 v28, -v21, v18, v25
	v_fmac_f32_e32 v17, v20, v22
	s_delay_alu instid0(VALU_DEP_2) | instskip(NEXT) | instid1(VALU_DEP_2)
	v_fmac_f32_e32 v18, v28, v23
	v_fma_f32 v10, -v12, v17, v27
	s_delay_alu instid0(VALU_DEP_2) | instskip(NEXT) | instid1(VALU_DEP_2)
	v_fma_f32 v2, -v21, v18, v25
	v_div_fmas_f32 v3, v10, v22, v17
	s_mov_b32 vcc_lo, s1
	v_cmp_lt_f32_e64 s1, 0, v8
	s_delay_alu instid0(VALU_DEP_3)
	v_div_fmas_f32 v2, v2, v23, v18
	v_cmp_ge_f32_e32 vcc_lo, 0, v7
	v_div_fixup_f32 v3, v3, v13, v14
	v_cndmask_b32_e32 v6, v24, v19, vcc_lo
	v_cmp_class_f32_e64 vcc_lo, v0, 0x1f8
	v_div_fixup_f32 v0, v2, v15, v9
	s_delay_alu instid0(VALU_DEP_3) | instskip(SKIP_1) | instid1(VALU_DEP_3)
	v_cndmask_b32_e64 v2, v6, v26, s1
	v_cndmask_b32_e32 v4, 0x7fc00000, v4, vcc_lo
	v_dual_mul_f32 v0, v5, v0 :: v_dual_cndmask_b32 v1, 0x7fc00000, v1
	v_cmp_class_f32_e64 vcc_lo, v16, 0x260
	s_delay_alu instid0(VALU_DEP_2) | instskip(NEXT) | instid1(VALU_DEP_1)
	v_dual_mul_f32 v5, 0x37800000, v2 :: v_dual_mul_f32 v0, v0, v4
	v_cndmask_b32_e64 v2, v2, v5, s0
	s_delay_alu instid0(VALU_DEP_1) | instskip(NEXT) | instid1(VALU_DEP_1)
	v_dual_fmac_f32 v0, v3, v1 :: v_dual_cndmask_b32 v1, v2, v16
	v_mul_f32_e32 v0, 0x3f4c422a, v0
	s_delay_alu instid0(VALU_DEP_1) | instskip(NEXT) | instid1(VALU_DEP_1)
	v_div_scale_f32 v2, null, v1, v1, v0
	v_rcp_f32_e32 v3, v2
	s_waitcnt_depctr 0xfff
	v_fma_f32 v4, -v2, v3, 1.0
	s_delay_alu instid0(VALU_DEP_1) | instskip(SKIP_1) | instid1(VALU_DEP_1)
	v_fmac_f32_e32 v3, v4, v3
	v_div_scale_f32 v4, vcc_lo, v0, v1, v0
	v_mul_f32_e32 v5, v4, v3
	s_delay_alu instid0(VALU_DEP_1) | instskip(NEXT) | instid1(VALU_DEP_1)
	v_fma_f32 v6, -v2, v5, v4
	v_fmac_f32_e32 v5, v6, v3
	s_delay_alu instid0(VALU_DEP_1) | instskip(NEXT) | instid1(VALU_DEP_1)
	v_fma_f32 v2, -v2, v5, v4
	v_div_fmas_f32 v2, v2, v3, v5
	s_delay_alu instid0(VALU_DEP_1)
	v_div_fixup_f32 v0, v2, v1, v0
.LBB22_975:
	s_or_b32 exec_lo, exec_lo, s3
	v_mul_lo_u32 v1, v45, s40
	v_and_b32_e32 v4, 0xff, v43
	s_delay_alu instid0(VALU_DEP_1) | instskip(NEXT) | instid1(VALU_DEP_3)
	v_cmp_gt_i16_e32 vcc_lo, 11, v4
	v_ashrrev_i32_e32 v3, 31, v1
	v_add_co_u32 v2, s0, s36, v1
	s_delay_alu instid0(VALU_DEP_1)
	v_add_co_ci_u32_e64 v3, s0, s37, v3, s0
	s_cbranch_vccnz .LBB22_982
; %bb.976:
	v_cmp_lt_i16_e32 vcc_lo, 25, v4
	s_mov_b32 s1, -1
	s_mov_b32 s0, s43
	s_cbranch_vccz .LBB22_1012
; %bb.977:
	v_cmp_lt_i16_e32 vcc_lo, 28, v4
	s_mov_b32 s0, s43
	s_cbranch_vccz .LBB22_996
; %bb.978:
	v_cmp_lt_i16_e32 vcc_lo, 43, v4
	s_mov_b32 s0, s43
	s_cbranch_vccz .LBB22_992
; %bb.979:
	v_cmp_lt_i16_e32 vcc_lo, 45, v4
	s_mov_b32 s0, s43
	s_cbranch_vccz .LBB22_986
; %bb.980:
	v_cmp_eq_u16_e32 vcc_lo, 46, v4
	s_mov_b32 s0, -1
	s_cbranch_vccz .LBB22_985
; %bb.981:
	v_bfe_u32 v1, v0, 16, 1
	v_cmp_o_f32_e32 vcc_lo, v0, v0
	s_mov_b32 s0, 0
	s_mov_b32 s1, 0
	s_delay_alu instid0(VALU_DEP_2) | instskip(NEXT) | instid1(VALU_DEP_1)
	v_add3_u32 v1, v0, v1, 0x7fff
	v_lshrrev_b32_e32 v1, 16, v1
	s_delay_alu instid0(VALU_DEP_1)
	v_cndmask_b32_e32 v1, 0x7fc0, v1, vcc_lo
	global_store_b32 v[2:3], v1, off
	s_branch .LBB22_986
.LBB22_982:
	s_mov_b32 s2, 0
	s_mov_b32 s1, -1
	s_mov_b32 s0, s43
	s_branch .LBB22_1053
.LBB22_983:
	s_trap 2
	s_sendmsg_rtn_b32 s0, sendmsg(MSG_RTN_GET_DOORBELL)
	s_mov_b32 ttmp2, m0
	s_waitcnt lgkmcnt(0)
	s_and_b32 s0, s0, 0x3ff
	s_delay_alu instid0(SALU_CYCLE_1) | instskip(NEXT) | instid1(SALU_CYCLE_1)
	s_bitset1_b32 s0, 10
	s_mov_b32 m0, s0
	s_sendmsg sendmsg(MSG_INTERRUPT)
	s_mov_b32 m0, ttmp2
.LBB22_984:                             ; =>This Inner Loop Header: Depth=1
	s_sethalt 5
	s_branch .LBB22_984
.LBB22_985:
	s_mov_b32 s1, 0
.LBB22_986:
	s_delay_alu instid0(SALU_CYCLE_1)
	s_and_b32 vcc_lo, exec_lo, s1
	s_cbranch_vccz .LBB22_991
; %bb.987:
	v_cmp_eq_u16_e32 vcc_lo, 44, v4
	s_mov_b32 s0, -1
	s_cbranch_vccz .LBB22_991
; %bb.988:
	v_bfe_u32 v5, v0, 23, 8
	v_mov_b32_e32 v1, 0xff
	s_mov_b32 s1, exec_lo
	s_delay_alu instid0(VALU_DEP_2)
	v_cmpx_ne_u32_e32 0xff, v5
; %bb.989:
	v_and_b32_e32 v1, 0x400000, v0
	v_and_or_b32 v5, 0x3fffff, v0, v5
	s_delay_alu instid0(VALU_DEP_2) | instskip(NEXT) | instid1(VALU_DEP_2)
	v_cmp_ne_u32_e32 vcc_lo, 0, v1
	v_cmp_ne_u32_e64 s0, 0, v5
	v_lshrrev_b32_e32 v1, 23, v0
	s_delay_alu instid0(VALU_DEP_2) | instskip(NEXT) | instid1(SALU_CYCLE_1)
	s_and_b32 s0, vcc_lo, s0
	v_cndmask_b32_e64 v5, 0, 1, s0
	s_delay_alu instid0(VALU_DEP_1)
	v_add_nc_u32_e32 v1, v1, v5
; %bb.990:
	s_or_b32 exec_lo, exec_lo, s1
	s_mov_b32 s0, 0
	global_store_b8 v[2:3], v1, off
.LBB22_991:
	s_mov_b32 s1, 0
.LBB22_992:
	s_delay_alu instid0(SALU_CYCLE_1)
	s_and_b32 vcc_lo, exec_lo, s1
	s_cbranch_vccz .LBB22_995
; %bb.993:
	v_cmp_eq_u16_e32 vcc_lo, 29, v4
	s_mov_b32 s0, -1
	s_cbranch_vccz .LBB22_995
; %bb.994:
	v_trunc_f32_e32 v1, v0
	s_mov_b32 s0, 0
	s_mov_b32 s1, 0
	s_delay_alu instid0(VALU_DEP_1) | instskip(NEXT) | instid1(VALU_DEP_1)
	v_mul_f32_e32 v5, 0x2f800000, v1
	v_floor_f32_e32 v5, v5
	s_delay_alu instid0(VALU_DEP_1) | instskip(SKIP_1) | instid1(VALU_DEP_2)
	v_fmamk_f32 v1, v5, 0xcf800000, v1
	v_cvt_u32_f32_e32 v6, v5
	v_cvt_u32_f32_e32 v5, v1
	global_store_b64 v[2:3], v[5:6], off
	s_branch .LBB22_996
.LBB22_995:
	s_mov_b32 s1, 0
.LBB22_996:
	s_delay_alu instid0(SALU_CYCLE_1)
	s_and_b32 vcc_lo, exec_lo, s1
	s_cbranch_vccz .LBB22_1011
; %bb.997:
	v_cmp_gt_i16_e32 vcc_lo, 27, v4
	s_mov_b32 s1, -1
	s_cbranch_vccnz .LBB22_1003
; %bb.998:
	v_cmp_lt_i16_e32 vcc_lo, 27, v4
	v_cvt_u32_f32_e32 v1, v0
	s_cbranch_vccz .LBB22_1000
; %bb.999:
	s_mov_b32 s1, 0
	global_store_b32 v[2:3], v1, off
.LBB22_1000:
	s_and_not1_b32 vcc_lo, exec_lo, s1
	s_cbranch_vccnz .LBB22_1002
; %bb.1001:
	global_store_b16 v[2:3], v1, off
.LBB22_1002:
	s_mov_b32 s1, 0
.LBB22_1003:
	s_delay_alu instid0(SALU_CYCLE_1)
	s_and_not1_b32 vcc_lo, exec_lo, s1
	s_cbranch_vccnz .LBB22_1011
; %bb.1004:
	v_and_b32_e32 v1, 0x7fffffff, v0
	v_mov_b32_e32 v5, 0x80
	s_mov_b32 s1, exec_lo
	s_delay_alu instid0(VALU_DEP_2)
	v_cmpx_gt_u32_e32 0x43800000, v1
	s_cbranch_execz .LBB22_1010
; %bb.1005:
	v_cmp_lt_u32_e32 vcc_lo, 0x3bffffff, v1
	s_mov_b32 s2, 0
                                        ; implicit-def: $vgpr1
	s_and_saveexec_b32 s3, vcc_lo
	s_delay_alu instid0(SALU_CYCLE_1)
	s_xor_b32 s3, exec_lo, s3
	s_cbranch_execz .LBB22_1261
; %bb.1006:
	v_bfe_u32 v1, v0, 20, 1
	s_mov_b32 s2, exec_lo
	s_delay_alu instid0(VALU_DEP_1) | instskip(NEXT) | instid1(VALU_DEP_1)
	v_add3_u32 v1, v0, v1, 0x487ffff
	v_lshrrev_b32_e32 v1, 20, v1
	s_or_saveexec_b32 s3, s3
                                        ; implicit-def: $sgpr4
	s_delay_alu instid0(SALU_CYCLE_1)
	s_xor_b32 exec_lo, exec_lo, s3
	s_cbranch_execnz .LBB22_1262
.LBB22_1007:
	s_or_b32 exec_lo, exec_lo, s3
	v_mov_b32_e32 v5, s4
	s_and_saveexec_b32 s3, s2
.LBB22_1008:
	v_lshrrev_b32_e32 v5, 24, v0
	s_delay_alu instid0(VALU_DEP_1)
	v_and_or_b32 v5, 0x80, v5, v1
.LBB22_1009:
	s_or_b32 exec_lo, exec_lo, s3
.LBB22_1010:
	s_delay_alu instid0(SALU_CYCLE_1)
	s_or_b32 exec_lo, exec_lo, s1
	global_store_b8 v[2:3], v5, off
.LBB22_1011:
	s_mov_b32 s1, 0
.LBB22_1012:
	s_delay_alu instid0(SALU_CYCLE_1)
	s_and_b32 vcc_lo, exec_lo, s1
	s_mov_b32 s1, 0
	s_cbranch_vccz .LBB22_1052
; %bb.1013:
	v_cmp_lt_i16_e32 vcc_lo, 22, v4
	s_mov_b32 s2, -1
	s_cbranch_vccz .LBB22_1045
; %bb.1014:
	v_cmp_gt_i16_e32 vcc_lo, 24, v4
	s_cbranch_vccnz .LBB22_1034
; %bb.1015:
	v_cmp_lt_i16_e32 vcc_lo, 24, v4
	s_cbranch_vccz .LBB22_1023
; %bb.1016:
	v_and_b32_e32 v1, 0x7fffffff, v0
	v_mov_b32_e32 v5, 0x80
	s_mov_b32 s2, exec_lo
	s_delay_alu instid0(VALU_DEP_2)
	v_cmpx_gt_u32_e32 0x47800000, v1
	s_cbranch_execz .LBB22_1022
; %bb.1017:
	v_cmp_lt_u32_e32 vcc_lo, 0x37ffffff, v1
	s_mov_b32 s3, 0
                                        ; implicit-def: $vgpr1
	s_and_saveexec_b32 s4, vcc_lo
	s_delay_alu instid0(SALU_CYCLE_1)
	s_xor_b32 s4, exec_lo, s4
	s_cbranch_execz .LBB22_1305
; %bb.1018:
	v_bfe_u32 v1, v0, 21, 1
	s_mov_b32 s3, exec_lo
	s_delay_alu instid0(VALU_DEP_1) | instskip(NEXT) | instid1(VALU_DEP_1)
	v_add3_u32 v1, v0, v1, 0x88fffff
	v_lshrrev_b32_e32 v1, 21, v1
	s_or_saveexec_b32 s4, s4
                                        ; implicit-def: $sgpr5
	s_delay_alu instid0(SALU_CYCLE_1)
	s_xor_b32 exec_lo, exec_lo, s4
	s_cbranch_execnz .LBB22_1306
.LBB22_1019:
	s_or_b32 exec_lo, exec_lo, s4
	v_mov_b32_e32 v5, s5
	s_and_saveexec_b32 s4, s3
.LBB22_1020:
	v_lshrrev_b32_e32 v5, 24, v0
	s_delay_alu instid0(VALU_DEP_1)
	v_and_or_b32 v5, 0x80, v5, v1
.LBB22_1021:
	s_or_b32 exec_lo, exec_lo, s4
.LBB22_1022:
	s_delay_alu instid0(SALU_CYCLE_1)
	s_or_b32 exec_lo, exec_lo, s2
	s_mov_b32 s2, 0
	global_store_b8 v[2:3], v5, off
.LBB22_1023:
	s_and_b32 vcc_lo, exec_lo, s2
	s_cbranch_vccz .LBB22_1033
; %bb.1024:
	v_and_b32_e32 v5, 0x7fffffff, v0
	s_mov_b32 s2, exec_lo
                                        ; implicit-def: $vgpr1
	s_delay_alu instid0(VALU_DEP_1)
	v_cmpx_gt_u32_e32 0x43f00000, v5
	s_xor_b32 s2, exec_lo, s2
	s_cbranch_execz .LBB22_1030
; %bb.1025:
	s_mov_b32 s3, exec_lo
                                        ; implicit-def: $vgpr1
	v_cmpx_lt_u32_e32 0x3c7fffff, v5
	s_xor_b32 s3, exec_lo, s3
; %bb.1026:
	v_bfe_u32 v1, v0, 20, 1
	s_delay_alu instid0(VALU_DEP_1) | instskip(NEXT) | instid1(VALU_DEP_1)
	v_add3_u32 v1, v0, v1, 0x407ffff
	v_and_b32_e32 v5, 0xff00000, v1
	v_lshrrev_b32_e32 v1, 20, v1
	s_delay_alu instid0(VALU_DEP_2) | instskip(NEXT) | instid1(VALU_DEP_2)
	v_cmp_ne_u32_e32 vcc_lo, 0x7f00000, v5
	v_cndmask_b32_e32 v1, 0x7e, v1, vcc_lo
; %bb.1027:
	s_and_not1_saveexec_b32 s3, s3
; %bb.1028:
	v_add_f32_e64 v1, 0x46800000, |v0|
; %bb.1029:
	s_or_b32 exec_lo, exec_lo, s3
                                        ; implicit-def: $vgpr5
.LBB22_1030:
	s_and_not1_saveexec_b32 s2, s2
; %bb.1031:
	v_mov_b32_e32 v1, 0x7f
	v_cmp_lt_u32_e32 vcc_lo, 0x7f800000, v5
	s_delay_alu instid0(VALU_DEP_2)
	v_cndmask_b32_e32 v1, 0x7e, v1, vcc_lo
; %bb.1032:
	s_or_b32 exec_lo, exec_lo, s2
	v_lshrrev_b32_e32 v5, 24, v0
	s_delay_alu instid0(VALU_DEP_1)
	v_and_or_b32 v1, 0x80, v5, v1
	global_store_b8 v[2:3], v1, off
.LBB22_1033:
	s_mov_b32 s2, 0
.LBB22_1034:
	s_delay_alu instid0(SALU_CYCLE_1)
	s_and_not1_b32 vcc_lo, exec_lo, s2
	s_cbranch_vccnz .LBB22_1044
; %bb.1035:
	v_and_b32_e32 v5, 0x7fffffff, v0
	s_mov_b32 s2, exec_lo
                                        ; implicit-def: $vgpr1
	s_delay_alu instid0(VALU_DEP_1)
	v_cmpx_gt_u32_e32 0x47800000, v5
	s_xor_b32 s2, exec_lo, s2
	s_cbranch_execz .LBB22_1041
; %bb.1036:
	s_mov_b32 s3, exec_lo
                                        ; implicit-def: $vgpr1
	v_cmpx_lt_u32_e32 0x387fffff, v5
	s_xor_b32 s3, exec_lo, s3
; %bb.1037:
	v_bfe_u32 v1, v0, 21, 1
	s_delay_alu instid0(VALU_DEP_1) | instskip(NEXT) | instid1(VALU_DEP_1)
	v_add3_u32 v1, v0, v1, 0x80fffff
	v_lshrrev_b32_e32 v1, 21, v1
; %bb.1038:
	s_and_not1_saveexec_b32 s3, s3
; %bb.1039:
	v_add_f32_e64 v1, 0x43000000, |v0|
; %bb.1040:
	s_or_b32 exec_lo, exec_lo, s3
                                        ; implicit-def: $vgpr5
.LBB22_1041:
	s_and_not1_saveexec_b32 s2, s2
; %bb.1042:
	v_mov_b32_e32 v1, 0x7f
	v_cmp_lt_u32_e32 vcc_lo, 0x7f800000, v5
	s_delay_alu instid0(VALU_DEP_2)
	v_cndmask_b32_e32 v1, 0x7c, v1, vcc_lo
; %bb.1043:
	s_or_b32 exec_lo, exec_lo, s2
	v_lshrrev_b32_e32 v5, 24, v0
	s_delay_alu instid0(VALU_DEP_1)
	v_and_or_b32 v1, 0x80, v5, v1
	global_store_b8 v[2:3], v1, off
.LBB22_1044:
	s_mov_b32 s2, 0
.LBB22_1045:
	s_delay_alu instid0(SALU_CYCLE_1)
	s_and_not1_b32 vcc_lo, exec_lo, s2
	s_mov_b32 s2, 0
	s_cbranch_vccnz .LBB22_1053
; %bb.1046:
	v_cmp_lt_i16_e32 vcc_lo, 14, v4
	s_mov_b32 s2, -1
	s_cbranch_vccz .LBB22_1050
; %bb.1047:
	v_cmp_eq_u16_e32 vcc_lo, 15, v4
	s_mov_b32 s0, -1
	s_cbranch_vccz .LBB22_1049
; %bb.1048:
	v_bfe_u32 v1, v0, 16, 1
	v_cmp_o_f32_e32 vcc_lo, v0, v0
	s_mov_b32 s0, 0
	s_delay_alu instid0(VALU_DEP_2) | instskip(NEXT) | instid1(VALU_DEP_1)
	v_add3_u32 v1, v0, v1, 0x7fff
	v_lshrrev_b32_e32 v1, 16, v1
	s_delay_alu instid0(VALU_DEP_1)
	v_cndmask_b32_e32 v1, 0x7fc0, v1, vcc_lo
	global_store_b16 v[2:3], v1, off
.LBB22_1049:
	s_mov_b32 s2, 0
.LBB22_1050:
	s_delay_alu instid0(SALU_CYCLE_1)
	s_and_b32 vcc_lo, exec_lo, s2
	s_mov_b32 s2, 0
	s_cbranch_vccz .LBB22_1053
; %bb.1051:
	v_cmp_ne_u16_e32 vcc_lo, 11, v4
	s_and_not1_b32 s0, s0, exec_lo
	s_mov_b32 s2, -1
	s_and_b32 s3, vcc_lo, exec_lo
	s_delay_alu instid0(SALU_CYCLE_1)
	s_or_b32 s0, s0, s3
	s_branch .LBB22_1053
.LBB22_1052:
	s_mov_b32 s2, 0
.LBB22_1053:
	s_and_not1_b32 s3, s43, exec_lo
	s_and_b32 s0, s0, exec_lo
	s_and_b32 s1, s1, exec_lo
	;; [unrolled: 1-line block ×3, first 2 shown]
	s_or_b32 s43, s3, s0
.LBB22_1054:
	s_or_b32 exec_lo, exec_lo, s45
	s_and_saveexec_b32 s0, s43
	s_cbranch_execnz .LBB22_1116
; %bb.1055:
	s_or_b32 exec_lo, exec_lo, s0
	s_and_saveexec_b32 s0, s2
	s_delay_alu instid0(SALU_CYCLE_1)
	s_xor_b32 s0, exec_lo, s0
	s_cbranch_execz .LBB22_1057
.LBB22_1056:
	v_cmp_neq_f32_e32 vcc_lo, 0, v0
	v_cndmask_b32_e64 v1, 0, 1, vcc_lo
	global_store_b8 v[2:3], v1, off
.LBB22_1057:
	s_or_b32 exec_lo, exec_lo, s0
	s_and_saveexec_b32 s0, s1
	s_delay_alu instid0(SALU_CYCLE_1)
	s_xor_b32 s0, exec_lo, s0
	s_cbranch_execz .LBB22_1095
; %bb.1058:
	v_cmp_gt_i16_e32 vcc_lo, 5, v4
	s_mov_b32 s1, -1
	s_cbranch_vccnz .LBB22_1079
; %bb.1059:
	v_cmp_gt_i16_e32 vcc_lo, 8, v4
	s_cbranch_vccnz .LBB22_1069
; %bb.1060:
	v_cmp_gt_i16_e32 vcc_lo, 9, v4
	s_cbranch_vccnz .LBB22_1066
; %bb.1061:
	v_cmp_lt_i16_e32 vcc_lo, 9, v4
	s_cbranch_vccz .LBB22_1063
; %bb.1062:
	v_cvt_f64_f32_e32 v[5:6], v0
	v_mov_b32_e32 v7, 0
	s_mov_b32 s1, 0
	s_delay_alu instid0(VALU_DEP_1)
	v_mov_b32_e32 v8, v7
	global_store_b128 v[2:3], v[5:8], off
.LBB22_1063:
	s_and_not1_b32 vcc_lo, exec_lo, s1
	s_cbranch_vccnz .LBB22_1065
; %bb.1064:
	v_mov_b32_e32 v1, 0
	global_store_b64 v[2:3], v[0:1], off
.LBB22_1065:
	s_mov_b32 s1, 0
.LBB22_1066:
	s_delay_alu instid0(SALU_CYCLE_1)
	s_and_not1_b32 vcc_lo, exec_lo, s1
	s_cbranch_vccnz .LBB22_1068
; %bb.1067:
	v_cvt_f16_f32_e32 v1, v0
	s_delay_alu instid0(VALU_DEP_1)
	v_and_b32_e32 v1, 0xffff, v1
	global_store_b32 v[2:3], v1, off
.LBB22_1068:
	s_mov_b32 s1, 0
.LBB22_1069:
	s_delay_alu instid0(SALU_CYCLE_1)
	s_and_not1_b32 vcc_lo, exec_lo, s1
	s_cbranch_vccnz .LBB22_1078
; %bb.1070:
	v_cmp_gt_i16_e32 vcc_lo, 6, v4
	s_mov_b32 s1, -1
	s_cbranch_vccnz .LBB22_1076
; %bb.1071:
	v_cmp_lt_i16_e32 vcc_lo, 6, v4
	s_cbranch_vccz .LBB22_1073
; %bb.1072:
	v_cvt_f64_f32_e32 v[5:6], v0
	s_mov_b32 s1, 0
	global_store_b64 v[2:3], v[5:6], off
.LBB22_1073:
	s_and_not1_b32 vcc_lo, exec_lo, s1
	s_cbranch_vccnz .LBB22_1075
; %bb.1074:
	global_store_b32 v[2:3], v0, off
.LBB22_1075:
	s_mov_b32 s1, 0
.LBB22_1076:
	s_delay_alu instid0(SALU_CYCLE_1)
	s_and_not1_b32 vcc_lo, exec_lo, s1
	s_cbranch_vccnz .LBB22_1078
; %bb.1077:
	v_cvt_f16_f32_e32 v1, v0
	global_store_b16 v[2:3], v1, off
.LBB22_1078:
	s_mov_b32 s1, 0
.LBB22_1079:
	s_delay_alu instid0(SALU_CYCLE_1)
	s_and_not1_b32 vcc_lo, exec_lo, s1
	s_cbranch_vccnz .LBB22_1095
; %bb.1080:
	v_cmp_gt_i16_e32 vcc_lo, 2, v4
	s_mov_b32 s1, -1
	s_cbranch_vccnz .LBB22_1090
; %bb.1081:
	v_cmp_gt_i16_e32 vcc_lo, 3, v4
	s_cbranch_vccnz .LBB22_1087
; %bb.1082:
	v_cmp_lt_i16_e32 vcc_lo, 3, v4
	s_cbranch_vccz .LBB22_1084
; %bb.1083:
	v_trunc_f32_e32 v1, v0
	s_mov_b32 s1, 0
	s_delay_alu instid0(VALU_DEP_1) | instskip(NEXT) | instid1(VALU_DEP_1)
	v_mul_f32_e64 v5, 0x2f800000, |v1|
	v_floor_f32_e32 v5, v5
	s_delay_alu instid0(VALU_DEP_1) | instskip(SKIP_2) | instid1(VALU_DEP_3)
	v_fma_f32 v6, 0xcf800000, v5, |v1|
	v_ashrrev_i32_e32 v1, 31, v1
	v_cvt_u32_f32_e32 v5, v5
	v_cvt_u32_f32_e32 v6, v6
	s_delay_alu instid0(VALU_DEP_2) | instskip(NEXT) | instid1(VALU_DEP_2)
	v_xor_b32_e32 v7, v5, v1
	v_xor_b32_e32 v6, v6, v1
	s_delay_alu instid0(VALU_DEP_1) | instskip(NEXT) | instid1(VALU_DEP_3)
	v_sub_co_u32 v5, vcc_lo, v6, v1
	v_sub_co_ci_u32_e32 v6, vcc_lo, v7, v1, vcc_lo
	global_store_b64 v[2:3], v[5:6], off
.LBB22_1084:
	s_and_not1_b32 vcc_lo, exec_lo, s1
	s_cbranch_vccnz .LBB22_1086
; %bb.1085:
	v_cvt_i32_f32_e32 v1, v0
	global_store_b32 v[2:3], v1, off
.LBB22_1086:
	s_mov_b32 s1, 0
.LBB22_1087:
	s_delay_alu instid0(SALU_CYCLE_1)
	s_and_not1_b32 vcc_lo, exec_lo, s1
	s_cbranch_vccnz .LBB22_1089
; %bb.1088:
	v_cvt_i32_f32_e32 v1, v0
	global_store_b16 v[2:3], v1, off
.LBB22_1089:
	s_mov_b32 s1, 0
.LBB22_1090:
	s_delay_alu instid0(SALU_CYCLE_1)
	s_and_not1_b32 vcc_lo, exec_lo, s1
	s_cbranch_vccnz .LBB22_1095
; %bb.1091:
	v_cmp_lt_i16_e32 vcc_lo, 0, v4
	s_mov_b32 s1, -1
	s_cbranch_vccz .LBB22_1093
; %bb.1092:
	v_cvt_i32_f32_e32 v1, v0
	s_mov_b32 s1, 0
	global_store_b8 v[2:3], v1, off
.LBB22_1093:
	s_and_not1_b32 vcc_lo, exec_lo, s1
	s_cbranch_vccnz .LBB22_1095
; %bb.1094:
	v_trunc_f32_e32 v0, v0
	s_delay_alu instid0(VALU_DEP_1) | instskip(NEXT) | instid1(VALU_DEP_1)
	v_mul_f32_e64 v1, 0x2f800000, |v0|
	v_floor_f32_e32 v1, v1
	s_delay_alu instid0(VALU_DEP_1) | instskip(SKIP_1) | instid1(VALU_DEP_2)
	v_fma_f32 v1, 0xcf800000, v1, |v0|
	v_ashrrev_i32_e32 v0, 31, v0
	v_cvt_u32_f32_e32 v1, v1
	s_delay_alu instid0(VALU_DEP_1) | instskip(NEXT) | instid1(VALU_DEP_1)
	v_xor_b32_e32 v1, v1, v0
	v_sub_nc_u32_e32 v0, v1, v0
	global_store_b8 v[2:3], v0, off
.LBB22_1095:
	s_or_b32 exec_lo, exec_lo, s0
	s_delay_alu instid0(SALU_CYCLE_1)
	s_and_b32 s43, s44, exec_lo
                                        ; implicit-def: $vgpr45
                                        ; implicit-def: $vgpr47
                                        ; implicit-def: $vgpr56
                                        ; implicit-def: $vgpr43
.LBB22_1096:
	s_or_saveexec_b32 s42, s42
	s_mov_b32 s0, 0
                                        ; implicit-def: $vgpr4
                                        ; implicit-def: $vgpr2_vgpr3
                                        ; implicit-def: $vgpr0
	s_xor_b32 exec_lo, exec_lo, s42
	s_cbranch_execz .LBB22_1685
; %bb.1097:
	v_mul_lo_u32 v0, s41, v45
	v_cmp_gt_i16_e32 vcc_lo, 11, v47
	s_delay_alu instid0(VALU_DEP_2) | instskip(SKIP_1) | instid1(VALU_DEP_1)
	v_ashrrev_i32_e32 v1, 31, v0
	v_add_co_u32 v0, s0, s38, v0
	v_add_co_ci_u32_e64 v1, s0, s39, v1, s0
	s_cbranch_vccnz .LBB22_1104
; %bb.1098:
	v_cmp_lt_i16_e32 vcc_lo, 25, v47
	s_mov_b32 s1, 0
	s_cbranch_vccz .LBB22_1110
; %bb.1099:
	v_cmp_lt_i16_e32 vcc_lo, 28, v47
	s_cbranch_vccz .LBB22_1112
; %bb.1100:
	v_cmp_lt_i16_e32 vcc_lo, 43, v47
	;; [unrolled: 3-line block ×3, first 2 shown]
	s_cbranch_vccz .LBB22_1118
; %bb.1102:
	v_cmp_eq_u16_e32 vcc_lo, 46, v47
	s_mov_b32 s3, 0
	s_cbranch_vccz .LBB22_1158
; %bb.1103:
	global_load_b32 v2, v[0:1], off
	s_mov_b32 s0, 0
	s_mov_b32 s2, -1
	s_waitcnt vmcnt(0)
	v_lshlrev_b32_e32 v41, 16, v2
	s_branch .LBB22_1160
.LBB22_1104:
	s_mov_b32 s2, 0
	s_mov_b32 s35, s43
                                        ; implicit-def: $vgpr41
	s_cbranch_execz .LBB22_1223
; %bb.1105:
	v_cmp_gt_i16_e32 vcc_lo, 5, v47
	s_cbranch_vccnz .LBB22_1111
; %bb.1106:
	v_cmp_gt_i16_e32 vcc_lo, 8, v47
	s_cbranch_vccnz .LBB22_1113
	;; [unrolled: 3-line block ×3, first 2 shown]
; %bb.1108:
	v_cmp_lt_i16_e32 vcc_lo, 9, v47
	s_cbranch_vccz .LBB22_1119
; %bb.1109:
	global_load_b64 v[2:3], v[0:1], off
	s_mov_b32 s0, 0
	s_waitcnt vmcnt(0)
	v_cvt_f32_f64_e32 v41, v[2:3]
	s_branch .LBB22_1120
.LBB22_1110:
	s_mov_b32 s2, 0
	s_mov_b32 s0, 0
                                        ; implicit-def: $vgpr41
	s_cbranch_execnz .LBB22_1188
	s_branch .LBB22_1219
.LBB22_1111:
                                        ; implicit-def: $vgpr41
	s_branch .LBB22_1137
.LBB22_1112:
	s_mov_b32 s3, -1
	s_mov_b32 s2, 0
	s_mov_b32 s0, 0
                                        ; implicit-def: $vgpr41
	s_branch .LBB22_1169
.LBB22_1113:
                                        ; implicit-def: $vgpr41
	s_branch .LBB22_1126
.LBB22_1114:
	s_mov_b32 s2, 0
	s_mov_b32 s0, 0
                                        ; implicit-def: $vgpr41
	s_cbranch_execnz .LBB22_1165
	s_branch .LBB22_1168
.LBB22_1115:
	s_mov_b32 s0, -1
                                        ; implicit-def: $vgpr41
	s_branch .LBB22_1123
.LBB22_1116:
	s_cbranch_execnz .LBB22_1156
; %bb.1117:
	s_or_b32 s44, s44, exec_lo
	s_and_not1_b32 s2, s2, exec_lo
	s_or_b32 exec_lo, exec_lo, s0
	s_and_saveexec_b32 s0, s2
	s_delay_alu instid0(SALU_CYCLE_1)
	s_xor_b32 s0, exec_lo, s0
	s_cbranch_execnz .LBB22_1056
	s_branch .LBB22_1057
.LBB22_1118:
	s_mov_b32 s3, -1
	s_mov_b32 s2, 0
	s_mov_b32 s0, 0
	s_branch .LBB22_1159
.LBB22_1119:
	s_mov_b32 s0, -1
                                        ; implicit-def: $vgpr41
.LBB22_1120:
	s_delay_alu instid0(SALU_CYCLE_1)
	s_and_not1_b32 vcc_lo, exec_lo, s0
	s_cbranch_vccnz .LBB22_1122
; %bb.1121:
	global_load_b32 v41, v[0:1], off
.LBB22_1122:
	s_mov_b32 s0, 0
.LBB22_1123:
	s_delay_alu instid0(SALU_CYCLE_1)
	s_and_not1_b32 vcc_lo, exec_lo, s0
	s_cbranch_vccnz .LBB22_1125
; %bb.1124:
	global_load_b32 v2, v[0:1], off
	s_waitcnt vmcnt(0)
	v_cvt_f32_f16_e32 v41, v2
.LBB22_1125:
	s_cbranch_execnz .LBB22_1136
.LBB22_1126:
	v_cmp_gt_i16_e32 vcc_lo, 6, v47
	s_cbranch_vccnz .LBB22_1129
; %bb.1127:
	v_cmp_lt_i16_e32 vcc_lo, 6, v47
	s_cbranch_vccz .LBB22_1130
; %bb.1128:
	global_load_b64 v[2:3], v[0:1], off
	s_mov_b32 s0, 0
	s_waitcnt vmcnt(0)
	v_cvt_f32_f64_e32 v41, v[2:3]
	s_branch .LBB22_1131
.LBB22_1129:
	s_mov_b32 s0, -1
                                        ; implicit-def: $vgpr41
	s_branch .LBB22_1134
.LBB22_1130:
	s_mov_b32 s0, -1
                                        ; implicit-def: $vgpr41
.LBB22_1131:
	s_delay_alu instid0(SALU_CYCLE_1)
	s_and_not1_b32 vcc_lo, exec_lo, s0
	s_cbranch_vccnz .LBB22_1133
; %bb.1132:
	global_load_b32 v41, v[0:1], off
.LBB22_1133:
	s_mov_b32 s0, 0
.LBB22_1134:
	s_delay_alu instid0(SALU_CYCLE_1)
	s_and_not1_b32 vcc_lo, exec_lo, s0
	s_cbranch_vccnz .LBB22_1136
; %bb.1135:
	global_load_u16 v2, v[0:1], off
	s_waitcnt vmcnt(0)
	v_cvt_f32_f16_e32 v41, v2
.LBB22_1136:
	s_cbranch_execnz .LBB22_1155
.LBB22_1137:
	v_cmp_gt_i16_e32 vcc_lo, 2, v47
	s_cbranch_vccnz .LBB22_1141
; %bb.1138:
	v_cmp_gt_i16_e32 vcc_lo, 3, v47
	s_cbranch_vccnz .LBB22_1142
; %bb.1139:
	v_cmp_lt_i16_e32 vcc_lo, 3, v47
	s_cbranch_vccz .LBB22_1143
; %bb.1140:
	global_load_b64 v[2:3], v[0:1], off
	s_mov_b32 s0, 0
	s_waitcnt vmcnt(0)
	v_xor_b32_e32 v4, v2, v3
	v_cls_i32_e32 v5, v3
	s_delay_alu instid0(VALU_DEP_2) | instskip(NEXT) | instid1(VALU_DEP_2)
	v_ashrrev_i32_e32 v4, 31, v4
	v_add_nc_u32_e32 v5, -1, v5
	s_delay_alu instid0(VALU_DEP_2) | instskip(NEXT) | instid1(VALU_DEP_1)
	v_add_nc_u32_e32 v4, 32, v4
	v_min_u32_e32 v4, v5, v4
	s_delay_alu instid0(VALU_DEP_1) | instskip(NEXT) | instid1(VALU_DEP_1)
	v_lshlrev_b64 v[2:3], v4, v[2:3]
	v_min_u32_e32 v2, 1, v2
	s_delay_alu instid0(VALU_DEP_1) | instskip(SKIP_1) | instid1(VALU_DEP_2)
	v_or_b32_e32 v2, v3, v2
	v_sub_nc_u32_e32 v3, 32, v4
	v_cvt_f32_i32_e32 v2, v2
	s_delay_alu instid0(VALU_DEP_1)
	v_ldexp_f32 v41, v2, v3
	s_branch .LBB22_1144
.LBB22_1141:
                                        ; implicit-def: $vgpr41
	s_branch .LBB22_1150
.LBB22_1142:
	s_mov_b32 s0, -1
                                        ; implicit-def: $vgpr41
	s_branch .LBB22_1147
.LBB22_1143:
	s_mov_b32 s0, -1
                                        ; implicit-def: $vgpr41
.LBB22_1144:
	s_delay_alu instid0(SALU_CYCLE_1)
	s_and_not1_b32 vcc_lo, exec_lo, s0
	s_cbranch_vccnz .LBB22_1146
; %bb.1145:
	global_load_b32 v2, v[0:1], off
	s_waitcnt vmcnt(0)
	v_cvt_f32_i32_e32 v41, v2
.LBB22_1146:
	s_mov_b32 s0, 0
.LBB22_1147:
	s_delay_alu instid0(SALU_CYCLE_1)
	s_and_not1_b32 vcc_lo, exec_lo, s0
	s_cbranch_vccnz .LBB22_1149
; %bb.1148:
	global_load_i16 v2, v[0:1], off
	s_waitcnt vmcnt(0)
	v_cvt_f32_i32_e32 v41, v2
.LBB22_1149:
	s_cbranch_execnz .LBB22_1155
.LBB22_1150:
	v_cmp_lt_i16_e32 vcc_lo, 0, v47
	s_mov_b32 s0, 0
	s_cbranch_vccz .LBB22_1152
; %bb.1151:
	global_load_i8 v2, v[0:1], off
	s_waitcnt vmcnt(0)
	v_cvt_f32_i32_e32 v41, v2
	s_branch .LBB22_1153
.LBB22_1152:
	s_mov_b32 s0, -1
                                        ; implicit-def: $vgpr41
.LBB22_1153:
	s_delay_alu instid0(SALU_CYCLE_1)
	s_and_not1_b32 vcc_lo, exec_lo, s0
	s_cbranch_vccnz .LBB22_1155
; %bb.1154:
	global_load_u8 v0, v[0:1], off
	s_waitcnt vmcnt(0)
	v_cvt_f32_ubyte0_e32 v41, v0
.LBB22_1155:
	s_branch .LBB22_1224
.LBB22_1156:
	s_trap 2
	s_sendmsg_rtn_b32 s0, sendmsg(MSG_RTN_GET_DOORBELL)
	s_mov_b32 ttmp2, m0
	s_waitcnt lgkmcnt(0)
	s_and_b32 s0, s0, 0x3ff
	s_delay_alu instid0(SALU_CYCLE_1) | instskip(NEXT) | instid1(SALU_CYCLE_1)
	s_bitset1_b32 s0, 10
	s_mov_b32 m0, s0
	s_sendmsg sendmsg(MSG_INTERRUPT)
	s_mov_b32 m0, ttmp2
.LBB22_1157:                            ; =>This Inner Loop Header: Depth=1
	s_sethalt 5
	s_branch .LBB22_1157
.LBB22_1158:
	s_mov_b32 s0, -1
	s_mov_b32 s2, 0
.LBB22_1159:
                                        ; implicit-def: $vgpr41
.LBB22_1160:
	s_and_b32 vcc_lo, exec_lo, s3
	s_cbranch_vccz .LBB22_1163
; %bb.1161:
	v_cmp_eq_u16_e32 vcc_lo, 44, v47
	s_cbranch_vccz .LBB22_1164
; %bb.1162:
	global_load_u8 v2, v[0:1], off
	s_mov_b32 s0, 0
	s_mov_b32 s2, -1
	s_waitcnt vmcnt(0)
	v_lshlrev_b32_e32 v3, 23, v2
	v_cmp_ne_u32_e32 vcc_lo, 0xff, v2
	s_delay_alu instid0(VALU_DEP_2) | instskip(SKIP_1) | instid1(VALU_DEP_2)
	v_cndmask_b32_e32 v3, 0x7f800001, v3, vcc_lo
	v_cmp_ne_u32_e32 vcc_lo, 0, v2
	v_cndmask_b32_e32 v41, 0x400000, v3, vcc_lo
.LBB22_1163:
	s_branch .LBB22_1168
.LBB22_1164:
	s_mov_b32 s0, -1
                                        ; implicit-def: $vgpr41
	s_branch .LBB22_1168
.LBB22_1165:
	v_cmp_eq_u16_e32 vcc_lo, 29, v47
	s_cbranch_vccz .LBB22_1167
; %bb.1166:
	global_load_b64 v[2:3], v[0:1], off
	s_mov_b32 s0, 0
	s_mov_b32 s2, -1
	s_mov_b32 s3, 0
	s_waitcnt vmcnt(0)
	v_clz_i32_u32_e32 v4, v3
	s_delay_alu instid0(VALU_DEP_1) | instskip(NEXT) | instid1(VALU_DEP_1)
	v_min_u32_e32 v4, 32, v4
	v_lshlrev_b64 v[2:3], v4, v[2:3]
	s_delay_alu instid0(VALU_DEP_1) | instskip(NEXT) | instid1(VALU_DEP_1)
	v_min_u32_e32 v2, 1, v2
	v_or_b32_e32 v2, v3, v2
	v_sub_nc_u32_e32 v3, 32, v4
	s_delay_alu instid0(VALU_DEP_2) | instskip(NEXT) | instid1(VALU_DEP_1)
	v_cvt_f32_u32_e32 v2, v2
	v_ldexp_f32 v41, v2, v3
	s_branch .LBB22_1169
.LBB22_1167:
	s_mov_b32 s0, -1
                                        ; implicit-def: $vgpr41
.LBB22_1168:
	s_mov_b32 s3, 0
.LBB22_1169:
	s_delay_alu instid0(SALU_CYCLE_1)
	s_and_b32 vcc_lo, exec_lo, s3
	s_cbranch_vccz .LBB22_1187
; %bb.1170:
	v_cmp_gt_i16_e32 vcc_lo, 27, v47
	s_cbranch_vccnz .LBB22_1173
; %bb.1171:
	v_cmp_lt_i16_e32 vcc_lo, 27, v47
	s_cbranch_vccz .LBB22_1174
; %bb.1172:
	global_load_b32 v2, v[0:1], off
	s_mov_b32 s2, 0
	s_waitcnt vmcnt(0)
	v_cvt_f32_u32_e32 v41, v2
	s_branch .LBB22_1175
.LBB22_1173:
	s_mov_b32 s2, -1
                                        ; implicit-def: $vgpr41
	s_branch .LBB22_1178
.LBB22_1174:
	s_mov_b32 s2, -1
                                        ; implicit-def: $vgpr41
.LBB22_1175:
	s_delay_alu instid0(SALU_CYCLE_1)
	s_and_not1_b32 vcc_lo, exec_lo, s2
	s_cbranch_vccnz .LBB22_1177
; %bb.1176:
	global_load_u16 v2, v[0:1], off
	s_waitcnt vmcnt(0)
	v_cvt_f32_u32_e32 v41, v2
.LBB22_1177:
	s_mov_b32 s2, 0
.LBB22_1178:
	s_delay_alu instid0(SALU_CYCLE_1)
	s_and_not1_b32 vcc_lo, exec_lo, s2
	s_cbranch_vccnz .LBB22_1186
; %bb.1179:
	global_load_u8 v2, v[0:1], off
	s_mov_b32 s2, 0
	s_mov_b32 s4, exec_lo
                                        ; implicit-def: $sgpr3
	s_waitcnt vmcnt(0)
	v_cmpx_lt_i16_e32 0x7f, v2
	s_xor_b32 s4, exec_lo, s4
	s_cbranch_execz .LBB22_1199
; %bb.1180:
	s_mov_b32 s2, -1
	s_mov_b32 s5, exec_lo
                                        ; implicit-def: $sgpr3
	v_cmpx_eq_u16_e32 0x80, v2
; %bb.1181:
	s_mov_b32 s3, 0x7f800001
	s_xor_b32 s2, exec_lo, -1
; %bb.1182:
	s_or_b32 exec_lo, exec_lo, s5
	s_delay_alu instid0(SALU_CYCLE_1)
	s_and_b32 s2, s2, exec_lo
	s_or_saveexec_b32 s4, s4
	v_mov_b32_e32 v41, s3
	s_xor_b32 exec_lo, exec_lo, s4
	s_cbranch_execnz .LBB22_1200
.LBB22_1183:
	s_or_b32 exec_lo, exec_lo, s4
	s_and_saveexec_b32 s3, s2
	s_cbranch_execz .LBB22_1185
.LBB22_1184:
	v_and_b32_e32 v3, 0xffff, v2
	v_lshlrev_b32_e32 v2, 24, v2
	s_delay_alu instid0(VALU_DEP_2) | instskip(NEXT) | instid1(VALU_DEP_2)
	v_and_b32_e32 v4, 7, v3
	v_and_b32_e32 v2, 0x80000000, v2
	s_delay_alu instid0(VALU_DEP_2) | instskip(NEXT) | instid1(VALU_DEP_1)
	v_clz_i32_u32_e32 v5, v4
	v_min_u32_e32 v5, 32, v5
	s_delay_alu instid0(VALU_DEP_1) | instskip(SKIP_1) | instid1(VALU_DEP_2)
	v_subrev_nc_u32_e32 v6, 28, v5
	v_sub_nc_u32_e32 v5, 29, v5
	v_lshlrev_b32_e32 v6, v6, v3
	v_bfe_u32 v3, v3, 3, 4
	s_delay_alu instid0(VALU_DEP_2) | instskip(NEXT) | instid1(VALU_DEP_2)
	v_and_b32_e32 v6, 7, v6
	v_cmp_eq_u32_e32 vcc_lo, 0, v3
	s_delay_alu instid0(VALU_DEP_2) | instskip(NEXT) | instid1(VALU_DEP_1)
	v_dual_cndmask_b32 v3, v3, v5 :: v_dual_cndmask_b32 v4, v4, v6
	v_lshl_add_u32 v3, v3, 23, 0x3b800000
	s_delay_alu instid0(VALU_DEP_2) | instskip(NEXT) | instid1(VALU_DEP_1)
	v_lshlrev_b32_e32 v4, 20, v4
	v_or3_b32 v41, v2, v3, v4
.LBB22_1185:
	s_or_b32 exec_lo, exec_lo, s3
.LBB22_1186:
	s_mov_b32 s2, -1
.LBB22_1187:
	s_branch .LBB22_1219
.LBB22_1188:
	v_cmp_lt_i16_e32 vcc_lo, 22, v47
	s_cbranch_vccz .LBB22_1198
; %bb.1189:
	v_cmp_gt_i16_e32 vcc_lo, 24, v47
	s_cbranch_vccnz .LBB22_1201
; %bb.1190:
	v_cmp_lt_i16_e32 vcc_lo, 24, v47
	s_cbranch_vccz .LBB22_1202
; %bb.1191:
	global_load_u8 v2, v[0:1], off
	s_mov_b32 s3, exec_lo
                                        ; implicit-def: $sgpr2
	s_waitcnt vmcnt(0)
	v_cmpx_lt_i16_e32 0x7f, v2
	s_xor_b32 s3, exec_lo, s3
	s_cbranch_execz .LBB22_1213
; %bb.1192:
	s_mov_b32 s1, -1
	s_mov_b32 s4, exec_lo
                                        ; implicit-def: $sgpr2
	v_cmpx_eq_u16_e32 0x80, v2
; %bb.1193:
	s_mov_b32 s2, 0x7f800001
	s_xor_b32 s1, exec_lo, -1
; %bb.1194:
	s_or_b32 exec_lo, exec_lo, s4
	s_delay_alu instid0(SALU_CYCLE_1)
	s_and_b32 s1, s1, exec_lo
	s_or_saveexec_b32 s3, s3
	v_mov_b32_e32 v41, s2
	s_xor_b32 exec_lo, exec_lo, s3
	s_cbranch_execnz .LBB22_1214
.LBB22_1195:
	s_or_b32 exec_lo, exec_lo, s3
	s_and_saveexec_b32 s2, s1
	s_cbranch_execz .LBB22_1197
.LBB22_1196:
	v_and_b32_e32 v3, 0xffff, v2
	v_lshlrev_b32_e32 v2, 24, v2
	s_delay_alu instid0(VALU_DEP_2) | instskip(NEXT) | instid1(VALU_DEP_2)
	v_and_b32_e32 v4, 3, v3
	v_and_b32_e32 v2, 0x80000000, v2
	s_delay_alu instid0(VALU_DEP_2) | instskip(NEXT) | instid1(VALU_DEP_1)
	v_clz_i32_u32_e32 v5, v4
	v_min_u32_e32 v5, 32, v5
	s_delay_alu instid0(VALU_DEP_1) | instskip(SKIP_1) | instid1(VALU_DEP_2)
	v_subrev_nc_u32_e32 v6, 29, v5
	v_sub_nc_u32_e32 v5, 30, v5
	v_lshlrev_b32_e32 v6, v6, v3
	v_bfe_u32 v3, v3, 2, 5
	s_delay_alu instid0(VALU_DEP_2) | instskip(NEXT) | instid1(VALU_DEP_2)
	v_and_b32_e32 v6, 3, v6
	v_cmp_eq_u32_e32 vcc_lo, 0, v3
	s_delay_alu instid0(VALU_DEP_2) | instskip(NEXT) | instid1(VALU_DEP_1)
	v_dual_cndmask_b32 v3, v3, v5 :: v_dual_cndmask_b32 v4, v4, v6
	v_lshl_add_u32 v3, v3, 23, 0x37800000
	s_delay_alu instid0(VALU_DEP_2) | instskip(NEXT) | instid1(VALU_DEP_1)
	v_lshlrev_b32_e32 v4, 21, v4
	v_or3_b32 v41, v2, v3, v4
.LBB22_1197:
	s_or_b32 exec_lo, exec_lo, s2
	s_mov_b32 s1, 0
	s_branch .LBB22_1203
.LBB22_1198:
                                        ; implicit-def: $vgpr41
	s_mov_b32 s1, 0
	s_branch .LBB22_1209
.LBB22_1199:
	s_or_saveexec_b32 s4, s4
	v_mov_b32_e32 v41, s3
	s_xor_b32 exec_lo, exec_lo, s4
	s_cbranch_execz .LBB22_1183
.LBB22_1200:
	v_cmp_ne_u16_e32 vcc_lo, 0, v2
	v_mov_b32_e32 v41, 0
	s_and_not1_b32 s2, s2, exec_lo
	s_and_b32 s3, vcc_lo, exec_lo
	s_delay_alu instid0(SALU_CYCLE_1)
	s_or_b32 s2, s2, s3
	s_or_b32 exec_lo, exec_lo, s4
	s_and_saveexec_b32 s3, s2
	s_cbranch_execnz .LBB22_1184
	s_branch .LBB22_1185
.LBB22_1201:
	s_mov_b32 s1, -1
                                        ; implicit-def: $vgpr41
	s_branch .LBB22_1206
.LBB22_1202:
	s_mov_b32 s1, -1
                                        ; implicit-def: $vgpr41
.LBB22_1203:
	s_delay_alu instid0(SALU_CYCLE_1)
	s_and_b32 vcc_lo, exec_lo, s1
	s_cbranch_vccz .LBB22_1205
; %bb.1204:
	global_load_u8 v2, v[0:1], off
	s_waitcnt vmcnt(0)
	v_lshlrev_b32_e32 v2, 24, v2
	s_delay_alu instid0(VALU_DEP_1) | instskip(NEXT) | instid1(VALU_DEP_1)
	v_and_b32_e32 v3, 0x7f000000, v2
	v_clz_i32_u32_e32 v4, v3
	v_add_nc_u32_e32 v6, 0x1000000, v3
	v_cmp_ne_u32_e32 vcc_lo, 0, v3
	s_delay_alu instid0(VALU_DEP_3) | instskip(NEXT) | instid1(VALU_DEP_1)
	v_min_u32_e32 v4, 32, v4
	v_sub_nc_u32_e64 v4, v4, 4 clamp
	s_delay_alu instid0(VALU_DEP_1) | instskip(SKIP_1) | instid1(VALU_DEP_2)
	v_lshlrev_b32_e32 v5, v4, v3
	v_lshlrev_b32_e32 v4, 23, v4
	v_lshrrev_b32_e32 v5, 4, v5
	s_delay_alu instid0(VALU_DEP_1) | instskip(SKIP_1) | instid1(VALU_DEP_2)
	v_sub_nc_u32_e32 v4, v5, v4
	v_ashrrev_i32_e32 v5, 8, v6
	v_add_nc_u32_e32 v4, 0x3c000000, v4
	s_delay_alu instid0(VALU_DEP_1) | instskip(NEXT) | instid1(VALU_DEP_1)
	v_and_or_b32 v4, 0x7f800000, v5, v4
	v_cndmask_b32_e32 v3, 0, v4, vcc_lo
	s_delay_alu instid0(VALU_DEP_1)
	v_and_or_b32 v41, 0x80000000, v2, v3
.LBB22_1205:
	s_mov_b32 s1, 0
.LBB22_1206:
	s_delay_alu instid0(SALU_CYCLE_1)
	s_and_not1_b32 vcc_lo, exec_lo, s1
	s_cbranch_vccnz .LBB22_1208
; %bb.1207:
	global_load_u8 v2, v[0:1], off
	s_waitcnt vmcnt(0)
	v_lshlrev_b32_e32 v3, 25, v2
	v_lshlrev_b16 v2, 8, v2
	s_delay_alu instid0(VALU_DEP_2) | instskip(NEXT) | instid1(VALU_DEP_2)
	v_lshrrev_b32_e32 v4, 4, v3
	v_and_or_b32 v5, 0x7f00, v2, 0.5
	v_bfe_i32 v2, v2, 0, 16
	s_delay_alu instid0(VALU_DEP_3) | instskip(NEXT) | instid1(VALU_DEP_1)
	v_or_b32_e32 v4, 0x70000000, v4
	v_dual_add_f32 v5, -0.5, v5 :: v_dual_mul_f32 v4, 0x7800000, v4
	v_cmp_gt_u32_e32 vcc_lo, 0x8000000, v3
	s_delay_alu instid0(VALU_DEP_2) | instskip(NEXT) | instid1(VALU_DEP_1)
	v_cndmask_b32_e32 v3, v4, v5, vcc_lo
	v_and_or_b32 v41, 0x80000000, v2, v3
.LBB22_1208:
	s_mov_b32 s2, -1
	s_mov_b32 s1, 0
	s_cbranch_execnz .LBB22_1219
.LBB22_1209:
	v_cmp_lt_i16_e32 vcc_lo, 14, v47
	s_cbranch_vccz .LBB22_1212
; %bb.1210:
	v_cmp_eq_u16_e32 vcc_lo, 15, v47
	s_cbranch_vccz .LBB22_1215
; %bb.1211:
	global_load_u16 v2, v[0:1], off
	s_mov_b32 s0, 0
	s_mov_b32 s2, -1
	s_waitcnt vmcnt(0)
	v_lshlrev_b32_e32 v41, 16, v2
	s_branch .LBB22_1217
.LBB22_1212:
	s_mov_b32 s1, -1
	s_branch .LBB22_1216
.LBB22_1213:
	s_or_saveexec_b32 s3, s3
	v_mov_b32_e32 v41, s2
	s_xor_b32 exec_lo, exec_lo, s3
	s_cbranch_execz .LBB22_1195
.LBB22_1214:
	v_cmp_ne_u16_e32 vcc_lo, 0, v2
	v_mov_b32_e32 v41, 0
	s_and_not1_b32 s1, s1, exec_lo
	s_and_b32 s2, vcc_lo, exec_lo
	s_delay_alu instid0(SALU_CYCLE_1)
	s_or_b32 s1, s1, s2
	s_or_b32 exec_lo, exec_lo, s3
	s_and_saveexec_b32 s2, s1
	s_cbranch_execnz .LBB22_1196
	s_branch .LBB22_1197
.LBB22_1215:
	s_mov_b32 s0, -1
.LBB22_1216:
                                        ; implicit-def: $vgpr41
.LBB22_1217:
	s_and_b32 vcc_lo, exec_lo, s1
	s_mov_b32 s1, 0
	s_cbranch_vccz .LBB22_1219
; %bb.1218:
	v_cmp_ne_u16_e64 s0, 11, v47
	s_mov_b32 s1, -1
                                        ; implicit-def: $vgpr41
.LBB22_1219:
	s_delay_alu instid0(VALU_DEP_1)
	s_and_b32 vcc_lo, exec_lo, s0
	s_mov_b32 s35, s43
	s_cbranch_vccnz .LBB22_1259
; %bb.1220:
	s_and_not1_b32 vcc_lo, exec_lo, s1
	s_cbranch_vccnz .LBB22_1222
.LBB22_1221:
	global_load_u8 v2, v[0:1], off
	s_mov_b32 s2, -1
	s_waitcnt vmcnt(0)
	v_cmp_ne_u16_e32 vcc_lo, 0, v2
	v_cndmask_b32_e64 v41, 0, 1.0, vcc_lo
.LBB22_1222:
.LBB22_1223:
	s_and_not1_b32 vcc_lo, exec_lo, s2
	s_cbranch_vccnz .LBB22_1683
.LBB22_1224:
                                        ; implicit-def: $vgpr42
	s_mov_b32 s0, exec_lo
	s_waitcnt vmcnt(0)
	s_delay_alu instid0(VALU_DEP_1)
	v_cmpx_ge_f32_e32 0x40a00000, v41
	s_xor_b32 s44, exec_lo, s0
	s_cbranch_execz .LBB22_1230
; %bb.1225:
	v_mov_b32_e32 v42, 0xff800000
	s_mov_b32 s45, exec_lo
	v_cmpx_neq_f32_e32 0, v41
	s_cbranch_execz .LBB22_1229
; %bb.1226:
	v_mov_b32_e32 v42, 0x7fc00000
	s_mov_b32 s46, exec_lo
	v_cmpx_nge_f32_e32 0, v41
	s_cbranch_execz .LBB22_1228
; %bb.1227:
	v_mul_f32_e32 v0, v41, v41
	s_getpc_b64 s[0:1]
	s_add_u32 s0, s0, _Z17bessel_j1_forwardIfET_S0_@rel32@lo+4
	s_addc_u32 s1, s1, _Z17bessel_j1_forwardIfET_S0_@rel32@hi+12
	s_delay_alu instid0(VALU_DEP_1) | instskip(SKIP_1) | instid1(VALU_DEP_2)
	v_fmaak_f32 v1, 0, v0, 0x4414934d
	v_fmaak_f32 v2, 0, v0, 0x4e9695f3
	;; [unrolled: 1-line block ×3, first 2 shown]
	s_delay_alu instid0(VALU_DEP_2) | instskip(NEXT) | instid1(VALU_DEP_2)
	v_fmaak_f32 v2, v0, v2, 0xd316b96b
	v_fmaak_f32 v1, v0, v1, 0x4c8c277d
	s_delay_alu instid0(VALU_DEP_2) | instskip(NEXT) | instid1(VALU_DEP_2)
	v_fmaak_f32 v2, v0, v2, 0x56d04aa6
	v_fmaak_f32 v1, v0, v1, 0x508bc61d
	;; [unrolled: 3-line block ×5, first 2 shown]
	s_delay_alu instid0(VALU_DEP_1) | instskip(NEXT) | instid1(VALU_DEP_1)
	v_fmaak_f32 v0, v0, v1, 0x5e5c878d
	v_div_scale_f32 v1, null, v0, v0, v2
	v_div_scale_f32 v5, vcc_lo, v2, v0, v2
	s_delay_alu instid0(VALU_DEP_2) | instskip(SKIP_2) | instid1(VALU_DEP_1)
	v_rcp_f32_e32 v3, v1
	s_waitcnt_depctr 0xfff
	v_fma_f32 v4, -v1, v3, 1.0
	v_fmac_f32_e32 v3, v4, v3
	s_delay_alu instid0(VALU_DEP_1) | instskip(NEXT) | instid1(VALU_DEP_1)
	v_mul_f32_e32 v4, v5, v3
	v_fma_f32 v6, -v1, v4, v5
	s_delay_alu instid0(VALU_DEP_1) | instskip(NEXT) | instid1(VALU_DEP_1)
	v_fmac_f32_e32 v4, v6, v3
	v_fma_f32 v1, -v1, v4, v5
	s_delay_alu instid0(VALU_DEP_1) | instskip(NEXT) | instid1(VALU_DEP_1)
	v_div_fmas_f32 v1, v1, v3, v4
	v_div_fixup_f32 v44, v1, v0, v2
	v_mov_b32_e32 v0, v41
	s_swappc_b64 s[30:31], s[0:1]
	v_div_scale_f32 v1, null, v41, v41, -1.0
	v_cmp_gt_f32_e32 vcc_lo, 0x800000, v41
	v_div_scale_f32 v5, s0, -1.0, v41, -1.0
	s_delay_alu instid0(VALU_DEP_3) | instskip(SKIP_3) | instid1(VALU_DEP_1)
	v_rcp_f32_e32 v3, v1
	v_cndmask_b32_e64 v2, 1.0, 0x4f800000, vcc_lo
	s_waitcnt_depctr 0xfff
	v_fma_f32 v4, -v1, v3, 1.0
	v_dual_mul_f32 v2, v41, v2 :: v_dual_fmac_f32 v3, v4, v3
	s_delay_alu instid0(VALU_DEP_1) | instskip(SKIP_3) | instid1(VALU_DEP_2)
	v_log_f32_e32 v2, v2
	s_waitcnt_depctr 0xfff
	v_mul_f32_e32 v4, 0x3f317217, v2
	v_cmp_gt_f32_e64 s1, 0x7f800000, |v2|
	v_fma_f32 v7, 0x3f317217, v2, -v4
	s_delay_alu instid0(VALU_DEP_1) | instskip(NEXT) | instid1(VALU_DEP_1)
	v_dual_mul_f32 v6, v5, v3 :: v_dual_fmamk_f32 v7, v2, 0x3377d1cf, v7
	v_fma_f32 v8, -v1, v6, v5
	s_delay_alu instid0(VALU_DEP_2) | instskip(NEXT) | instid1(VALU_DEP_2)
	v_add_f32_e32 v4, v4, v7
	v_fmac_f32_e32 v6, v8, v3
	s_delay_alu instid0(VALU_DEP_2) | instskip(NEXT) | instid1(VALU_DEP_2)
	v_cndmask_b32_e64 v2, v2, v4, s1
	v_fma_f32 v1, -v1, v6, v5
	v_cndmask_b32_e64 v4, 0, 0x41b17218, vcc_lo
	s_mov_b32 vcc_lo, s0
	s_delay_alu instid0(VALU_DEP_2) | instskip(NEXT) | instid1(VALU_DEP_2)
	v_div_fmas_f32 v1, v1, v3, v6
	v_sub_f32_e32 v2, v2, v4
	s_delay_alu instid0(VALU_DEP_2) | instskip(NEXT) | instid1(VALU_DEP_1)
	v_div_fixup_f32 v1, v1, v41, -1.0
	v_fmac_f32_e32 v1, v2, v0
	s_delay_alu instid0(VALU_DEP_1) | instskip(NEXT) | instid1(VALU_DEP_1)
	v_mul_f32_e32 v42, 0x3f22f983, v1
	v_fmac_f32_e32 v42, v41, v44
.LBB22_1228:
	s_or_b32 exec_lo, exec_lo, s46
.LBB22_1229:
	s_delay_alu instid0(SALU_CYCLE_1)
	s_or_b32 exec_lo, exec_lo, s45
                                        ; implicit-def: $vgpr41
.LBB22_1230:
	s_and_not1_saveexec_b32 s3, s44
	s_cbranch_execz .LBB22_1240
; %bb.1231:
	v_add_f32_e32 v0, 0xc016cbe4, v41
                                        ; implicit-def: $vgpr3
                                        ; implicit-def: $vgpr2
	s_delay_alu instid0(VALU_DEP_1) | instskip(SKIP_1) | instid1(VALU_DEP_2)
	v_and_b32_e32 v1, 0x7fffffff, v0
	v_cmp_ngt_f32_e64 s4, 0x48000000, |v0|
	v_lshrrev_b32_e32 v5, 23, v1
	s_delay_alu instid0(VALU_DEP_2) | instskip(NEXT) | instid1(SALU_CYCLE_1)
	s_and_saveexec_b32 s0, s4
	s_xor_b32 s5, exec_lo, s0
	s_cbranch_execz .LBB22_1233
; %bb.1232:
	s_mov_b32 s0, 0x7fffff
	v_mov_b32_e32 v4, 0
	v_and_or_b32 v13, v1, s0, 0x800000
	v_add_nc_u32_e32 v11, 0xffffff88, v5
	s_delay_alu instid0(VALU_DEP_2) | instskip(NEXT) | instid1(VALU_DEP_2)
	v_mad_u64_u32 v[2:3], null, 0xfe5163ab, v13, 0
	v_cmp_lt_u32_e32 vcc_lo, 63, v11
	v_cndmask_b32_e64 v12, 0, 0xffffffc0, vcc_lo
	s_delay_alu instid0(VALU_DEP_3) | instskip(NEXT) | instid1(VALU_DEP_1)
	v_mad_u64_u32 v[6:7], null, 0x3c439041, v13, v[3:4]
	v_dual_mov_b32 v3, v7 :: v_dual_add_nc_u32 v12, v12, v11
	s_delay_alu instid0(VALU_DEP_1) | instskip(NEXT) | instid1(VALU_DEP_2)
	v_cmp_lt_u32_e64 s0, 31, v12
	v_mad_u64_u32 v[7:8], null, 0xdb629599, v13, v[3:4]
	s_delay_alu instid0(VALU_DEP_2) | instskip(NEXT) | instid1(VALU_DEP_1)
	v_cndmask_b32_e64 v14, 0, 0xffffffe0, s0
	v_dual_mov_b32 v3, v8 :: v_dual_add_nc_u32 v14, v14, v12
	s_delay_alu instid0(VALU_DEP_3) | instskip(NEXT) | instid1(VALU_DEP_2)
	v_cndmask_b32_e32 v2, v7, v2, vcc_lo
	v_cmp_lt_u32_e64 s1, 31, v14
	s_delay_alu instid0(VALU_DEP_3) | instskip(NEXT) | instid1(VALU_DEP_1)
	v_mad_u64_u32 v[8:9], null, 0xf534ddc0, v13, v[3:4]
	v_dual_mov_b32 v3, v9 :: v_dual_cndmask_b32 v6, v8, v6
	s_delay_alu instid0(VALU_DEP_1) | instskip(NEXT) | instid1(VALU_DEP_2)
	v_mad_u64_u32 v[9:10], null, 0xfc2757d1, v13, v[3:4]
	v_cndmask_b32_e64 v2, v6, v2, s0
	s_delay_alu instid0(VALU_DEP_2) | instskip(NEXT) | instid1(VALU_DEP_1)
	v_mov_b32_e32 v3, v10
	v_mad_u64_u32 v[10:11], null, 0x4e441529, v13, v[3:4]
	s_delay_alu instid0(VALU_DEP_1) | instskip(NEXT) | instid1(VALU_DEP_1)
	v_mov_b32_e32 v3, v11
	v_mad_u64_u32 v[11:12], null, 0xa2f9836e, v13, v[3:4]
	v_cndmask_b32_e64 v3, 0, 0xffffffe0, s1
	s_delay_alu instid0(VALU_DEP_1) | instskip(NEXT) | instid1(VALU_DEP_3)
	v_dual_cndmask_b32 v4, v10, v8 :: v_dual_add_nc_u32 v3, v3, v14
	v_dual_cndmask_b32 v11, v11, v9 :: v_dual_cndmask_b32 v10, v12, v10
	v_cndmask_b32_e32 v9, v9, v7, vcc_lo
	s_delay_alu instid0(VALU_DEP_3) | instskip(NEXT) | instid1(VALU_DEP_3)
	v_cmp_eq_u32_e64 s2, 0, v3
	v_cndmask_b32_e64 v8, v11, v4, s0
	s_delay_alu instid0(VALU_DEP_4) | instskip(NEXT) | instid1(VALU_DEP_4)
	v_cndmask_b32_e64 v10, v10, v11, s0
	v_cndmask_b32_e64 v4, v4, v9, s0
	v_sub_nc_u32_e32 v11, 32, v3
	v_cndmask_b32_e64 v9, v9, v6, s0
	s_delay_alu instid0(VALU_DEP_4) | instskip(NEXT) | instid1(VALU_DEP_4)
	v_cndmask_b32_e64 v10, v10, v8, s1
	v_cndmask_b32_e64 v8, v8, v4, s1
	s_delay_alu instid0(VALU_DEP_3) | instskip(SKIP_1) | instid1(VALU_DEP_3)
	v_cndmask_b32_e64 v4, v4, v9, s1
	v_cndmask_b32_e64 v2, v9, v2, s1
	v_alignbit_b32 v12, v10, v8, v11
	s_delay_alu instid0(VALU_DEP_3) | instskip(NEXT) | instid1(VALU_DEP_3)
	v_alignbit_b32 v13, v8, v4, v11
	v_alignbit_b32 v11, v4, v2, v11
	s_delay_alu instid0(VALU_DEP_3) | instskip(NEXT) | instid1(VALU_DEP_3)
	v_cndmask_b32_e64 v3, v12, v10, s2
	v_cndmask_b32_e64 v7, v13, v8, s2
	s_delay_alu instid0(VALU_DEP_3) | instskip(NEXT) | instid1(VALU_DEP_3)
	v_cndmask_b32_e64 v4, v11, v4, s2
	v_bfe_u32 v8, v3, 29, 1
	s_delay_alu instid0(VALU_DEP_3) | instskip(NEXT) | instid1(VALU_DEP_3)
	v_alignbit_b32 v6, v3, v7, 30
	v_alignbit_b32 v7, v7, v4, 30
	;; [unrolled: 1-line block ×3, first 2 shown]
	s_delay_alu instid0(VALU_DEP_4) | instskip(NEXT) | instid1(VALU_DEP_1)
	v_sub_nc_u32_e32 v10, 0, v8
	v_xor_b32_e32 v9, v6, v10
	v_cmp_ne_u32_e32 vcc_lo, v6, v10
	v_xor_b32_e32 v4, v7, v10
	v_xor_b32_e32 v2, v2, v10
	s_delay_alu instid0(VALU_DEP_4) | instskip(NEXT) | instid1(VALU_DEP_1)
	v_clz_i32_u32_e32 v12, v9
	v_add_nc_u32_e32 v11, 1, v12
	s_delay_alu instid0(VALU_DEP_1) | instskip(NEXT) | instid1(VALU_DEP_1)
	v_cndmask_b32_e32 v6, 33, v11, vcc_lo
	v_sub_nc_u32_e32 v7, 32, v6
	s_delay_alu instid0(VALU_DEP_1) | instskip(SKIP_3) | instid1(VALU_DEP_3)
	v_alignbit_b32 v9, v9, v4, v7
	v_alignbit_b32 v2, v4, v2, v7
	v_lshrrev_b32_e32 v4, 29, v3
	v_lshrrev_b32_e32 v3, 30, v3
	v_alignbit_b32 v7, v9, v2, 9
	s_delay_alu instid0(VALU_DEP_3) | instskip(SKIP_1) | instid1(VALU_DEP_4)
	v_lshlrev_b32_e32 v4, 31, v4
	v_alignbit_b32 v9, v6, v9, 9
	v_add_nc_u32_e32 v3, v8, v3
	s_delay_alu instid0(VALU_DEP_4) | instskip(NEXT) | instid1(VALU_DEP_3)
	v_clz_i32_u32_e32 v10, v7
	v_or_b32_e32 v9, v9, v4
	v_or_b32_e32 v4, 0x33800000, v4
	s_delay_alu instid0(VALU_DEP_3) | instskip(NEXT) | instid1(VALU_DEP_3)
	v_min_u32_e32 v10, 32, v10
	v_xor_b32_e32 v9, 1.0, v9
	s_delay_alu instid0(VALU_DEP_2) | instskip(SKIP_1) | instid1(VALU_DEP_3)
	v_sub_nc_u32_e32 v11, 31, v10
	v_add_lshl_u32 v6, v10, v6, 23
	v_mul_f32_e32 v10, 0x3fc90fda, v9
	s_delay_alu instid0(VALU_DEP_3) | instskip(NEXT) | instid1(VALU_DEP_3)
	v_alignbit_b32 v2, v7, v2, v11
	v_sub_nc_u32_e32 v4, v4, v6
	s_delay_alu instid0(VALU_DEP_3) | instskip(NEXT) | instid1(VALU_DEP_3)
	v_fma_f32 v6, 0x3fc90fda, v9, -v10
	v_lshrrev_b32_e32 v2, 9, v2
	s_delay_alu instid0(VALU_DEP_2) | instskip(NEXT) | instid1(VALU_DEP_2)
	v_fmamk_f32 v6, v9, 0x33a22168, v6
	v_or_b32_e32 v2, v4, v2
	s_delay_alu instid0(VALU_DEP_1) | instskip(NEXT) | instid1(VALU_DEP_1)
	v_fmac_f32_e32 v6, 0x3fc90fda, v2
	v_add_f32_e32 v2, v10, v6
	s_or_saveexec_b32 s0, s5
	v_mul_f32_e64 v7, 0x3f22f983, |v0|
	s_xor_b32 exec_lo, exec_lo, s0
	s_branch .LBB22_1234
.LBB22_1233:
	s_or_saveexec_b32 s0, s5
	v_mul_f32_e64 v7, 0x3f22f983, |v0|
	s_xor_b32 exec_lo, exec_lo, s0
.LBB22_1234:
	s_delay_alu instid0(VALU_DEP_1) | instskip(NEXT) | instid1(VALU_DEP_1)
	v_rndne_f32_e32 v3, v7
	v_fma_f32 v2, 0xbfc90fda, v3, |v0|
	s_delay_alu instid0(VALU_DEP_1) | instskip(NEXT) | instid1(VALU_DEP_1)
	v_fmamk_f32 v2, v3, 0xb3a22168, v2
	v_fmamk_f32 v2, v3, 0xa7c234c4, v2
	v_cvt_i32_f32_e32 v3, v3
; %bb.1235:
	s_or_b32 exec_lo, exec_lo, s0
                                        ; implicit-def: $vgpr6
                                        ; implicit-def: $vgpr4
	s_and_saveexec_b32 s0, s4
	s_delay_alu instid0(SALU_CYCLE_1)
	s_xor_b32 s4, exec_lo, s0
	s_cbranch_execz .LBB22_1237
; %bb.1236:
	s_mov_b32 s0, 0x7fffff
	v_mov_b32_e32 v8, 0
	v_and_or_b32 v15, v1, s0, 0x800000
	s_delay_alu instid0(VALU_DEP_1) | instskip(NEXT) | instid1(VALU_DEP_1)
	v_mad_u64_u32 v[6:7], null, 0xfe5163ab, v15, 0
	v_mad_u64_u32 v[9:10], null, 0x3c439041, v15, v[7:8]
	s_delay_alu instid0(VALU_DEP_1) | instskip(NEXT) | instid1(VALU_DEP_1)
	v_mov_b32_e32 v7, v10
	v_mad_u64_u32 v[10:11], null, 0xdb629599, v15, v[7:8]
	s_delay_alu instid0(VALU_DEP_1) | instskip(NEXT) | instid1(VALU_DEP_1)
	v_mov_b32_e32 v7, v11
	v_mad_u64_u32 v[11:12], null, 0xf534ddc0, v15, v[7:8]
	s_delay_alu instid0(VALU_DEP_1) | instskip(NEXT) | instid1(VALU_DEP_1)
	v_dual_mov_b32 v7, v12 :: v_dual_add_nc_u32 v12, 0xffffff88, v5
	v_mad_u64_u32 v[4:5], null, 0xfc2757d1, v15, v[7:8]
	s_delay_alu instid0(VALU_DEP_2) | instskip(SKIP_1) | instid1(VALU_DEP_3)
	v_cmp_lt_u32_e32 vcc_lo, 63, v12
	v_cndmask_b32_e64 v13, 0, 0xffffffc0, vcc_lo
	v_dual_mov_b32 v7, v5 :: v_dual_cndmask_b32 v6, v10, v6
	s_delay_alu instid0(VALU_DEP_2) | instskip(NEXT) | instid1(VALU_DEP_2)
	v_add_nc_u32_e32 v5, v13, v12
	v_mad_u64_u32 v[12:13], null, 0x4e441529, v15, v[7:8]
	s_delay_alu instid0(VALU_DEP_2) | instskip(NEXT) | instid1(VALU_DEP_2)
	v_cmp_lt_u32_e64 s0, 31, v5
	v_mov_b32_e32 v7, v13
	s_delay_alu instid0(VALU_DEP_2) | instskip(NEXT) | instid1(VALU_DEP_1)
	v_cndmask_b32_e64 v14, 0, 0xffffffe0, s0
	v_add_nc_u32_e32 v5, v14, v5
	s_delay_alu instid0(VALU_DEP_3) | instskip(SKIP_1) | instid1(VALU_DEP_3)
	v_mad_u64_u32 v[13:14], null, 0xa2f9836e, v15, v[7:8]
	v_cndmask_b32_e32 v8, v12, v11, vcc_lo
	v_cmp_lt_u32_e64 s1, 31, v5
	s_delay_alu instid0(VALU_DEP_3) | instskip(NEXT) | instid1(VALU_DEP_2)
	v_cndmask_b32_e32 v13, v13, v4, vcc_lo
	v_cndmask_b32_e64 v7, 0, 0xffffffe0, s1
	v_cndmask_b32_e32 v12, v14, v12, vcc_lo
	s_delay_alu instid0(VALU_DEP_2) | instskip(SKIP_2) | instid1(VALU_DEP_4)
	v_dual_cndmask_b32 v4, v4, v10 :: v_dual_add_nc_u32 v5, v7, v5
	v_cndmask_b32_e32 v7, v11, v9, vcc_lo
	v_cndmask_b32_e64 v9, v13, v8, s0
	v_cndmask_b32_e64 v11, v12, v13, s0
	s_delay_alu instid0(VALU_DEP_4)
	v_cndmask_b32_e64 v8, v8, v4, s0
	v_sub_nc_u32_e32 v12, 32, v5
	v_cndmask_b32_e64 v4, v4, v7, s0
	v_cmp_eq_u32_e64 s2, 0, v5
	v_cndmask_b32_e64 v11, v11, v9, s1
	v_cndmask_b32_e64 v9, v9, v8, s1
	;; [unrolled: 1-line block ×4, first 2 shown]
	s_delay_alu instid0(VALU_DEP_3) | instskip(NEXT) | instid1(VALU_DEP_3)
	v_alignbit_b32 v13, v11, v9, v12
	v_cndmask_b32_e64 v4, v4, v6, s1
	s_delay_alu instid0(VALU_DEP_3) | instskip(NEXT) | instid1(VALU_DEP_3)
	v_alignbit_b32 v14, v9, v8, v12
	v_cndmask_b32_e64 v5, v13, v11, s2
	;; [unrolled: 3-line block ×3, first 2 shown]
	s_delay_alu instid0(VALU_DEP_3) | instskip(NEXT) | instid1(VALU_DEP_3)
	v_bfe_u32 v10, v5, 29, 1
	v_cndmask_b32_e64 v8, v12, v8, s2
	s_delay_alu instid0(VALU_DEP_3) | instskip(NEXT) | instid1(VALU_DEP_3)
	v_alignbit_b32 v7, v5, v9, 30
	v_sub_nc_u32_e32 v11, 0, v10
	s_delay_alu instid0(VALU_DEP_3) | instskip(SKIP_1) | instid1(VALU_DEP_3)
	v_alignbit_b32 v9, v9, v8, 30
	v_alignbit_b32 v4, v8, v4, 30
	v_xor_b32_e32 v6, v7, v11
	v_cmp_ne_u32_e32 vcc_lo, v7, v11
	s_delay_alu instid0(VALU_DEP_4) | instskip(NEXT) | instid1(VALU_DEP_4)
	v_xor_b32_e32 v8, v9, v11
	v_xor_b32_e32 v4, v4, v11
	s_delay_alu instid0(VALU_DEP_4) | instskip(NEXT) | instid1(VALU_DEP_1)
	v_clz_i32_u32_e32 v13, v6
	v_add_nc_u32_e32 v12, 1, v13
	s_delay_alu instid0(VALU_DEP_1) | instskip(NEXT) | instid1(VALU_DEP_1)
	v_cndmask_b32_e32 v7, 33, v12, vcc_lo
	v_sub_nc_u32_e32 v9, 32, v7
	s_delay_alu instid0(VALU_DEP_1) | instskip(SKIP_3) | instid1(VALU_DEP_3)
	v_alignbit_b32 v6, v6, v8, v9
	v_alignbit_b32 v4, v8, v4, v9
	v_lshrrev_b32_e32 v8, 29, v5
	v_lshrrev_b32_e32 v5, 30, v5
	v_alignbit_b32 v9, v6, v4, 9
	s_delay_alu instid0(VALU_DEP_3) | instskip(SKIP_1) | instid1(VALU_DEP_3)
	v_lshlrev_b32_e32 v8, 31, v8
	v_alignbit_b32 v6, v7, v6, 9
	v_clz_i32_u32_e32 v11, v9
	s_delay_alu instid0(VALU_DEP_2) | instskip(SKIP_1) | instid1(VALU_DEP_3)
	v_or_b32_e32 v6, v6, v8
	v_or_b32_e32 v8, 0x33800000, v8
	v_min_u32_e32 v11, 32, v11
	s_delay_alu instid0(VALU_DEP_3) | instskip(NEXT) | instid1(VALU_DEP_2)
	v_xor_b32_e32 v6, 1.0, v6
	v_sub_nc_u32_e32 v12, 31, v11
	v_add_lshl_u32 v7, v11, v7, 23
	s_delay_alu instid0(VALU_DEP_3) | instskip(NEXT) | instid1(VALU_DEP_3)
	v_mul_f32_e32 v11, 0x3fc90fda, v6
	v_alignbit_b32 v4, v9, v4, v12
	s_delay_alu instid0(VALU_DEP_3) | instskip(NEXT) | instid1(VALU_DEP_3)
	v_sub_nc_u32_e32 v7, v8, v7
	v_fma_f32 v8, 0x3fc90fda, v6, -v11
	s_delay_alu instid0(VALU_DEP_3) | instskip(NEXT) | instid1(VALU_DEP_2)
	v_lshrrev_b32_e32 v4, 9, v4
	v_fmamk_f32 v6, v6, 0x33a22168, v8
	s_delay_alu instid0(VALU_DEP_2) | instskip(NEXT) | instid1(VALU_DEP_1)
	v_or_b32_e32 v4, v7, v4
                                        ; implicit-def: $vgpr7
	v_fmac_f32_e32 v6, 0x3fc90fda, v4
	s_delay_alu instid0(VALU_DEP_1)
	v_add_f32_e32 v4, v11, v6
	v_add_nc_u32_e32 v6, v10, v5
	s_and_not1_saveexec_b32 s0, s4
	s_cbranch_execnz .LBB22_1238
	s_branch .LBB22_1239
.LBB22_1237:
	s_and_not1_saveexec_b32 s0, s4
.LBB22_1238:
	v_rndne_f32_e32 v5, v7
	s_delay_alu instid0(VALU_DEP_1) | instskip(SKIP_1) | instid1(VALU_DEP_2)
	v_fma_f32 v4, 0xbfc90fda, v5, |v0|
	v_cvt_i32_f32_e32 v6, v5
	v_fmamk_f32 v4, v5, 0xb3a22168, v4
	s_delay_alu instid0(VALU_DEP_1)
	v_fmamk_f32 v4, v5, 0xa7c234c4, v4
.LBB22_1239:
	s_or_b32 exec_lo, exec_lo, s0
	v_div_scale_f32 v5, null, v41, v41, 0x40a00000
	v_div_scale_f32 v9, vcc_lo, 0x40a00000, v41, 0x40a00000
	s_mov_b32 s0, 0xb94c1982
	s_delay_alu instid0(VALU_DEP_2) | instskip(SKIP_4) | instid1(VALU_DEP_1)
	v_rcp_f32_e32 v7, v5
	s_mov_b32 s1, 0x37d75334
	v_xor_b32_e32 v1, v1, v0
	s_waitcnt_depctr 0xfff
	v_fma_f32 v8, -v5, v7, 1.0
	v_fmac_f32_e32 v7, v8, v7
	s_delay_alu instid0(VALU_DEP_1) | instskip(NEXT) | instid1(VALU_DEP_1)
	v_mul_f32_e32 v8, v9, v7
	v_fma_f32 v10, -v5, v8, v9
	s_delay_alu instid0(VALU_DEP_1) | instskip(SKIP_1) | instid1(VALU_DEP_2)
	v_fmac_f32_e32 v8, v10, v7
	v_mul_f32_e32 v10, v4, v4
	v_fma_f32 v5, -v5, v8, v9
	s_delay_alu instid0(VALU_DEP_2) | instskip(SKIP_1) | instid1(VALU_DEP_3)
	v_fmaak_f32 v19, s0, v10, 0x3c0881c4
	v_fmaak_f32 v20, s1, v10, 0xbab64f3b
	v_div_fmas_f32 v5, v5, v7, v8
	v_mul_f32_e32 v7, v2, v2
	s_delay_alu instid0(VALU_DEP_4)
	v_fmaak_f32 v19, v10, v19, 0xbe2aaa9d
	v_mul_f32_e32 v16, 0x4f800000, v41
	v_fmaak_f32 v20, v10, v20, 0x3d2aabf7
	v_div_fixup_f32 v5, v5, v41, 0x40a00000
	v_fmaak_f32 v17, s0, v7, 0x3c0881c4
	v_cmp_gt_f32_e64 s0, 0xf800000, v41
	v_fmaak_f32 v18, s1, v7, 0xbab64f3b
	v_mul_f32_e32 v19, v10, v19
	v_dual_mul_f32 v9, v5, v5 :: v_dual_and_b32 v8, 1, v3
	v_lshlrev_b32_e32 v3, 30, v3
	v_and_b32_e32 v11, 1, v6
	v_cndmask_b32_e64 v16, v41, v16, s0
	s_delay_alu instid0(VALU_DEP_4) | instskip(SKIP_3) | instid1(VALU_DEP_4)
	v_fmaak_f32 v14, 0, v9, 0x3a47c962
	v_fmaak_f32 v13, 0, v9, 0x3a15c4d9
	;; [unrolled: 1-line block ×3, first 2 shown]
	v_dual_fmaak_f32 v15, 0, v9, 0x42947983 :: v_dual_lshlrev_b32 v6, 30, v6
	v_fmaak_f32 v14, v9, v14, 0x3d95ca45
	s_delay_alu instid0(VALU_DEP_4) | instskip(SKIP_2) | instid1(VALU_DEP_3)
	v_dual_fmaak_f32 v13, v9, v13, 0x3d8cfeeb :: v_dual_fmac_f32 v4, v4, v19
	v_sqrt_f32_e32 v24, v16
	v_fmaak_f32 v17, v7, v17, 0xbe2aaa9d
	v_fmaak_f32 v14, v9, v14, 0x3f9047f6
	s_delay_alu instid0(VALU_DEP_3)
	v_fmaak_f32 v13, v9, v13, 0x3f8d754e
	v_fmaak_f32 v12, v9, v12, 0x409f6dae
	;; [unrolled: 1-line block ×3, first 2 shown]
	v_mul_f32_e32 v17, v7, v17
	v_fmaak_f32 v15, v9, v15, 0x44840e5d
	v_fmaak_f32 v20, v10, v20, 0xbf000004
	v_cmp_eq_u32_e64 s2, 0, v8
	v_fmaak_f32 v18, v7, v18, 0xbf000004
	v_fmac_f32_e32 v2, v2, v17
	v_fmaak_f32 v13, v9, v13, 0x40a25d18
	v_fmaak_f32 v15, v9, v15, 0x459bd349
	v_fma_f32 v10, v10, v20, 1.0
	v_fma_f32 v7, v7, v18, 1.0
	v_and_b32_e32 v3, 0x80000000, v3
	v_dual_fmaak_f32 v14, v9, v14, 0x40a39628 :: v_dual_add_nc_u32 v19, -1, v24
	v_fmaak_f32 v13, v9, v13, 0x410665cf
	v_fmaak_f32 v15, v9, v15, 0x46156947
	v_cndmask_b32_e64 v2, v7, v2, s2
	v_cmp_eq_u32_e64 s2, 0, v11
	v_fmaak_f32 v14, v9, v14, 0x4106c8e4
	v_fmaak_f32 v13, v9, v13, 0x40a6b6ea
	;; [unrolled: 1-line block ×3, first 2 shown]
	v_fma_f32 v7, -v19, v24, v16
	v_cndmask_b32_e64 v4, -v4, v10, s2
	v_fmaak_f32 v14, v9, v14, 0x40a6dd51
	v_fma_f32 v13, v9, v13, 1.0
	v_fmaak_f32 v15, v9, v15, 0x4530a316
	v_xor3_b32 v1, v1, v3, v2
	v_and_b32_e32 v6, 0x80000000, v6
	v_fma_f32 v14, v9, v14, 1.0
	s_delay_alu instid0(VALU_DEP_4) | instskip(NEXT) | instid1(VALU_DEP_3)
	v_fmaak_f32 v15, v9, v15, 0x43a80bfb
	v_xor_b32_e32 v4, v6, v4
	s_delay_alu instid0(VALU_DEP_3) | instskip(SKIP_1) | instid1(VALU_DEP_1)
	v_div_scale_f32 v27, vcc_lo, v14, v13, v14
	v_fmaak_f32 v12, v9, v12, 0x4297a5cd
	v_fmaak_f32 v12, v9, v12, 0x43b763ca
	s_delay_alu instid0(VALU_DEP_1) | instskip(NEXT) | instid1(VALU_DEP_1)
	v_fmaak_f32 v12, v9, v12, 0x4431b6ce
	v_fmaak_f32 v12, v9, v12, 0x44155f56
	s_delay_alu instid0(VALU_DEP_1) | instskip(NEXT) | instid1(VALU_DEP_1)
	v_fmaak_f32 v12, v9, v12, 0x4353b052
	v_fmaak_f32 v9, v9, v12, 0x41c9a7fa
	v_div_scale_f32 v12, null, v13, v13, v14
	s_delay_alu instid0(VALU_DEP_2) | instskip(NEXT) | instid1(VALU_DEP_2)
	v_div_scale_f32 v21, null, v15, v15, v9
	v_rcp_f32_e32 v22, v12
	s_delay_alu instid0(VALU_DEP_1) | instskip(SKIP_3) | instid1(VALU_DEP_2)
	v_rcp_f32_e32 v23, v21
	s_waitcnt_depctr 0xfff
	v_fma_f32 v25, -v12, v22, 1.0
	v_fma_f32 v26, -v21, v23, 1.0
	v_fmac_f32_e32 v22, v25, v22
	v_div_scale_f32 v25, s1, v9, v15, v9
	s_delay_alu instid0(VALU_DEP_3) | instskip(NEXT) | instid1(VALU_DEP_1)
	v_dual_fmac_f32 v23, v26, v23 :: v_dual_add_nc_u32 v26, 1, v24
	v_dual_mul_f32 v17, v27, v22 :: v_dual_mul_f32 v18, v25, v23
	s_delay_alu instid0(VALU_DEP_2) | instskip(NEXT) | instid1(VALU_DEP_2)
	v_fma_f32 v8, -v26, v24, v16
	v_fma_f32 v20, -v12, v17, v27
	s_delay_alu instid0(VALU_DEP_3) | instskip(NEXT) | instid1(VALU_DEP_2)
	v_fma_f32 v28, -v21, v18, v25
	v_fmac_f32_e32 v17, v20, v22
	s_delay_alu instid0(VALU_DEP_2) | instskip(NEXT) | instid1(VALU_DEP_2)
	v_fmac_f32_e32 v18, v28, v23
	v_fma_f32 v10, -v12, v17, v27
	s_delay_alu instid0(VALU_DEP_2) | instskip(NEXT) | instid1(VALU_DEP_2)
	v_fma_f32 v2, -v21, v18, v25
	v_div_fmas_f32 v3, v10, v22, v17
	s_mov_b32 vcc_lo, s1
	v_cmp_lt_f32_e64 s1, 0, v8
	s_delay_alu instid0(VALU_DEP_3)
	v_div_fmas_f32 v2, v2, v23, v18
	v_cmp_ge_f32_e32 vcc_lo, 0, v7
	v_div_fixup_f32 v3, v3, v13, v14
	v_cndmask_b32_e32 v6, v24, v19, vcc_lo
	v_cmp_class_f32_e64 vcc_lo, v0, 0x1f8
	v_div_fixup_f32 v0, v2, v15, v9
	s_delay_alu instid0(VALU_DEP_3) | instskip(SKIP_1) | instid1(VALU_DEP_3)
	v_cndmask_b32_e64 v2, v6, v26, s1
	v_cndmask_b32_e32 v4, 0x7fc00000, v4, vcc_lo
	v_dual_mul_f32 v0, v5, v0 :: v_dual_cndmask_b32 v1, 0x7fc00000, v1
	v_cmp_class_f32_e64 vcc_lo, v16, 0x260
	s_delay_alu instid0(VALU_DEP_2) | instskip(NEXT) | instid1(VALU_DEP_1)
	v_dual_mul_f32 v5, 0x37800000, v2 :: v_dual_mul_f32 v0, v0, v4
	v_cndmask_b32_e64 v2, v2, v5, s0
	s_delay_alu instid0(VALU_DEP_1) | instskip(NEXT) | instid1(VALU_DEP_1)
	v_dual_fmac_f32 v0, v3, v1 :: v_dual_cndmask_b32 v1, v2, v16
	v_mul_f32_e32 v0, 0x3f4c422a, v0
	s_delay_alu instid0(VALU_DEP_1) | instskip(NEXT) | instid1(VALU_DEP_1)
	v_div_scale_f32 v2, null, v1, v1, v0
	v_rcp_f32_e32 v3, v2
	s_waitcnt_depctr 0xfff
	v_fma_f32 v4, -v2, v3, 1.0
	s_delay_alu instid0(VALU_DEP_1) | instskip(SKIP_1) | instid1(VALU_DEP_1)
	v_fmac_f32_e32 v3, v4, v3
	v_div_scale_f32 v4, vcc_lo, v0, v1, v0
	v_mul_f32_e32 v5, v4, v3
	s_delay_alu instid0(VALU_DEP_1) | instskip(NEXT) | instid1(VALU_DEP_1)
	v_fma_f32 v6, -v2, v5, v4
	v_fmac_f32_e32 v5, v6, v3
	s_delay_alu instid0(VALU_DEP_1) | instskip(NEXT) | instid1(VALU_DEP_1)
	v_fma_f32 v2, -v2, v5, v4
	v_div_fmas_f32 v2, v2, v3, v5
	s_delay_alu instid0(VALU_DEP_1)
	v_div_fixup_f32 v42, v2, v1, v0
.LBB22_1240:
	s_or_b32 exec_lo, exec_lo, s3
	v_add_nc_u32_e32 v0, 0x80, v45
	v_cmp_gt_i16_e32 vcc_lo, 11, v47
	s_delay_alu instid0(VALU_DEP_2) | instskip(NEXT) | instid1(VALU_DEP_1)
	v_mul_lo_u32 v0, s41, v0
	v_ashrrev_i32_e32 v1, 31, v0
	v_add_co_u32 v0, s0, s38, v0
	s_delay_alu instid0(VALU_DEP_1)
	v_add_co_ci_u32_e64 v1, s0, s39, v1, s0
	s_cbranch_vccnz .LBB22_1247
; %bb.1241:
	v_cmp_lt_i16_e32 vcc_lo, 25, v47
	s_mov_b32 s1, 0
	s_cbranch_vccz .LBB22_1253
; %bb.1242:
	v_cmp_lt_i16_e32 vcc_lo, 28, v47
	s_cbranch_vccz .LBB22_1255
; %bb.1243:
	v_cmp_lt_i16_e32 vcc_lo, 43, v47
	;; [unrolled: 3-line block ×3, first 2 shown]
	s_cbranch_vccz .LBB22_1263
; %bb.1245:
	v_cmp_eq_u16_e32 vcc_lo, 46, v47
	s_mov_b32 s3, 0
	s_cbranch_vccz .LBB22_1307
; %bb.1246:
	global_load_b32 v2, v[0:1], off
	s_mov_b32 s0, 0
	s_mov_b32 s2, -1
	s_waitcnt vmcnt(0)
	v_lshlrev_b32_e32 v41, 16, v2
	s_branch .LBB22_1309
.LBB22_1247:
	s_mov_b32 s2, 0
                                        ; implicit-def: $vgpr41
	s_cbranch_execz .LBB22_1374
; %bb.1248:
	v_cmp_gt_i16_e32 vcc_lo, 5, v47
	s_cbranch_vccnz .LBB22_1254
; %bb.1249:
	v_cmp_gt_i16_e32 vcc_lo, 8, v47
	s_cbranch_vccnz .LBB22_1256
	;; [unrolled: 3-line block ×3, first 2 shown]
; %bb.1251:
	v_cmp_lt_i16_e32 vcc_lo, 9, v47
	s_cbranch_vccz .LBB22_1264
; %bb.1252:
	global_load_b64 v[2:3], v[0:1], off
	s_mov_b32 s0, 0
	s_waitcnt vmcnt(0)
	v_cvt_f32_f64_e32 v41, v[2:3]
	s_branch .LBB22_1265
.LBB22_1253:
	s_mov_b32 s2, 0
	s_mov_b32 s0, 0
                                        ; implicit-def: $vgpr41
	s_cbranch_execnz .LBB22_1338
	s_branch .LBB22_1370
.LBB22_1254:
                                        ; implicit-def: $vgpr41
	s_branch .LBB22_1283
.LBB22_1255:
	s_mov_b32 s3, -1
	s_mov_b32 s2, 0
	s_mov_b32 s0, 0
                                        ; implicit-def: $vgpr41
	s_branch .LBB22_1319
.LBB22_1256:
	s_mov_b32 s0, -1
                                        ; implicit-def: $vgpr41
	s_branch .LBB22_1271
.LBB22_1257:
	s_mov_b32 s3, -1
	s_mov_b32 s2, 0
	s_mov_b32 s0, 0
                                        ; implicit-def: $vgpr41
	s_branch .LBB22_1314
.LBB22_1258:
	s_mov_b32 s0, -1
                                        ; implicit-def: $vgpr41
	s_branch .LBB22_1268
.LBB22_1259:
	s_cbranch_execnz .LBB22_1303
; %bb.1260:
	s_or_b32 s35, s43, exec_lo
                                        ; implicit-def: $vgpr41
	s_cbranch_execz .LBB22_1221
	s_branch .LBB22_1222
.LBB22_1261:
	s_or_saveexec_b32 s3, s3
                                        ; implicit-def: $sgpr4
	s_delay_alu instid0(SALU_CYCLE_1)
	s_xor_b32 exec_lo, exec_lo, s3
	s_cbranch_execz .LBB22_1007
.LBB22_1262:
	v_add_f32_e64 v1, 0x46000000, |v0|
	s_and_not1_b32 s2, s2, exec_lo
	s_mov_b32 s4, 0
	s_delay_alu instid0(VALU_DEP_1) | instskip(NEXT) | instid1(VALU_DEP_1)
	v_and_b32_e32 v1, 0xff, v1
	v_cmp_ne_u32_e32 vcc_lo, 0, v1
	s_and_b32 s5, vcc_lo, exec_lo
	s_delay_alu instid0(SALU_CYCLE_1)
	s_or_b32 s2, s2, s5
	s_or_b32 exec_lo, exec_lo, s3
	v_mov_b32_e32 v5, s4
	s_and_saveexec_b32 s3, s2
	s_cbranch_execnz .LBB22_1008
	s_branch .LBB22_1009
.LBB22_1263:
	s_mov_b32 s3, -1
	s_mov_b32 s2, 0
	s_mov_b32 s0, 0
	s_branch .LBB22_1308
.LBB22_1264:
	s_mov_b32 s0, -1
                                        ; implicit-def: $vgpr41
.LBB22_1265:
	s_delay_alu instid0(SALU_CYCLE_1)
	s_and_not1_b32 vcc_lo, exec_lo, s0
	s_cbranch_vccnz .LBB22_1267
; %bb.1266:
	global_load_b32 v41, v[0:1], off
.LBB22_1267:
	s_mov_b32 s0, 0
.LBB22_1268:
	s_delay_alu instid0(SALU_CYCLE_1)
	s_and_not1_b32 vcc_lo, exec_lo, s0
	s_cbranch_vccnz .LBB22_1270
; %bb.1269:
	global_load_b32 v2, v[0:1], off
	s_waitcnt vmcnt(0)
	v_cvt_f32_f16_e32 v41, v2
.LBB22_1270:
	s_mov_b32 s0, 0
.LBB22_1271:
	s_delay_alu instid0(SALU_CYCLE_1)
	s_and_not1_b32 vcc_lo, exec_lo, s0
	s_cbranch_vccnz .LBB22_1282
; %bb.1272:
	v_cmp_gt_i16_e32 vcc_lo, 6, v47
	s_cbranch_vccnz .LBB22_1275
; %bb.1273:
	v_cmp_lt_i16_e32 vcc_lo, 6, v47
	s_cbranch_vccz .LBB22_1276
; %bb.1274:
	global_load_b64 v[2:3], v[0:1], off
	s_mov_b32 s0, 0
	s_waitcnt vmcnt(0)
	v_cvt_f32_f64_e32 v41, v[2:3]
	s_branch .LBB22_1277
.LBB22_1275:
	s_mov_b32 s0, -1
                                        ; implicit-def: $vgpr41
	s_branch .LBB22_1280
.LBB22_1276:
	s_mov_b32 s0, -1
                                        ; implicit-def: $vgpr41
.LBB22_1277:
	s_delay_alu instid0(SALU_CYCLE_1)
	s_and_not1_b32 vcc_lo, exec_lo, s0
	s_cbranch_vccnz .LBB22_1279
; %bb.1278:
	global_load_b32 v41, v[0:1], off
.LBB22_1279:
	s_mov_b32 s0, 0
.LBB22_1280:
	s_delay_alu instid0(SALU_CYCLE_1)
	s_and_not1_b32 vcc_lo, exec_lo, s0
	s_cbranch_vccnz .LBB22_1282
; %bb.1281:
	global_load_u16 v2, v[0:1], off
	s_waitcnt vmcnt(0)
	v_cvt_f32_f16_e32 v41, v2
.LBB22_1282:
	s_cbranch_execnz .LBB22_1302
.LBB22_1283:
	v_cmp_gt_i16_e32 vcc_lo, 2, v47
	s_cbranch_vccnz .LBB22_1287
; %bb.1284:
	v_cmp_gt_i16_e32 vcc_lo, 3, v47
	s_cbranch_vccnz .LBB22_1288
; %bb.1285:
	v_cmp_lt_i16_e32 vcc_lo, 3, v47
	s_cbranch_vccz .LBB22_1289
; %bb.1286:
	global_load_b64 v[2:3], v[0:1], off
	s_mov_b32 s0, 0
	s_waitcnt vmcnt(0)
	v_xor_b32_e32 v4, v2, v3
	v_cls_i32_e32 v5, v3
	s_delay_alu instid0(VALU_DEP_2) | instskip(NEXT) | instid1(VALU_DEP_2)
	v_ashrrev_i32_e32 v4, 31, v4
	v_add_nc_u32_e32 v5, -1, v5
	s_delay_alu instid0(VALU_DEP_2) | instskip(NEXT) | instid1(VALU_DEP_1)
	v_add_nc_u32_e32 v4, 32, v4
	v_min_u32_e32 v4, v5, v4
	s_delay_alu instid0(VALU_DEP_1) | instskip(NEXT) | instid1(VALU_DEP_1)
	v_lshlrev_b64 v[2:3], v4, v[2:3]
	v_min_u32_e32 v2, 1, v2
	s_delay_alu instid0(VALU_DEP_1) | instskip(SKIP_1) | instid1(VALU_DEP_2)
	v_or_b32_e32 v2, v3, v2
	v_sub_nc_u32_e32 v3, 32, v4
	v_cvt_f32_i32_e32 v2, v2
	s_delay_alu instid0(VALU_DEP_1)
	v_ldexp_f32 v41, v2, v3
	s_branch .LBB22_1290
.LBB22_1287:
	s_mov_b32 s0, -1
                                        ; implicit-def: $vgpr41
	s_branch .LBB22_1296
.LBB22_1288:
	s_mov_b32 s0, -1
                                        ; implicit-def: $vgpr41
	s_branch .LBB22_1293
.LBB22_1289:
	s_mov_b32 s0, -1
                                        ; implicit-def: $vgpr41
.LBB22_1290:
	s_delay_alu instid0(SALU_CYCLE_1)
	s_and_not1_b32 vcc_lo, exec_lo, s0
	s_cbranch_vccnz .LBB22_1292
; %bb.1291:
	global_load_b32 v2, v[0:1], off
	s_waitcnt vmcnt(0)
	v_cvt_f32_i32_e32 v41, v2
.LBB22_1292:
	s_mov_b32 s0, 0
.LBB22_1293:
	s_delay_alu instid0(SALU_CYCLE_1)
	s_and_not1_b32 vcc_lo, exec_lo, s0
	s_cbranch_vccnz .LBB22_1295
; %bb.1294:
	global_load_i16 v2, v[0:1], off
	s_waitcnt vmcnt(0)
	v_cvt_f32_i32_e32 v41, v2
.LBB22_1295:
	s_mov_b32 s0, 0
.LBB22_1296:
	s_delay_alu instid0(SALU_CYCLE_1)
	s_and_not1_b32 vcc_lo, exec_lo, s0
	s_cbranch_vccnz .LBB22_1302
; %bb.1297:
	v_cmp_lt_i16_e32 vcc_lo, 0, v47
	s_mov_b32 s0, 0
	s_cbranch_vccz .LBB22_1299
; %bb.1298:
	global_load_i8 v2, v[0:1], off
	s_waitcnt vmcnt(0)
	v_cvt_f32_i32_e32 v41, v2
	s_branch .LBB22_1300
.LBB22_1299:
	s_mov_b32 s0, -1
                                        ; implicit-def: $vgpr41
.LBB22_1300:
	s_delay_alu instid0(SALU_CYCLE_1)
	s_and_not1_b32 vcc_lo, exec_lo, s0
	s_cbranch_vccnz .LBB22_1302
; %bb.1301:
	global_load_u8 v0, v[0:1], off
	s_waitcnt vmcnt(0)
	v_cvt_f32_ubyte0_e32 v41, v0
.LBB22_1302:
	s_branch .LBB22_1375
.LBB22_1303:
	s_trap 2
	s_sendmsg_rtn_b32 s0, sendmsg(MSG_RTN_GET_DOORBELL)
	s_mov_b32 ttmp2, m0
	s_waitcnt lgkmcnt(0)
	s_and_b32 s0, s0, 0x3ff
	s_delay_alu instid0(SALU_CYCLE_1) | instskip(NEXT) | instid1(SALU_CYCLE_1)
	s_bitset1_b32 s0, 10
	s_mov_b32 m0, s0
	s_sendmsg sendmsg(MSG_INTERRUPT)
	s_mov_b32 m0, ttmp2
.LBB22_1304:                            ; =>This Inner Loop Header: Depth=1
	s_sethalt 5
	s_branch .LBB22_1304
.LBB22_1305:
	s_or_saveexec_b32 s4, s4
                                        ; implicit-def: $sgpr5
	s_delay_alu instid0(SALU_CYCLE_1)
	s_xor_b32 exec_lo, exec_lo, s4
	s_cbranch_execz .LBB22_1019
.LBB22_1306:
	v_add_f32_e64 v1, 0x42800000, |v0|
	s_and_not1_b32 s3, s3, exec_lo
	s_mov_b32 s5, 0
	s_delay_alu instid0(VALU_DEP_1) | instskip(NEXT) | instid1(VALU_DEP_1)
	v_and_b32_e32 v1, 0xff, v1
	v_cmp_ne_u32_e32 vcc_lo, 0, v1
	s_and_b32 s6, vcc_lo, exec_lo
	s_delay_alu instid0(SALU_CYCLE_1)
	s_or_b32 s3, s3, s6
	s_or_b32 exec_lo, exec_lo, s4
	v_mov_b32_e32 v5, s5
	s_and_saveexec_b32 s4, s3
	s_cbranch_execnz .LBB22_1020
	s_branch .LBB22_1021
.LBB22_1307:
	s_mov_b32 s0, -1
	s_mov_b32 s2, 0
.LBB22_1308:
                                        ; implicit-def: $vgpr41
.LBB22_1309:
	s_and_b32 vcc_lo, exec_lo, s3
	s_cbranch_vccz .LBB22_1313
; %bb.1310:
	v_cmp_eq_u16_e32 vcc_lo, 44, v47
	s_cbranch_vccz .LBB22_1312
; %bb.1311:
	global_load_u8 v2, v[0:1], off
	s_mov_b32 s0, 0
	s_mov_b32 s2, -1
	s_waitcnt vmcnt(0)
	v_lshlrev_b32_e32 v3, 23, v2
	v_cmp_ne_u32_e32 vcc_lo, 0xff, v2
	s_delay_alu instid0(VALU_DEP_2) | instskip(SKIP_1) | instid1(VALU_DEP_2)
	v_cndmask_b32_e32 v3, 0x7f800001, v3, vcc_lo
	v_cmp_ne_u32_e32 vcc_lo, 0, v2
	v_cndmask_b32_e32 v41, 0x400000, v3, vcc_lo
	s_branch .LBB22_1313
.LBB22_1312:
	s_mov_b32 s0, -1
                                        ; implicit-def: $vgpr41
.LBB22_1313:
	s_mov_b32 s3, 0
.LBB22_1314:
	s_delay_alu instid0(SALU_CYCLE_1)
	s_and_b32 vcc_lo, exec_lo, s3
	s_cbranch_vccz .LBB22_1318
; %bb.1315:
	v_cmp_eq_u16_e32 vcc_lo, 29, v47
	s_cbranch_vccz .LBB22_1317
; %bb.1316:
	global_load_b64 v[2:3], v[0:1], off
	s_mov_b32 s0, 0
	s_mov_b32 s2, -1
	s_mov_b32 s3, 0
	s_waitcnt vmcnt(0)
	v_clz_i32_u32_e32 v4, v3
	s_delay_alu instid0(VALU_DEP_1) | instskip(NEXT) | instid1(VALU_DEP_1)
	v_min_u32_e32 v4, 32, v4
	v_lshlrev_b64 v[2:3], v4, v[2:3]
	s_delay_alu instid0(VALU_DEP_1) | instskip(NEXT) | instid1(VALU_DEP_1)
	v_min_u32_e32 v2, 1, v2
	v_or_b32_e32 v2, v3, v2
	v_sub_nc_u32_e32 v3, 32, v4
	s_delay_alu instid0(VALU_DEP_2) | instskip(NEXT) | instid1(VALU_DEP_1)
	v_cvt_f32_u32_e32 v2, v2
	v_ldexp_f32 v41, v2, v3
	s_branch .LBB22_1319
.LBB22_1317:
	s_mov_b32 s0, -1
                                        ; implicit-def: $vgpr41
.LBB22_1318:
	s_mov_b32 s3, 0
.LBB22_1319:
	s_delay_alu instid0(SALU_CYCLE_1)
	s_and_b32 vcc_lo, exec_lo, s3
	s_cbranch_vccz .LBB22_1337
; %bb.1320:
	v_cmp_gt_i16_e32 vcc_lo, 27, v47
	s_cbranch_vccnz .LBB22_1323
; %bb.1321:
	v_cmp_lt_i16_e32 vcc_lo, 27, v47
	s_cbranch_vccz .LBB22_1324
; %bb.1322:
	global_load_b32 v2, v[0:1], off
	s_mov_b32 s2, 0
	s_waitcnt vmcnt(0)
	v_cvt_f32_u32_e32 v41, v2
	s_branch .LBB22_1325
.LBB22_1323:
	s_mov_b32 s2, -1
                                        ; implicit-def: $vgpr41
	s_branch .LBB22_1328
.LBB22_1324:
	s_mov_b32 s2, -1
                                        ; implicit-def: $vgpr41
.LBB22_1325:
	s_delay_alu instid0(SALU_CYCLE_1)
	s_and_not1_b32 vcc_lo, exec_lo, s2
	s_cbranch_vccnz .LBB22_1327
; %bb.1326:
	global_load_u16 v2, v[0:1], off
	s_waitcnt vmcnt(0)
	v_cvt_f32_u32_e32 v41, v2
.LBB22_1327:
	s_mov_b32 s2, 0
.LBB22_1328:
	s_delay_alu instid0(SALU_CYCLE_1)
	s_and_not1_b32 vcc_lo, exec_lo, s2
	s_cbranch_vccnz .LBB22_1336
; %bb.1329:
	global_load_u8 v2, v[0:1], off
	s_mov_b32 s2, 0
	s_mov_b32 s4, exec_lo
                                        ; implicit-def: $sgpr3
	s_waitcnt vmcnt(0)
	v_cmpx_lt_i16_e32 0x7f, v2
	s_xor_b32 s4, exec_lo, s4
	s_cbranch_execz .LBB22_1349
; %bb.1330:
	s_mov_b32 s2, -1
	s_mov_b32 s5, exec_lo
                                        ; implicit-def: $sgpr3
	v_cmpx_eq_u16_e32 0x80, v2
; %bb.1331:
	s_mov_b32 s3, 0x7f800001
	s_xor_b32 s2, exec_lo, -1
; %bb.1332:
	s_or_b32 exec_lo, exec_lo, s5
	s_delay_alu instid0(SALU_CYCLE_1)
	s_and_b32 s2, s2, exec_lo
	s_or_saveexec_b32 s4, s4
	v_mov_b32_e32 v41, s3
	s_xor_b32 exec_lo, exec_lo, s4
	s_cbranch_execnz .LBB22_1350
.LBB22_1333:
	s_or_b32 exec_lo, exec_lo, s4
	s_and_saveexec_b32 s3, s2
	s_cbranch_execz .LBB22_1335
.LBB22_1334:
	v_and_b32_e32 v3, 0xffff, v2
	v_lshlrev_b32_e32 v2, 24, v2
	s_delay_alu instid0(VALU_DEP_2) | instskip(NEXT) | instid1(VALU_DEP_2)
	v_and_b32_e32 v4, 7, v3
	v_and_b32_e32 v2, 0x80000000, v2
	s_delay_alu instid0(VALU_DEP_2) | instskip(NEXT) | instid1(VALU_DEP_1)
	v_clz_i32_u32_e32 v5, v4
	v_min_u32_e32 v5, 32, v5
	s_delay_alu instid0(VALU_DEP_1) | instskip(SKIP_1) | instid1(VALU_DEP_2)
	v_subrev_nc_u32_e32 v6, 28, v5
	v_sub_nc_u32_e32 v5, 29, v5
	v_lshlrev_b32_e32 v6, v6, v3
	v_bfe_u32 v3, v3, 3, 4
	s_delay_alu instid0(VALU_DEP_2) | instskip(NEXT) | instid1(VALU_DEP_2)
	v_and_b32_e32 v6, 7, v6
	v_cmp_eq_u32_e32 vcc_lo, 0, v3
	s_delay_alu instid0(VALU_DEP_2) | instskip(NEXT) | instid1(VALU_DEP_1)
	v_dual_cndmask_b32 v3, v3, v5 :: v_dual_cndmask_b32 v4, v4, v6
	v_lshl_add_u32 v3, v3, 23, 0x3b800000
	s_delay_alu instid0(VALU_DEP_2) | instskip(NEXT) | instid1(VALU_DEP_1)
	v_lshlrev_b32_e32 v4, 20, v4
	v_or3_b32 v41, v2, v3, v4
.LBB22_1335:
	s_or_b32 exec_lo, exec_lo, s3
.LBB22_1336:
	s_mov_b32 s2, -1
.LBB22_1337:
	s_branch .LBB22_1370
.LBB22_1338:
	v_cmp_lt_i16_e32 vcc_lo, 22, v47
	s_cbranch_vccz .LBB22_1348
; %bb.1339:
	v_cmp_gt_i16_e32 vcc_lo, 24, v47
	s_cbranch_vccnz .LBB22_1351
; %bb.1340:
	v_cmp_lt_i16_e32 vcc_lo, 24, v47
	s_cbranch_vccz .LBB22_1352
; %bb.1341:
	global_load_u8 v2, v[0:1], off
	s_mov_b32 s3, exec_lo
                                        ; implicit-def: $sgpr2
	s_waitcnt vmcnt(0)
	v_cmpx_lt_i16_e32 0x7f, v2
	s_xor_b32 s3, exec_lo, s3
	s_cbranch_execz .LBB22_1364
; %bb.1342:
	s_mov_b32 s1, -1
	s_mov_b32 s4, exec_lo
                                        ; implicit-def: $sgpr2
	v_cmpx_eq_u16_e32 0x80, v2
; %bb.1343:
	s_mov_b32 s2, 0x7f800001
	s_xor_b32 s1, exec_lo, -1
; %bb.1344:
	s_or_b32 exec_lo, exec_lo, s4
	s_delay_alu instid0(SALU_CYCLE_1)
	s_and_b32 s1, s1, exec_lo
	s_or_saveexec_b32 s3, s3
	v_mov_b32_e32 v41, s2
	s_xor_b32 exec_lo, exec_lo, s3
	s_cbranch_execnz .LBB22_1365
.LBB22_1345:
	s_or_b32 exec_lo, exec_lo, s3
	s_and_saveexec_b32 s2, s1
	s_cbranch_execz .LBB22_1347
.LBB22_1346:
	v_and_b32_e32 v3, 0xffff, v2
	v_lshlrev_b32_e32 v2, 24, v2
	s_delay_alu instid0(VALU_DEP_2) | instskip(NEXT) | instid1(VALU_DEP_2)
	v_and_b32_e32 v4, 3, v3
	v_and_b32_e32 v2, 0x80000000, v2
	s_delay_alu instid0(VALU_DEP_2) | instskip(NEXT) | instid1(VALU_DEP_1)
	v_clz_i32_u32_e32 v5, v4
	v_min_u32_e32 v5, 32, v5
	s_delay_alu instid0(VALU_DEP_1) | instskip(SKIP_1) | instid1(VALU_DEP_2)
	v_subrev_nc_u32_e32 v6, 29, v5
	v_sub_nc_u32_e32 v5, 30, v5
	v_lshlrev_b32_e32 v6, v6, v3
	v_bfe_u32 v3, v3, 2, 5
	s_delay_alu instid0(VALU_DEP_2) | instskip(NEXT) | instid1(VALU_DEP_2)
	v_and_b32_e32 v6, 3, v6
	v_cmp_eq_u32_e32 vcc_lo, 0, v3
	s_delay_alu instid0(VALU_DEP_2) | instskip(NEXT) | instid1(VALU_DEP_1)
	v_dual_cndmask_b32 v3, v3, v5 :: v_dual_cndmask_b32 v4, v4, v6
	v_lshl_add_u32 v3, v3, 23, 0x37800000
	s_delay_alu instid0(VALU_DEP_2) | instskip(NEXT) | instid1(VALU_DEP_1)
	v_lshlrev_b32_e32 v4, 21, v4
	v_or3_b32 v41, v2, v3, v4
.LBB22_1347:
	s_or_b32 exec_lo, exec_lo, s2
	s_mov_b32 s1, 0
	s_branch .LBB22_1353
.LBB22_1348:
	s_mov_b32 s1, -1
                                        ; implicit-def: $vgpr41
	s_branch .LBB22_1359
.LBB22_1349:
	s_or_saveexec_b32 s4, s4
	v_mov_b32_e32 v41, s3
	s_xor_b32 exec_lo, exec_lo, s4
	s_cbranch_execz .LBB22_1333
.LBB22_1350:
	v_cmp_ne_u16_e32 vcc_lo, 0, v2
	v_mov_b32_e32 v41, 0
	s_and_not1_b32 s2, s2, exec_lo
	s_and_b32 s3, vcc_lo, exec_lo
	s_delay_alu instid0(SALU_CYCLE_1)
	s_or_b32 s2, s2, s3
	s_or_b32 exec_lo, exec_lo, s4
	s_and_saveexec_b32 s3, s2
	s_cbranch_execnz .LBB22_1334
	s_branch .LBB22_1335
.LBB22_1351:
	s_mov_b32 s1, -1
                                        ; implicit-def: $vgpr41
	s_branch .LBB22_1356
.LBB22_1352:
	s_mov_b32 s1, -1
                                        ; implicit-def: $vgpr41
.LBB22_1353:
	s_delay_alu instid0(SALU_CYCLE_1)
	s_and_b32 vcc_lo, exec_lo, s1
	s_cbranch_vccz .LBB22_1355
; %bb.1354:
	global_load_u8 v2, v[0:1], off
	s_waitcnt vmcnt(0)
	v_lshlrev_b32_e32 v2, 24, v2
	s_delay_alu instid0(VALU_DEP_1) | instskip(NEXT) | instid1(VALU_DEP_1)
	v_and_b32_e32 v3, 0x7f000000, v2
	v_clz_i32_u32_e32 v4, v3
	v_add_nc_u32_e32 v6, 0x1000000, v3
	v_cmp_ne_u32_e32 vcc_lo, 0, v3
	s_delay_alu instid0(VALU_DEP_3) | instskip(NEXT) | instid1(VALU_DEP_1)
	v_min_u32_e32 v4, 32, v4
	v_sub_nc_u32_e64 v4, v4, 4 clamp
	s_delay_alu instid0(VALU_DEP_1) | instskip(SKIP_1) | instid1(VALU_DEP_2)
	v_lshlrev_b32_e32 v5, v4, v3
	v_lshlrev_b32_e32 v4, 23, v4
	v_lshrrev_b32_e32 v5, 4, v5
	s_delay_alu instid0(VALU_DEP_1) | instskip(SKIP_1) | instid1(VALU_DEP_2)
	v_sub_nc_u32_e32 v4, v5, v4
	v_ashrrev_i32_e32 v5, 8, v6
	v_add_nc_u32_e32 v4, 0x3c000000, v4
	s_delay_alu instid0(VALU_DEP_1) | instskip(NEXT) | instid1(VALU_DEP_1)
	v_and_or_b32 v4, 0x7f800000, v5, v4
	v_cndmask_b32_e32 v3, 0, v4, vcc_lo
	s_delay_alu instid0(VALU_DEP_1)
	v_and_or_b32 v41, 0x80000000, v2, v3
.LBB22_1355:
	s_mov_b32 s1, 0
.LBB22_1356:
	s_delay_alu instid0(SALU_CYCLE_1)
	s_and_not1_b32 vcc_lo, exec_lo, s1
	s_cbranch_vccnz .LBB22_1358
; %bb.1357:
	global_load_u8 v2, v[0:1], off
	s_waitcnt vmcnt(0)
	v_lshlrev_b32_e32 v3, 25, v2
	v_lshlrev_b16 v2, 8, v2
	s_delay_alu instid0(VALU_DEP_2) | instskip(NEXT) | instid1(VALU_DEP_2)
	v_lshrrev_b32_e32 v4, 4, v3
	v_and_or_b32 v5, 0x7f00, v2, 0.5
	v_bfe_i32 v2, v2, 0, 16
	s_delay_alu instid0(VALU_DEP_3) | instskip(NEXT) | instid1(VALU_DEP_1)
	v_or_b32_e32 v4, 0x70000000, v4
	v_dual_add_f32 v5, -0.5, v5 :: v_dual_mul_f32 v4, 0x7800000, v4
	v_cmp_gt_u32_e32 vcc_lo, 0x8000000, v3
	s_delay_alu instid0(VALU_DEP_2) | instskip(NEXT) | instid1(VALU_DEP_1)
	v_cndmask_b32_e32 v3, v4, v5, vcc_lo
	v_and_or_b32 v41, 0x80000000, v2, v3
.LBB22_1358:
	s_mov_b32 s1, 0
	s_mov_b32 s2, -1
.LBB22_1359:
	s_and_not1_b32 vcc_lo, exec_lo, s1
	s_mov_b32 s1, 0
	s_cbranch_vccnz .LBB22_1370
; %bb.1360:
	v_cmp_lt_i16_e32 vcc_lo, 14, v47
	s_cbranch_vccz .LBB22_1363
; %bb.1361:
	v_cmp_eq_u16_e32 vcc_lo, 15, v47
	s_cbranch_vccz .LBB22_1366
; %bb.1362:
	global_load_u16 v2, v[0:1], off
	s_mov_b32 s0, 0
	s_mov_b32 s2, -1
	s_waitcnt vmcnt(0)
	v_lshlrev_b32_e32 v41, 16, v2
	s_branch .LBB22_1368
.LBB22_1363:
	s_mov_b32 s1, -1
	s_branch .LBB22_1367
.LBB22_1364:
	s_or_saveexec_b32 s3, s3
	v_mov_b32_e32 v41, s2
	s_xor_b32 exec_lo, exec_lo, s3
	s_cbranch_execz .LBB22_1345
.LBB22_1365:
	v_cmp_ne_u16_e32 vcc_lo, 0, v2
	v_mov_b32_e32 v41, 0
	s_and_not1_b32 s1, s1, exec_lo
	s_and_b32 s2, vcc_lo, exec_lo
	s_delay_alu instid0(SALU_CYCLE_1)
	s_or_b32 s1, s1, s2
	s_or_b32 exec_lo, exec_lo, s3
	s_and_saveexec_b32 s2, s1
	s_cbranch_execnz .LBB22_1346
	s_branch .LBB22_1347
.LBB22_1366:
	s_mov_b32 s0, -1
.LBB22_1367:
                                        ; implicit-def: $vgpr41
.LBB22_1368:
	s_and_b32 vcc_lo, exec_lo, s1
	s_mov_b32 s1, 0
	s_cbranch_vccz .LBB22_1370
; %bb.1369:
	v_cmp_ne_u16_e64 s0, 11, v47
	s_mov_b32 s1, -1
                                        ; implicit-def: $vgpr41
.LBB22_1370:
	s_delay_alu instid0(VALU_DEP_1)
	s_and_b32 vcc_lo, exec_lo, s0
	s_cbranch_vccnz .LBB22_1410
; %bb.1371:
	s_and_not1_b32 vcc_lo, exec_lo, s1
	s_cbranch_vccnz .LBB22_1373
.LBB22_1372:
	global_load_u8 v2, v[0:1], off
	s_mov_b32 s2, -1
	s_waitcnt vmcnt(0)
	v_cmp_ne_u16_e32 vcc_lo, 0, v2
	v_cndmask_b32_e64 v41, 0, 1.0, vcc_lo
.LBB22_1373:
.LBB22_1374:
	s_and_not1_b32 vcc_lo, exec_lo, s2
	s_cbranch_vccnz .LBB22_1683
.LBB22_1375:
                                        ; implicit-def: $vgpr44
	s_mov_b32 s0, exec_lo
	s_waitcnt vmcnt(0)
	s_delay_alu instid0(VALU_DEP_1)
	v_cmpx_ge_f32_e32 0x40a00000, v41
	s_xor_b32 s44, exec_lo, s0
	s_cbranch_execz .LBB22_1381
; %bb.1376:
	v_mov_b32_e32 v44, 0xff800000
	s_mov_b32 s45, exec_lo
	v_cmpx_neq_f32_e32 0, v41
	s_cbranch_execz .LBB22_1380
; %bb.1377:
	v_mov_b32_e32 v44, 0x7fc00000
	s_mov_b32 s46, exec_lo
	v_cmpx_nge_f32_e32 0, v41
	s_cbranch_execz .LBB22_1379
; %bb.1378:
	v_mul_f32_e32 v0, v41, v41
	s_getpc_b64 s[0:1]
	s_add_u32 s0, s0, _Z17bessel_j1_forwardIfET_S0_@rel32@lo+4
	s_addc_u32 s1, s1, _Z17bessel_j1_forwardIfET_S0_@rel32@hi+12
	s_delay_alu instid0(VALU_DEP_1) | instskip(SKIP_1) | instid1(VALU_DEP_2)
	v_fmaak_f32 v1, 0, v0, 0x4414934d
	v_fmaak_f32 v2, 0, v0, 0x4e9695f3
	;; [unrolled: 1-line block ×3, first 2 shown]
	s_delay_alu instid0(VALU_DEP_2) | instskip(NEXT) | instid1(VALU_DEP_2)
	v_fmaak_f32 v2, v0, v2, 0xd316b96b
	v_fmaak_f32 v1, v0, v1, 0x4c8c277d
	s_delay_alu instid0(VALU_DEP_2) | instskip(NEXT) | instid1(VALU_DEP_2)
	v_fmaak_f32 v2, v0, v2, 0x56d04aa6
	v_fmaak_f32 v1, v0, v1, 0x508bc61d
	;; [unrolled: 3-line block ×5, first 2 shown]
	s_delay_alu instid0(VALU_DEP_1) | instskip(NEXT) | instid1(VALU_DEP_1)
	v_fmaak_f32 v0, v0, v1, 0x5e5c878d
	v_div_scale_f32 v1, null, v0, v0, v2
	v_div_scale_f32 v5, vcc_lo, v2, v0, v2
	s_delay_alu instid0(VALU_DEP_2) | instskip(SKIP_2) | instid1(VALU_DEP_1)
	v_rcp_f32_e32 v3, v1
	s_waitcnt_depctr 0xfff
	v_fma_f32 v4, -v1, v3, 1.0
	v_fmac_f32_e32 v3, v4, v3
	s_delay_alu instid0(VALU_DEP_1) | instskip(NEXT) | instid1(VALU_DEP_1)
	v_mul_f32_e32 v4, v5, v3
	v_fma_f32 v6, -v1, v4, v5
	s_delay_alu instid0(VALU_DEP_1) | instskip(NEXT) | instid1(VALU_DEP_1)
	v_fmac_f32_e32 v4, v6, v3
	v_fma_f32 v1, -v1, v4, v5
	s_delay_alu instid0(VALU_DEP_1) | instskip(NEXT) | instid1(VALU_DEP_1)
	v_div_fmas_f32 v1, v1, v3, v4
	v_div_fixup_f32 v46, v1, v0, v2
	v_mov_b32_e32 v0, v41
	s_swappc_b64 s[30:31], s[0:1]
	v_div_scale_f32 v1, null, v41, v41, -1.0
	v_cmp_gt_f32_e32 vcc_lo, 0x800000, v41
	v_div_scale_f32 v5, s0, -1.0, v41, -1.0
	s_delay_alu instid0(VALU_DEP_3) | instskip(SKIP_3) | instid1(VALU_DEP_1)
	v_rcp_f32_e32 v3, v1
	v_cndmask_b32_e64 v2, 1.0, 0x4f800000, vcc_lo
	s_waitcnt_depctr 0xfff
	v_fma_f32 v4, -v1, v3, 1.0
	v_dual_mul_f32 v2, v41, v2 :: v_dual_fmac_f32 v3, v4, v3
	s_delay_alu instid0(VALU_DEP_1) | instskip(SKIP_3) | instid1(VALU_DEP_2)
	v_log_f32_e32 v2, v2
	s_waitcnt_depctr 0xfff
	v_mul_f32_e32 v4, 0x3f317217, v2
	v_cmp_gt_f32_e64 s1, 0x7f800000, |v2|
	v_fma_f32 v7, 0x3f317217, v2, -v4
	s_delay_alu instid0(VALU_DEP_1) | instskip(NEXT) | instid1(VALU_DEP_1)
	v_dual_mul_f32 v6, v5, v3 :: v_dual_fmamk_f32 v7, v2, 0x3377d1cf, v7
	v_fma_f32 v8, -v1, v6, v5
	s_delay_alu instid0(VALU_DEP_2) | instskip(NEXT) | instid1(VALU_DEP_2)
	v_add_f32_e32 v4, v4, v7
	v_fmac_f32_e32 v6, v8, v3
	s_delay_alu instid0(VALU_DEP_2) | instskip(NEXT) | instid1(VALU_DEP_2)
	v_cndmask_b32_e64 v2, v2, v4, s1
	v_fma_f32 v1, -v1, v6, v5
	v_cndmask_b32_e64 v4, 0, 0x41b17218, vcc_lo
	s_mov_b32 vcc_lo, s0
	s_delay_alu instid0(VALU_DEP_2) | instskip(NEXT) | instid1(VALU_DEP_2)
	v_div_fmas_f32 v1, v1, v3, v6
	v_sub_f32_e32 v2, v2, v4
	s_delay_alu instid0(VALU_DEP_2) | instskip(NEXT) | instid1(VALU_DEP_1)
	v_div_fixup_f32 v1, v1, v41, -1.0
	v_fmac_f32_e32 v1, v2, v0
	s_delay_alu instid0(VALU_DEP_1) | instskip(NEXT) | instid1(VALU_DEP_1)
	v_mul_f32_e32 v44, 0x3f22f983, v1
	v_fmac_f32_e32 v44, v41, v46
.LBB22_1379:
	s_or_b32 exec_lo, exec_lo, s46
.LBB22_1380:
	s_delay_alu instid0(SALU_CYCLE_1)
	s_or_b32 exec_lo, exec_lo, s45
                                        ; implicit-def: $vgpr41
.LBB22_1381:
	s_and_not1_saveexec_b32 s3, s44
	s_cbranch_execz .LBB22_1391
; %bb.1382:
	v_add_f32_e32 v0, 0xc016cbe4, v41
                                        ; implicit-def: $vgpr3
                                        ; implicit-def: $vgpr2
	s_delay_alu instid0(VALU_DEP_1) | instskip(SKIP_1) | instid1(VALU_DEP_2)
	v_and_b32_e32 v1, 0x7fffffff, v0
	v_cmp_ngt_f32_e64 s4, 0x48000000, |v0|
	v_lshrrev_b32_e32 v5, 23, v1
	s_delay_alu instid0(VALU_DEP_2) | instskip(NEXT) | instid1(SALU_CYCLE_1)
	s_and_saveexec_b32 s0, s4
	s_xor_b32 s5, exec_lo, s0
	s_cbranch_execz .LBB22_1384
; %bb.1383:
	s_mov_b32 s0, 0x7fffff
	v_mov_b32_e32 v4, 0
	v_and_or_b32 v13, v1, s0, 0x800000
	v_add_nc_u32_e32 v11, 0xffffff88, v5
	s_delay_alu instid0(VALU_DEP_2) | instskip(NEXT) | instid1(VALU_DEP_2)
	v_mad_u64_u32 v[2:3], null, 0xfe5163ab, v13, 0
	v_cmp_lt_u32_e32 vcc_lo, 63, v11
	v_cndmask_b32_e64 v12, 0, 0xffffffc0, vcc_lo
	s_delay_alu instid0(VALU_DEP_3) | instskip(NEXT) | instid1(VALU_DEP_1)
	v_mad_u64_u32 v[6:7], null, 0x3c439041, v13, v[3:4]
	v_dual_mov_b32 v3, v7 :: v_dual_add_nc_u32 v12, v12, v11
	s_delay_alu instid0(VALU_DEP_1) | instskip(NEXT) | instid1(VALU_DEP_2)
	v_cmp_lt_u32_e64 s0, 31, v12
	v_mad_u64_u32 v[7:8], null, 0xdb629599, v13, v[3:4]
	s_delay_alu instid0(VALU_DEP_2) | instskip(NEXT) | instid1(VALU_DEP_1)
	v_cndmask_b32_e64 v14, 0, 0xffffffe0, s0
	v_dual_mov_b32 v3, v8 :: v_dual_add_nc_u32 v14, v14, v12
	s_delay_alu instid0(VALU_DEP_3) | instskip(NEXT) | instid1(VALU_DEP_2)
	v_cndmask_b32_e32 v2, v7, v2, vcc_lo
	v_cmp_lt_u32_e64 s1, 31, v14
	s_delay_alu instid0(VALU_DEP_3) | instskip(NEXT) | instid1(VALU_DEP_1)
	v_mad_u64_u32 v[8:9], null, 0xf534ddc0, v13, v[3:4]
	v_dual_mov_b32 v3, v9 :: v_dual_cndmask_b32 v6, v8, v6
	s_delay_alu instid0(VALU_DEP_1) | instskip(NEXT) | instid1(VALU_DEP_2)
	v_mad_u64_u32 v[9:10], null, 0xfc2757d1, v13, v[3:4]
	v_cndmask_b32_e64 v2, v6, v2, s0
	s_delay_alu instid0(VALU_DEP_2) | instskip(NEXT) | instid1(VALU_DEP_1)
	v_mov_b32_e32 v3, v10
	v_mad_u64_u32 v[10:11], null, 0x4e441529, v13, v[3:4]
	s_delay_alu instid0(VALU_DEP_1) | instskip(NEXT) | instid1(VALU_DEP_1)
	v_mov_b32_e32 v3, v11
	v_mad_u64_u32 v[11:12], null, 0xa2f9836e, v13, v[3:4]
	v_cndmask_b32_e64 v3, 0, 0xffffffe0, s1
	s_delay_alu instid0(VALU_DEP_1) | instskip(NEXT) | instid1(VALU_DEP_3)
	v_dual_cndmask_b32 v4, v10, v8 :: v_dual_add_nc_u32 v3, v3, v14
	v_dual_cndmask_b32 v11, v11, v9 :: v_dual_cndmask_b32 v10, v12, v10
	v_cndmask_b32_e32 v9, v9, v7, vcc_lo
	s_delay_alu instid0(VALU_DEP_3) | instskip(NEXT) | instid1(VALU_DEP_3)
	v_cmp_eq_u32_e64 s2, 0, v3
	v_cndmask_b32_e64 v8, v11, v4, s0
	s_delay_alu instid0(VALU_DEP_4) | instskip(NEXT) | instid1(VALU_DEP_4)
	v_cndmask_b32_e64 v10, v10, v11, s0
	v_cndmask_b32_e64 v4, v4, v9, s0
	v_sub_nc_u32_e32 v11, 32, v3
	v_cndmask_b32_e64 v9, v9, v6, s0
	s_delay_alu instid0(VALU_DEP_4) | instskip(NEXT) | instid1(VALU_DEP_4)
	v_cndmask_b32_e64 v10, v10, v8, s1
	v_cndmask_b32_e64 v8, v8, v4, s1
	s_delay_alu instid0(VALU_DEP_3) | instskip(SKIP_1) | instid1(VALU_DEP_3)
	v_cndmask_b32_e64 v4, v4, v9, s1
	v_cndmask_b32_e64 v2, v9, v2, s1
	v_alignbit_b32 v12, v10, v8, v11
	s_delay_alu instid0(VALU_DEP_3) | instskip(NEXT) | instid1(VALU_DEP_3)
	v_alignbit_b32 v13, v8, v4, v11
	v_alignbit_b32 v11, v4, v2, v11
	s_delay_alu instid0(VALU_DEP_3) | instskip(NEXT) | instid1(VALU_DEP_3)
	v_cndmask_b32_e64 v3, v12, v10, s2
	v_cndmask_b32_e64 v7, v13, v8, s2
	s_delay_alu instid0(VALU_DEP_3) | instskip(NEXT) | instid1(VALU_DEP_3)
	v_cndmask_b32_e64 v4, v11, v4, s2
	v_bfe_u32 v8, v3, 29, 1
	s_delay_alu instid0(VALU_DEP_3) | instskip(NEXT) | instid1(VALU_DEP_3)
	v_alignbit_b32 v6, v3, v7, 30
	v_alignbit_b32 v7, v7, v4, 30
	v_alignbit_b32 v2, v4, v2, 30
	s_delay_alu instid0(VALU_DEP_4) | instskip(NEXT) | instid1(VALU_DEP_1)
	v_sub_nc_u32_e32 v10, 0, v8
	v_xor_b32_e32 v9, v6, v10
	v_cmp_ne_u32_e32 vcc_lo, v6, v10
	v_xor_b32_e32 v4, v7, v10
	v_xor_b32_e32 v2, v2, v10
	s_delay_alu instid0(VALU_DEP_4) | instskip(NEXT) | instid1(VALU_DEP_1)
	v_clz_i32_u32_e32 v12, v9
	v_add_nc_u32_e32 v11, 1, v12
	s_delay_alu instid0(VALU_DEP_1) | instskip(NEXT) | instid1(VALU_DEP_1)
	v_cndmask_b32_e32 v6, 33, v11, vcc_lo
	v_sub_nc_u32_e32 v7, 32, v6
	s_delay_alu instid0(VALU_DEP_1) | instskip(SKIP_3) | instid1(VALU_DEP_3)
	v_alignbit_b32 v9, v9, v4, v7
	v_alignbit_b32 v2, v4, v2, v7
	v_lshrrev_b32_e32 v4, 29, v3
	v_lshrrev_b32_e32 v3, 30, v3
	v_alignbit_b32 v7, v9, v2, 9
	s_delay_alu instid0(VALU_DEP_3) | instskip(SKIP_1) | instid1(VALU_DEP_4)
	v_lshlrev_b32_e32 v4, 31, v4
	v_alignbit_b32 v9, v6, v9, 9
	v_add_nc_u32_e32 v3, v8, v3
	s_delay_alu instid0(VALU_DEP_4) | instskip(NEXT) | instid1(VALU_DEP_3)
	v_clz_i32_u32_e32 v10, v7
	v_or_b32_e32 v9, v9, v4
	v_or_b32_e32 v4, 0x33800000, v4
	s_delay_alu instid0(VALU_DEP_3) | instskip(NEXT) | instid1(VALU_DEP_3)
	v_min_u32_e32 v10, 32, v10
	v_xor_b32_e32 v9, 1.0, v9
	s_delay_alu instid0(VALU_DEP_2) | instskip(SKIP_1) | instid1(VALU_DEP_3)
	v_sub_nc_u32_e32 v11, 31, v10
	v_add_lshl_u32 v6, v10, v6, 23
	v_mul_f32_e32 v10, 0x3fc90fda, v9
	s_delay_alu instid0(VALU_DEP_3) | instskip(NEXT) | instid1(VALU_DEP_3)
	v_alignbit_b32 v2, v7, v2, v11
	v_sub_nc_u32_e32 v4, v4, v6
	s_delay_alu instid0(VALU_DEP_3) | instskip(NEXT) | instid1(VALU_DEP_3)
	v_fma_f32 v6, 0x3fc90fda, v9, -v10
	v_lshrrev_b32_e32 v2, 9, v2
	s_delay_alu instid0(VALU_DEP_2) | instskip(NEXT) | instid1(VALU_DEP_2)
	v_fmamk_f32 v6, v9, 0x33a22168, v6
	v_or_b32_e32 v2, v4, v2
	s_delay_alu instid0(VALU_DEP_1) | instskip(NEXT) | instid1(VALU_DEP_1)
	v_fmac_f32_e32 v6, 0x3fc90fda, v2
	v_add_f32_e32 v2, v10, v6
	s_or_saveexec_b32 s0, s5
	v_mul_f32_e64 v7, 0x3f22f983, |v0|
	s_xor_b32 exec_lo, exec_lo, s0
	s_branch .LBB22_1385
.LBB22_1384:
	s_or_saveexec_b32 s0, s5
	v_mul_f32_e64 v7, 0x3f22f983, |v0|
	s_xor_b32 exec_lo, exec_lo, s0
.LBB22_1385:
	s_delay_alu instid0(VALU_DEP_1) | instskip(NEXT) | instid1(VALU_DEP_1)
	v_rndne_f32_e32 v3, v7
	v_fma_f32 v2, 0xbfc90fda, v3, |v0|
	s_delay_alu instid0(VALU_DEP_1) | instskip(NEXT) | instid1(VALU_DEP_1)
	v_fmamk_f32 v2, v3, 0xb3a22168, v2
	v_fmamk_f32 v2, v3, 0xa7c234c4, v2
	v_cvt_i32_f32_e32 v3, v3
; %bb.1386:
	s_or_b32 exec_lo, exec_lo, s0
                                        ; implicit-def: $vgpr6
                                        ; implicit-def: $vgpr4
	s_and_saveexec_b32 s0, s4
	s_delay_alu instid0(SALU_CYCLE_1)
	s_xor_b32 s4, exec_lo, s0
	s_cbranch_execz .LBB22_1388
; %bb.1387:
	s_mov_b32 s0, 0x7fffff
	v_mov_b32_e32 v8, 0
	v_and_or_b32 v15, v1, s0, 0x800000
	s_delay_alu instid0(VALU_DEP_1) | instskip(NEXT) | instid1(VALU_DEP_1)
	v_mad_u64_u32 v[6:7], null, 0xfe5163ab, v15, 0
	v_mad_u64_u32 v[9:10], null, 0x3c439041, v15, v[7:8]
	s_delay_alu instid0(VALU_DEP_1) | instskip(NEXT) | instid1(VALU_DEP_1)
	v_mov_b32_e32 v7, v10
	v_mad_u64_u32 v[10:11], null, 0xdb629599, v15, v[7:8]
	s_delay_alu instid0(VALU_DEP_1) | instskip(NEXT) | instid1(VALU_DEP_1)
	v_mov_b32_e32 v7, v11
	v_mad_u64_u32 v[11:12], null, 0xf534ddc0, v15, v[7:8]
	s_delay_alu instid0(VALU_DEP_1) | instskip(NEXT) | instid1(VALU_DEP_1)
	v_dual_mov_b32 v7, v12 :: v_dual_add_nc_u32 v12, 0xffffff88, v5
	v_mad_u64_u32 v[4:5], null, 0xfc2757d1, v15, v[7:8]
	s_delay_alu instid0(VALU_DEP_2) | instskip(SKIP_1) | instid1(VALU_DEP_3)
	v_cmp_lt_u32_e32 vcc_lo, 63, v12
	v_cndmask_b32_e64 v13, 0, 0xffffffc0, vcc_lo
	v_dual_mov_b32 v7, v5 :: v_dual_cndmask_b32 v6, v10, v6
	s_delay_alu instid0(VALU_DEP_2) | instskip(NEXT) | instid1(VALU_DEP_2)
	v_add_nc_u32_e32 v5, v13, v12
	v_mad_u64_u32 v[12:13], null, 0x4e441529, v15, v[7:8]
	s_delay_alu instid0(VALU_DEP_2) | instskip(NEXT) | instid1(VALU_DEP_2)
	v_cmp_lt_u32_e64 s0, 31, v5
	v_mov_b32_e32 v7, v13
	s_delay_alu instid0(VALU_DEP_2) | instskip(NEXT) | instid1(VALU_DEP_1)
	v_cndmask_b32_e64 v14, 0, 0xffffffe0, s0
	v_add_nc_u32_e32 v5, v14, v5
	s_delay_alu instid0(VALU_DEP_3) | instskip(SKIP_1) | instid1(VALU_DEP_3)
	v_mad_u64_u32 v[13:14], null, 0xa2f9836e, v15, v[7:8]
	v_cndmask_b32_e32 v8, v12, v11, vcc_lo
	v_cmp_lt_u32_e64 s1, 31, v5
	s_delay_alu instid0(VALU_DEP_3) | instskip(NEXT) | instid1(VALU_DEP_2)
	v_cndmask_b32_e32 v13, v13, v4, vcc_lo
	v_cndmask_b32_e64 v7, 0, 0xffffffe0, s1
	v_cndmask_b32_e32 v12, v14, v12, vcc_lo
	s_delay_alu instid0(VALU_DEP_2) | instskip(SKIP_2) | instid1(VALU_DEP_4)
	v_dual_cndmask_b32 v4, v4, v10 :: v_dual_add_nc_u32 v5, v7, v5
	v_cndmask_b32_e32 v7, v11, v9, vcc_lo
	v_cndmask_b32_e64 v9, v13, v8, s0
	v_cndmask_b32_e64 v11, v12, v13, s0
	s_delay_alu instid0(VALU_DEP_4)
	v_cndmask_b32_e64 v8, v8, v4, s0
	v_sub_nc_u32_e32 v12, 32, v5
	v_cndmask_b32_e64 v4, v4, v7, s0
	v_cmp_eq_u32_e64 s2, 0, v5
	v_cndmask_b32_e64 v11, v11, v9, s1
	v_cndmask_b32_e64 v9, v9, v8, s1
	;; [unrolled: 1-line block ×4, first 2 shown]
	s_delay_alu instid0(VALU_DEP_3) | instskip(NEXT) | instid1(VALU_DEP_3)
	v_alignbit_b32 v13, v11, v9, v12
	v_cndmask_b32_e64 v4, v4, v6, s1
	s_delay_alu instid0(VALU_DEP_3) | instskip(NEXT) | instid1(VALU_DEP_3)
	v_alignbit_b32 v14, v9, v8, v12
	v_cndmask_b32_e64 v5, v13, v11, s2
	;; [unrolled: 3-line block ×3, first 2 shown]
	s_delay_alu instid0(VALU_DEP_3) | instskip(NEXT) | instid1(VALU_DEP_3)
	v_bfe_u32 v10, v5, 29, 1
	v_cndmask_b32_e64 v8, v12, v8, s2
	s_delay_alu instid0(VALU_DEP_3) | instskip(NEXT) | instid1(VALU_DEP_3)
	v_alignbit_b32 v7, v5, v9, 30
	v_sub_nc_u32_e32 v11, 0, v10
	s_delay_alu instid0(VALU_DEP_3) | instskip(SKIP_1) | instid1(VALU_DEP_3)
	v_alignbit_b32 v9, v9, v8, 30
	v_alignbit_b32 v4, v8, v4, 30
	v_xor_b32_e32 v6, v7, v11
	v_cmp_ne_u32_e32 vcc_lo, v7, v11
	s_delay_alu instid0(VALU_DEP_4) | instskip(NEXT) | instid1(VALU_DEP_4)
	v_xor_b32_e32 v8, v9, v11
	v_xor_b32_e32 v4, v4, v11
	s_delay_alu instid0(VALU_DEP_4) | instskip(NEXT) | instid1(VALU_DEP_1)
	v_clz_i32_u32_e32 v13, v6
	v_add_nc_u32_e32 v12, 1, v13
	s_delay_alu instid0(VALU_DEP_1) | instskip(NEXT) | instid1(VALU_DEP_1)
	v_cndmask_b32_e32 v7, 33, v12, vcc_lo
	v_sub_nc_u32_e32 v9, 32, v7
	s_delay_alu instid0(VALU_DEP_1) | instskip(SKIP_3) | instid1(VALU_DEP_3)
	v_alignbit_b32 v6, v6, v8, v9
	v_alignbit_b32 v4, v8, v4, v9
	v_lshrrev_b32_e32 v8, 29, v5
	v_lshrrev_b32_e32 v5, 30, v5
	v_alignbit_b32 v9, v6, v4, 9
	s_delay_alu instid0(VALU_DEP_3) | instskip(SKIP_1) | instid1(VALU_DEP_3)
	v_lshlrev_b32_e32 v8, 31, v8
	v_alignbit_b32 v6, v7, v6, 9
	v_clz_i32_u32_e32 v11, v9
	s_delay_alu instid0(VALU_DEP_2) | instskip(SKIP_1) | instid1(VALU_DEP_3)
	v_or_b32_e32 v6, v6, v8
	v_or_b32_e32 v8, 0x33800000, v8
	v_min_u32_e32 v11, 32, v11
	s_delay_alu instid0(VALU_DEP_3) | instskip(NEXT) | instid1(VALU_DEP_2)
	v_xor_b32_e32 v6, 1.0, v6
	v_sub_nc_u32_e32 v12, 31, v11
	v_add_lshl_u32 v7, v11, v7, 23
	s_delay_alu instid0(VALU_DEP_3) | instskip(NEXT) | instid1(VALU_DEP_3)
	v_mul_f32_e32 v11, 0x3fc90fda, v6
	v_alignbit_b32 v4, v9, v4, v12
	s_delay_alu instid0(VALU_DEP_3) | instskip(NEXT) | instid1(VALU_DEP_3)
	v_sub_nc_u32_e32 v7, v8, v7
	v_fma_f32 v8, 0x3fc90fda, v6, -v11
	s_delay_alu instid0(VALU_DEP_3) | instskip(NEXT) | instid1(VALU_DEP_2)
	v_lshrrev_b32_e32 v4, 9, v4
	v_fmamk_f32 v6, v6, 0x33a22168, v8
	s_delay_alu instid0(VALU_DEP_2) | instskip(NEXT) | instid1(VALU_DEP_1)
	v_or_b32_e32 v4, v7, v4
                                        ; implicit-def: $vgpr7
	v_fmac_f32_e32 v6, 0x3fc90fda, v4
	s_delay_alu instid0(VALU_DEP_1)
	v_add_f32_e32 v4, v11, v6
	v_add_nc_u32_e32 v6, v10, v5
	s_and_not1_saveexec_b32 s0, s4
	s_cbranch_execnz .LBB22_1389
	s_branch .LBB22_1390
.LBB22_1388:
	s_and_not1_saveexec_b32 s0, s4
.LBB22_1389:
	v_rndne_f32_e32 v5, v7
	s_delay_alu instid0(VALU_DEP_1) | instskip(SKIP_1) | instid1(VALU_DEP_2)
	v_fma_f32 v4, 0xbfc90fda, v5, |v0|
	v_cvt_i32_f32_e32 v6, v5
	v_fmamk_f32 v4, v5, 0xb3a22168, v4
	s_delay_alu instid0(VALU_DEP_1)
	v_fmamk_f32 v4, v5, 0xa7c234c4, v4
.LBB22_1390:
	s_or_b32 exec_lo, exec_lo, s0
	v_div_scale_f32 v5, null, v41, v41, 0x40a00000
	v_div_scale_f32 v9, vcc_lo, 0x40a00000, v41, 0x40a00000
	s_mov_b32 s0, 0xb94c1982
	s_delay_alu instid0(VALU_DEP_2) | instskip(SKIP_4) | instid1(VALU_DEP_1)
	v_rcp_f32_e32 v7, v5
	s_mov_b32 s1, 0x37d75334
	v_xor_b32_e32 v1, v1, v0
	s_waitcnt_depctr 0xfff
	v_fma_f32 v8, -v5, v7, 1.0
	v_fmac_f32_e32 v7, v8, v7
	s_delay_alu instid0(VALU_DEP_1) | instskip(NEXT) | instid1(VALU_DEP_1)
	v_mul_f32_e32 v8, v9, v7
	v_fma_f32 v10, -v5, v8, v9
	s_delay_alu instid0(VALU_DEP_1) | instskip(SKIP_1) | instid1(VALU_DEP_2)
	v_fmac_f32_e32 v8, v10, v7
	v_mul_f32_e32 v10, v4, v4
	v_fma_f32 v5, -v5, v8, v9
	s_delay_alu instid0(VALU_DEP_2) | instskip(SKIP_1) | instid1(VALU_DEP_3)
	v_fmaak_f32 v19, s0, v10, 0x3c0881c4
	v_fmaak_f32 v20, s1, v10, 0xbab64f3b
	v_div_fmas_f32 v5, v5, v7, v8
	v_mul_f32_e32 v7, v2, v2
	s_delay_alu instid0(VALU_DEP_4)
	v_fmaak_f32 v19, v10, v19, 0xbe2aaa9d
	v_mul_f32_e32 v16, 0x4f800000, v41
	v_fmaak_f32 v20, v10, v20, 0x3d2aabf7
	v_div_fixup_f32 v5, v5, v41, 0x40a00000
	v_fmaak_f32 v17, s0, v7, 0x3c0881c4
	v_cmp_gt_f32_e64 s0, 0xf800000, v41
	v_fmaak_f32 v18, s1, v7, 0xbab64f3b
	v_mul_f32_e32 v19, v10, v19
	v_dual_mul_f32 v9, v5, v5 :: v_dual_and_b32 v8, 1, v3
	v_lshlrev_b32_e32 v3, 30, v3
	v_and_b32_e32 v11, 1, v6
	v_cndmask_b32_e64 v16, v41, v16, s0
	s_delay_alu instid0(VALU_DEP_4) | instskip(SKIP_3) | instid1(VALU_DEP_4)
	v_fmaak_f32 v14, 0, v9, 0x3a47c962
	v_fmaak_f32 v13, 0, v9, 0x3a15c4d9
	;; [unrolled: 1-line block ×3, first 2 shown]
	v_dual_fmaak_f32 v15, 0, v9, 0x42947983 :: v_dual_lshlrev_b32 v6, 30, v6
	v_fmaak_f32 v14, v9, v14, 0x3d95ca45
	s_delay_alu instid0(VALU_DEP_4) | instskip(SKIP_2) | instid1(VALU_DEP_3)
	v_dual_fmaak_f32 v13, v9, v13, 0x3d8cfeeb :: v_dual_fmac_f32 v4, v4, v19
	v_sqrt_f32_e32 v24, v16
	v_fmaak_f32 v17, v7, v17, 0xbe2aaa9d
	v_fmaak_f32 v14, v9, v14, 0x3f9047f6
	s_delay_alu instid0(VALU_DEP_3)
	v_fmaak_f32 v13, v9, v13, 0x3f8d754e
	v_fmaak_f32 v12, v9, v12, 0x409f6dae
	;; [unrolled: 1-line block ×3, first 2 shown]
	v_mul_f32_e32 v17, v7, v17
	v_fmaak_f32 v15, v9, v15, 0x44840e5d
	v_fmaak_f32 v20, v10, v20, 0xbf000004
	v_cmp_eq_u32_e64 s2, 0, v8
	v_fmaak_f32 v18, v7, v18, 0xbf000004
	v_fmac_f32_e32 v2, v2, v17
	v_fmaak_f32 v13, v9, v13, 0x40a25d18
	v_fmaak_f32 v15, v9, v15, 0x459bd349
	v_fma_f32 v10, v10, v20, 1.0
	v_fma_f32 v7, v7, v18, 1.0
	v_and_b32_e32 v3, 0x80000000, v3
	v_dual_fmaak_f32 v14, v9, v14, 0x40a39628 :: v_dual_add_nc_u32 v19, -1, v24
	v_fmaak_f32 v13, v9, v13, 0x410665cf
	v_fmaak_f32 v15, v9, v15, 0x46156947
	v_cndmask_b32_e64 v2, v7, v2, s2
	v_cmp_eq_u32_e64 s2, 0, v11
	v_fmaak_f32 v14, v9, v14, 0x4106c8e4
	v_fmaak_f32 v13, v9, v13, 0x40a6b6ea
	;; [unrolled: 1-line block ×3, first 2 shown]
	v_fma_f32 v7, -v19, v24, v16
	v_cndmask_b32_e64 v4, -v4, v10, s2
	v_fmaak_f32 v14, v9, v14, 0x40a6dd51
	v_fma_f32 v13, v9, v13, 1.0
	v_fmaak_f32 v15, v9, v15, 0x4530a316
	v_xor3_b32 v1, v1, v3, v2
	v_and_b32_e32 v6, 0x80000000, v6
	v_fma_f32 v14, v9, v14, 1.0
	s_delay_alu instid0(VALU_DEP_4) | instskip(NEXT) | instid1(VALU_DEP_3)
	v_fmaak_f32 v15, v9, v15, 0x43a80bfb
	v_xor_b32_e32 v4, v6, v4
	s_delay_alu instid0(VALU_DEP_3) | instskip(SKIP_1) | instid1(VALU_DEP_1)
	v_div_scale_f32 v27, vcc_lo, v14, v13, v14
	v_fmaak_f32 v12, v9, v12, 0x4297a5cd
	v_fmaak_f32 v12, v9, v12, 0x43b763ca
	s_delay_alu instid0(VALU_DEP_1) | instskip(NEXT) | instid1(VALU_DEP_1)
	v_fmaak_f32 v12, v9, v12, 0x4431b6ce
	v_fmaak_f32 v12, v9, v12, 0x44155f56
	s_delay_alu instid0(VALU_DEP_1) | instskip(NEXT) | instid1(VALU_DEP_1)
	v_fmaak_f32 v12, v9, v12, 0x4353b052
	v_fmaak_f32 v9, v9, v12, 0x41c9a7fa
	v_div_scale_f32 v12, null, v13, v13, v14
	s_delay_alu instid0(VALU_DEP_2) | instskip(NEXT) | instid1(VALU_DEP_2)
	v_div_scale_f32 v21, null, v15, v15, v9
	v_rcp_f32_e32 v22, v12
	s_delay_alu instid0(VALU_DEP_1) | instskip(SKIP_3) | instid1(VALU_DEP_2)
	v_rcp_f32_e32 v23, v21
	s_waitcnt_depctr 0xfff
	v_fma_f32 v25, -v12, v22, 1.0
	v_fma_f32 v26, -v21, v23, 1.0
	v_fmac_f32_e32 v22, v25, v22
	v_div_scale_f32 v25, s1, v9, v15, v9
	s_delay_alu instid0(VALU_DEP_3) | instskip(NEXT) | instid1(VALU_DEP_1)
	v_dual_fmac_f32 v23, v26, v23 :: v_dual_add_nc_u32 v26, 1, v24
	v_dual_mul_f32 v17, v27, v22 :: v_dual_mul_f32 v18, v25, v23
	s_delay_alu instid0(VALU_DEP_2) | instskip(NEXT) | instid1(VALU_DEP_2)
	v_fma_f32 v8, -v26, v24, v16
	v_fma_f32 v20, -v12, v17, v27
	s_delay_alu instid0(VALU_DEP_3) | instskip(NEXT) | instid1(VALU_DEP_2)
	v_fma_f32 v28, -v21, v18, v25
	v_fmac_f32_e32 v17, v20, v22
	s_delay_alu instid0(VALU_DEP_2) | instskip(NEXT) | instid1(VALU_DEP_2)
	v_fmac_f32_e32 v18, v28, v23
	v_fma_f32 v10, -v12, v17, v27
	s_delay_alu instid0(VALU_DEP_2) | instskip(NEXT) | instid1(VALU_DEP_2)
	v_fma_f32 v2, -v21, v18, v25
	v_div_fmas_f32 v3, v10, v22, v17
	s_mov_b32 vcc_lo, s1
	v_cmp_lt_f32_e64 s1, 0, v8
	s_delay_alu instid0(VALU_DEP_3)
	v_div_fmas_f32 v2, v2, v23, v18
	v_cmp_ge_f32_e32 vcc_lo, 0, v7
	v_div_fixup_f32 v3, v3, v13, v14
	v_cndmask_b32_e32 v6, v24, v19, vcc_lo
	v_cmp_class_f32_e64 vcc_lo, v0, 0x1f8
	v_div_fixup_f32 v0, v2, v15, v9
	s_delay_alu instid0(VALU_DEP_3) | instskip(SKIP_1) | instid1(VALU_DEP_3)
	v_cndmask_b32_e64 v2, v6, v26, s1
	v_cndmask_b32_e32 v4, 0x7fc00000, v4, vcc_lo
	v_dual_mul_f32 v0, v5, v0 :: v_dual_cndmask_b32 v1, 0x7fc00000, v1
	v_cmp_class_f32_e64 vcc_lo, v16, 0x260
	s_delay_alu instid0(VALU_DEP_2) | instskip(NEXT) | instid1(VALU_DEP_1)
	v_dual_mul_f32 v5, 0x37800000, v2 :: v_dual_mul_f32 v0, v0, v4
	v_cndmask_b32_e64 v2, v2, v5, s0
	s_delay_alu instid0(VALU_DEP_1) | instskip(NEXT) | instid1(VALU_DEP_1)
	v_dual_fmac_f32 v0, v3, v1 :: v_dual_cndmask_b32 v1, v2, v16
	v_mul_f32_e32 v0, 0x3f4c422a, v0
	s_delay_alu instid0(VALU_DEP_1) | instskip(NEXT) | instid1(VALU_DEP_1)
	v_div_scale_f32 v2, null, v1, v1, v0
	v_rcp_f32_e32 v3, v2
	s_waitcnt_depctr 0xfff
	v_fma_f32 v4, -v2, v3, 1.0
	s_delay_alu instid0(VALU_DEP_1) | instskip(SKIP_1) | instid1(VALU_DEP_1)
	v_fmac_f32_e32 v3, v4, v3
	v_div_scale_f32 v4, vcc_lo, v0, v1, v0
	v_mul_f32_e32 v5, v4, v3
	s_delay_alu instid0(VALU_DEP_1) | instskip(NEXT) | instid1(VALU_DEP_1)
	v_fma_f32 v6, -v2, v5, v4
	v_fmac_f32_e32 v5, v6, v3
	s_delay_alu instid0(VALU_DEP_1) | instskip(NEXT) | instid1(VALU_DEP_1)
	v_fma_f32 v2, -v2, v5, v4
	v_div_fmas_f32 v2, v2, v3, v5
	s_delay_alu instid0(VALU_DEP_1)
	v_div_fixup_f32 v44, v2, v1, v0
.LBB22_1391:
	s_or_b32 exec_lo, exec_lo, s3
	v_add_nc_u32_e32 v0, 0x100, v45
	v_cmp_gt_i16_e32 vcc_lo, 11, v47
	s_delay_alu instid0(VALU_DEP_2) | instskip(NEXT) | instid1(VALU_DEP_1)
	v_mul_lo_u32 v0, s41, v0
	v_ashrrev_i32_e32 v1, 31, v0
	v_add_co_u32 v0, s0, s38, v0
	s_delay_alu instid0(VALU_DEP_1)
	v_add_co_ci_u32_e64 v1, s0, s39, v1, s0
	s_cbranch_vccnz .LBB22_1398
; %bb.1392:
	v_cmp_lt_i16_e32 vcc_lo, 25, v47
	s_mov_b32 s1, 0
	s_cbranch_vccz .LBB22_1404
; %bb.1393:
	v_cmp_lt_i16_e32 vcc_lo, 28, v47
	s_cbranch_vccz .LBB22_1406
; %bb.1394:
	v_cmp_lt_i16_e32 vcc_lo, 43, v47
	;; [unrolled: 3-line block ×3, first 2 shown]
	s_cbranch_vccz .LBB22_1412
; %bb.1396:
	v_cmp_eq_u16_e32 vcc_lo, 46, v47
	s_mov_b32 s3, 0
	s_cbranch_vccz .LBB22_1455
; %bb.1397:
	global_load_b32 v2, v[0:1], off
	s_mov_b32 s0, 0
	s_mov_b32 s2, -1
	s_waitcnt vmcnt(0)
	v_lshlrev_b32_e32 v41, 16, v2
	s_branch .LBB22_1457
.LBB22_1398:
	s_mov_b32 s2, 0
                                        ; implicit-def: $vgpr41
	s_cbranch_execz .LBB22_1523
; %bb.1399:
	v_cmp_gt_i16_e32 vcc_lo, 5, v47
	s_cbranch_vccnz .LBB22_1405
; %bb.1400:
	v_cmp_gt_i16_e32 vcc_lo, 8, v47
	s_cbranch_vccnz .LBB22_1407
	;; [unrolled: 3-line block ×3, first 2 shown]
; %bb.1402:
	v_cmp_lt_i16_e32 vcc_lo, 9, v47
	s_cbranch_vccz .LBB22_1413
; %bb.1403:
	global_load_b64 v[2:3], v[0:1], off
	s_mov_b32 s0, 0
	s_waitcnt vmcnt(0)
	v_cvt_f32_f64_e32 v41, v[2:3]
	s_branch .LBB22_1414
.LBB22_1404:
	s_mov_b32 s3, -1
	s_mov_b32 s2, 0
	s_mov_b32 s0, 0
                                        ; implicit-def: $vgpr41
	s_branch .LBB22_1486
.LBB22_1405:
	s_mov_b32 s0, -1
                                        ; implicit-def: $vgpr41
	s_branch .LBB22_1432
.LBB22_1406:
	s_mov_b32 s3, -1
	s_mov_b32 s2, 0
	s_mov_b32 s0, 0
                                        ; implicit-def: $vgpr41
	s_branch .LBB22_1467
.LBB22_1407:
	s_mov_b32 s0, -1
                                        ; implicit-def: $vgpr41
	s_branch .LBB22_1420
.LBB22_1408:
	s_mov_b32 s3, -1
	s_mov_b32 s2, 0
	s_mov_b32 s0, 0
                                        ; implicit-def: $vgpr41
	s_branch .LBB22_1462
.LBB22_1409:
	s_mov_b32 s0, -1
                                        ; implicit-def: $vgpr41
	s_branch .LBB22_1417
.LBB22_1410:
	s_cbranch_execnz .LBB22_1453
; %bb.1411:
	s_or_b32 s35, s35, exec_lo
                                        ; implicit-def: $vgpr41
	s_cbranch_execz .LBB22_1372
	s_branch .LBB22_1373
.LBB22_1412:
	s_mov_b32 s3, -1
	s_mov_b32 s2, 0
	s_mov_b32 s0, 0
	s_branch .LBB22_1456
.LBB22_1413:
	s_mov_b32 s0, -1
                                        ; implicit-def: $vgpr41
.LBB22_1414:
	s_delay_alu instid0(SALU_CYCLE_1)
	s_and_not1_b32 vcc_lo, exec_lo, s0
	s_cbranch_vccnz .LBB22_1416
; %bb.1415:
	global_load_b32 v41, v[0:1], off
.LBB22_1416:
	s_mov_b32 s0, 0
.LBB22_1417:
	s_delay_alu instid0(SALU_CYCLE_1)
	s_and_not1_b32 vcc_lo, exec_lo, s0
	s_cbranch_vccnz .LBB22_1419
; %bb.1418:
	global_load_b32 v2, v[0:1], off
	s_waitcnt vmcnt(0)
	v_cvt_f32_f16_e32 v41, v2
.LBB22_1419:
	s_mov_b32 s0, 0
.LBB22_1420:
	s_delay_alu instid0(SALU_CYCLE_1)
	s_and_not1_b32 vcc_lo, exec_lo, s0
	s_cbranch_vccnz .LBB22_1431
; %bb.1421:
	v_cmp_gt_i16_e32 vcc_lo, 6, v47
	s_cbranch_vccnz .LBB22_1424
; %bb.1422:
	v_cmp_lt_i16_e32 vcc_lo, 6, v47
	s_cbranch_vccz .LBB22_1425
; %bb.1423:
	global_load_b64 v[2:3], v[0:1], off
	s_mov_b32 s0, 0
	s_waitcnt vmcnt(0)
	v_cvt_f32_f64_e32 v41, v[2:3]
	s_branch .LBB22_1426
.LBB22_1424:
	s_mov_b32 s0, -1
                                        ; implicit-def: $vgpr41
	s_branch .LBB22_1429
.LBB22_1425:
	s_mov_b32 s0, -1
                                        ; implicit-def: $vgpr41
.LBB22_1426:
	s_delay_alu instid0(SALU_CYCLE_1)
	s_and_not1_b32 vcc_lo, exec_lo, s0
	s_cbranch_vccnz .LBB22_1428
; %bb.1427:
	global_load_b32 v41, v[0:1], off
.LBB22_1428:
	s_mov_b32 s0, 0
.LBB22_1429:
	s_delay_alu instid0(SALU_CYCLE_1)
	s_and_not1_b32 vcc_lo, exec_lo, s0
	s_cbranch_vccnz .LBB22_1431
; %bb.1430:
	global_load_u16 v2, v[0:1], off
	s_waitcnt vmcnt(0)
	v_cvt_f32_f16_e32 v41, v2
.LBB22_1431:
	s_mov_b32 s0, 0
.LBB22_1432:
	s_delay_alu instid0(SALU_CYCLE_1)
	s_and_not1_b32 vcc_lo, exec_lo, s0
	s_cbranch_vccnz .LBB22_1452
; %bb.1433:
	v_cmp_gt_i16_e32 vcc_lo, 2, v47
	s_cbranch_vccnz .LBB22_1437
; %bb.1434:
	v_cmp_gt_i16_e32 vcc_lo, 3, v47
	s_cbranch_vccnz .LBB22_1438
; %bb.1435:
	v_cmp_lt_i16_e32 vcc_lo, 3, v47
	s_cbranch_vccz .LBB22_1439
; %bb.1436:
	global_load_b64 v[2:3], v[0:1], off
	s_mov_b32 s0, 0
	s_waitcnt vmcnt(0)
	v_xor_b32_e32 v4, v2, v3
	v_cls_i32_e32 v5, v3
	s_delay_alu instid0(VALU_DEP_2) | instskip(NEXT) | instid1(VALU_DEP_2)
	v_ashrrev_i32_e32 v4, 31, v4
	v_add_nc_u32_e32 v5, -1, v5
	s_delay_alu instid0(VALU_DEP_2) | instskip(NEXT) | instid1(VALU_DEP_1)
	v_add_nc_u32_e32 v4, 32, v4
	v_min_u32_e32 v4, v5, v4
	s_delay_alu instid0(VALU_DEP_1) | instskip(NEXT) | instid1(VALU_DEP_1)
	v_lshlrev_b64 v[2:3], v4, v[2:3]
	v_min_u32_e32 v2, 1, v2
	s_delay_alu instid0(VALU_DEP_1) | instskip(SKIP_1) | instid1(VALU_DEP_2)
	v_or_b32_e32 v2, v3, v2
	v_sub_nc_u32_e32 v3, 32, v4
	v_cvt_f32_i32_e32 v2, v2
	s_delay_alu instid0(VALU_DEP_1)
	v_ldexp_f32 v41, v2, v3
	s_branch .LBB22_1440
.LBB22_1437:
	s_mov_b32 s0, -1
                                        ; implicit-def: $vgpr41
	s_branch .LBB22_1446
.LBB22_1438:
	s_mov_b32 s0, -1
                                        ; implicit-def: $vgpr41
	s_branch .LBB22_1443
.LBB22_1439:
	s_mov_b32 s0, -1
                                        ; implicit-def: $vgpr41
.LBB22_1440:
	s_delay_alu instid0(SALU_CYCLE_1)
	s_and_not1_b32 vcc_lo, exec_lo, s0
	s_cbranch_vccnz .LBB22_1442
; %bb.1441:
	global_load_b32 v2, v[0:1], off
	s_waitcnt vmcnt(0)
	v_cvt_f32_i32_e32 v41, v2
.LBB22_1442:
	s_mov_b32 s0, 0
.LBB22_1443:
	s_delay_alu instid0(SALU_CYCLE_1)
	s_and_not1_b32 vcc_lo, exec_lo, s0
	s_cbranch_vccnz .LBB22_1445
; %bb.1444:
	global_load_i16 v2, v[0:1], off
	s_waitcnt vmcnt(0)
	v_cvt_f32_i32_e32 v41, v2
.LBB22_1445:
	s_mov_b32 s0, 0
.LBB22_1446:
	s_delay_alu instid0(SALU_CYCLE_1)
	s_and_not1_b32 vcc_lo, exec_lo, s0
	s_cbranch_vccnz .LBB22_1452
; %bb.1447:
	v_cmp_lt_i16_e32 vcc_lo, 0, v47
	s_mov_b32 s0, 0
	s_cbranch_vccz .LBB22_1449
; %bb.1448:
	global_load_i8 v2, v[0:1], off
	s_waitcnt vmcnt(0)
	v_cvt_f32_i32_e32 v41, v2
	s_branch .LBB22_1450
.LBB22_1449:
	s_mov_b32 s0, -1
                                        ; implicit-def: $vgpr41
.LBB22_1450:
	s_delay_alu instid0(SALU_CYCLE_1)
	s_and_not1_b32 vcc_lo, exec_lo, s0
	s_cbranch_vccnz .LBB22_1452
; %bb.1451:
	global_load_u8 v0, v[0:1], off
	s_waitcnt vmcnt(0)
	v_cvt_f32_ubyte0_e32 v41, v0
.LBB22_1452:
	s_branch .LBB22_1524
.LBB22_1453:
	s_trap 2
	s_sendmsg_rtn_b32 s0, sendmsg(MSG_RTN_GET_DOORBELL)
	s_mov_b32 ttmp2, m0
	s_waitcnt lgkmcnt(0)
	s_and_b32 s0, s0, 0x3ff
	s_delay_alu instid0(SALU_CYCLE_1) | instskip(NEXT) | instid1(SALU_CYCLE_1)
	s_bitset1_b32 s0, 10
	s_mov_b32 m0, s0
	s_sendmsg sendmsg(MSG_INTERRUPT)
	s_mov_b32 m0, ttmp2
.LBB22_1454:                            ; =>This Inner Loop Header: Depth=1
	s_sethalt 5
	s_branch .LBB22_1454
.LBB22_1455:
	s_mov_b32 s0, -1
	s_mov_b32 s2, 0
.LBB22_1456:
                                        ; implicit-def: $vgpr41
.LBB22_1457:
	s_and_b32 vcc_lo, exec_lo, s3
	s_cbranch_vccz .LBB22_1461
; %bb.1458:
	v_cmp_eq_u16_e32 vcc_lo, 44, v47
	s_cbranch_vccz .LBB22_1460
; %bb.1459:
	global_load_u8 v2, v[0:1], off
	s_mov_b32 s0, 0
	s_mov_b32 s2, -1
	s_waitcnt vmcnt(0)
	v_lshlrev_b32_e32 v3, 23, v2
	v_cmp_ne_u32_e32 vcc_lo, 0xff, v2
	s_delay_alu instid0(VALU_DEP_2) | instskip(SKIP_1) | instid1(VALU_DEP_2)
	v_cndmask_b32_e32 v3, 0x7f800001, v3, vcc_lo
	v_cmp_ne_u32_e32 vcc_lo, 0, v2
	v_cndmask_b32_e32 v41, 0x400000, v3, vcc_lo
	s_branch .LBB22_1461
.LBB22_1460:
	s_mov_b32 s0, -1
                                        ; implicit-def: $vgpr41
.LBB22_1461:
	s_mov_b32 s3, 0
.LBB22_1462:
	s_delay_alu instid0(SALU_CYCLE_1)
	s_and_b32 vcc_lo, exec_lo, s3
	s_cbranch_vccz .LBB22_1466
; %bb.1463:
	v_cmp_eq_u16_e32 vcc_lo, 29, v47
	s_cbranch_vccz .LBB22_1465
; %bb.1464:
	global_load_b64 v[2:3], v[0:1], off
	s_mov_b32 s0, 0
	s_mov_b32 s2, -1
	s_mov_b32 s3, 0
	s_waitcnt vmcnt(0)
	v_clz_i32_u32_e32 v4, v3
	s_delay_alu instid0(VALU_DEP_1) | instskip(NEXT) | instid1(VALU_DEP_1)
	v_min_u32_e32 v4, 32, v4
	v_lshlrev_b64 v[2:3], v4, v[2:3]
	s_delay_alu instid0(VALU_DEP_1) | instskip(NEXT) | instid1(VALU_DEP_1)
	v_min_u32_e32 v2, 1, v2
	v_or_b32_e32 v2, v3, v2
	v_sub_nc_u32_e32 v3, 32, v4
	s_delay_alu instid0(VALU_DEP_2) | instskip(NEXT) | instid1(VALU_DEP_1)
	v_cvt_f32_u32_e32 v2, v2
	v_ldexp_f32 v41, v2, v3
	s_branch .LBB22_1467
.LBB22_1465:
	s_mov_b32 s0, -1
                                        ; implicit-def: $vgpr41
.LBB22_1466:
	s_mov_b32 s3, 0
.LBB22_1467:
	s_delay_alu instid0(SALU_CYCLE_1)
	s_and_b32 vcc_lo, exec_lo, s3
	s_cbranch_vccz .LBB22_1485
; %bb.1468:
	v_cmp_gt_i16_e32 vcc_lo, 27, v47
	s_cbranch_vccnz .LBB22_1471
; %bb.1469:
	v_cmp_lt_i16_e32 vcc_lo, 27, v47
	s_cbranch_vccz .LBB22_1472
; %bb.1470:
	global_load_b32 v2, v[0:1], off
	s_mov_b32 s2, 0
	s_waitcnt vmcnt(0)
	v_cvt_f32_u32_e32 v41, v2
	s_branch .LBB22_1473
.LBB22_1471:
	s_mov_b32 s2, -1
                                        ; implicit-def: $vgpr41
	s_branch .LBB22_1476
.LBB22_1472:
	s_mov_b32 s2, -1
                                        ; implicit-def: $vgpr41
.LBB22_1473:
	s_delay_alu instid0(SALU_CYCLE_1)
	s_and_not1_b32 vcc_lo, exec_lo, s2
	s_cbranch_vccnz .LBB22_1475
; %bb.1474:
	global_load_u16 v2, v[0:1], off
	s_waitcnt vmcnt(0)
	v_cvt_f32_u32_e32 v41, v2
.LBB22_1475:
	s_mov_b32 s2, 0
.LBB22_1476:
	s_delay_alu instid0(SALU_CYCLE_1)
	s_and_not1_b32 vcc_lo, exec_lo, s2
	s_cbranch_vccnz .LBB22_1484
; %bb.1477:
	global_load_u8 v2, v[0:1], off
	s_mov_b32 s2, 0
	s_mov_b32 s4, exec_lo
                                        ; implicit-def: $sgpr3
	s_waitcnt vmcnt(0)
	v_cmpx_lt_i16_e32 0x7f, v2
	s_xor_b32 s4, exec_lo, s4
	s_cbranch_execz .LBB22_1498
; %bb.1478:
	s_mov_b32 s2, -1
	s_mov_b32 s5, exec_lo
                                        ; implicit-def: $sgpr3
	v_cmpx_eq_u16_e32 0x80, v2
; %bb.1479:
	s_mov_b32 s3, 0x7f800001
	s_xor_b32 s2, exec_lo, -1
; %bb.1480:
	s_or_b32 exec_lo, exec_lo, s5
	s_delay_alu instid0(SALU_CYCLE_1)
	s_and_b32 s2, s2, exec_lo
	s_or_saveexec_b32 s4, s4
	v_mov_b32_e32 v41, s3
	s_xor_b32 exec_lo, exec_lo, s4
	s_cbranch_execnz .LBB22_1499
.LBB22_1481:
	s_or_b32 exec_lo, exec_lo, s4
	s_and_saveexec_b32 s3, s2
	s_cbranch_execz .LBB22_1483
.LBB22_1482:
	v_and_b32_e32 v3, 0xffff, v2
	v_lshlrev_b32_e32 v2, 24, v2
	s_delay_alu instid0(VALU_DEP_2) | instskip(NEXT) | instid1(VALU_DEP_2)
	v_and_b32_e32 v4, 7, v3
	v_and_b32_e32 v2, 0x80000000, v2
	s_delay_alu instid0(VALU_DEP_2) | instskip(NEXT) | instid1(VALU_DEP_1)
	v_clz_i32_u32_e32 v5, v4
	v_min_u32_e32 v5, 32, v5
	s_delay_alu instid0(VALU_DEP_1) | instskip(SKIP_1) | instid1(VALU_DEP_2)
	v_subrev_nc_u32_e32 v6, 28, v5
	v_sub_nc_u32_e32 v5, 29, v5
	v_lshlrev_b32_e32 v6, v6, v3
	v_bfe_u32 v3, v3, 3, 4
	s_delay_alu instid0(VALU_DEP_2) | instskip(NEXT) | instid1(VALU_DEP_2)
	v_and_b32_e32 v6, 7, v6
	v_cmp_eq_u32_e32 vcc_lo, 0, v3
	s_delay_alu instid0(VALU_DEP_2) | instskip(NEXT) | instid1(VALU_DEP_1)
	v_dual_cndmask_b32 v3, v3, v5 :: v_dual_cndmask_b32 v4, v4, v6
	v_lshl_add_u32 v3, v3, 23, 0x3b800000
	s_delay_alu instid0(VALU_DEP_2) | instskip(NEXT) | instid1(VALU_DEP_1)
	v_lshlrev_b32_e32 v4, 20, v4
	v_or3_b32 v41, v2, v3, v4
.LBB22_1483:
	s_or_b32 exec_lo, exec_lo, s3
.LBB22_1484:
	s_mov_b32 s2, -1
.LBB22_1485:
	s_mov_b32 s3, 0
.LBB22_1486:
	s_delay_alu instid0(SALU_CYCLE_1)
	s_and_b32 vcc_lo, exec_lo, s3
	s_cbranch_vccz .LBB22_1519
; %bb.1487:
	v_cmp_lt_i16_e32 vcc_lo, 22, v47
	s_cbranch_vccz .LBB22_1497
; %bb.1488:
	v_cmp_gt_i16_e32 vcc_lo, 24, v47
	s_cbranch_vccnz .LBB22_1500
; %bb.1489:
	v_cmp_lt_i16_e32 vcc_lo, 24, v47
	s_cbranch_vccz .LBB22_1501
; %bb.1490:
	global_load_u8 v2, v[0:1], off
	s_mov_b32 s3, exec_lo
                                        ; implicit-def: $sgpr2
	s_waitcnt vmcnt(0)
	v_cmpx_lt_i16_e32 0x7f, v2
	s_xor_b32 s3, exec_lo, s3
	s_cbranch_execz .LBB22_1513
; %bb.1491:
	s_mov_b32 s1, -1
	s_mov_b32 s4, exec_lo
                                        ; implicit-def: $sgpr2
	v_cmpx_eq_u16_e32 0x80, v2
; %bb.1492:
	s_mov_b32 s2, 0x7f800001
	s_xor_b32 s1, exec_lo, -1
; %bb.1493:
	s_or_b32 exec_lo, exec_lo, s4
	s_delay_alu instid0(SALU_CYCLE_1)
	s_and_b32 s1, s1, exec_lo
	s_or_saveexec_b32 s3, s3
	v_mov_b32_e32 v41, s2
	s_xor_b32 exec_lo, exec_lo, s3
	s_cbranch_execnz .LBB22_1514
.LBB22_1494:
	s_or_b32 exec_lo, exec_lo, s3
	s_and_saveexec_b32 s2, s1
	s_cbranch_execz .LBB22_1496
.LBB22_1495:
	v_and_b32_e32 v3, 0xffff, v2
	v_lshlrev_b32_e32 v2, 24, v2
	s_delay_alu instid0(VALU_DEP_2) | instskip(NEXT) | instid1(VALU_DEP_2)
	v_and_b32_e32 v4, 3, v3
	v_and_b32_e32 v2, 0x80000000, v2
	s_delay_alu instid0(VALU_DEP_2) | instskip(NEXT) | instid1(VALU_DEP_1)
	v_clz_i32_u32_e32 v5, v4
	v_min_u32_e32 v5, 32, v5
	s_delay_alu instid0(VALU_DEP_1) | instskip(SKIP_1) | instid1(VALU_DEP_2)
	v_subrev_nc_u32_e32 v6, 29, v5
	v_sub_nc_u32_e32 v5, 30, v5
	v_lshlrev_b32_e32 v6, v6, v3
	v_bfe_u32 v3, v3, 2, 5
	s_delay_alu instid0(VALU_DEP_2) | instskip(NEXT) | instid1(VALU_DEP_2)
	v_and_b32_e32 v6, 3, v6
	v_cmp_eq_u32_e32 vcc_lo, 0, v3
	s_delay_alu instid0(VALU_DEP_2) | instskip(NEXT) | instid1(VALU_DEP_1)
	v_dual_cndmask_b32 v3, v3, v5 :: v_dual_cndmask_b32 v4, v4, v6
	v_lshl_add_u32 v3, v3, 23, 0x37800000
	s_delay_alu instid0(VALU_DEP_2) | instskip(NEXT) | instid1(VALU_DEP_1)
	v_lshlrev_b32_e32 v4, 21, v4
	v_or3_b32 v41, v2, v3, v4
.LBB22_1496:
	s_or_b32 exec_lo, exec_lo, s2
	s_mov_b32 s1, 0
	s_branch .LBB22_1502
.LBB22_1497:
	s_mov_b32 s1, -1
                                        ; implicit-def: $vgpr41
	s_branch .LBB22_1508
.LBB22_1498:
	s_or_saveexec_b32 s4, s4
	v_mov_b32_e32 v41, s3
	s_xor_b32 exec_lo, exec_lo, s4
	s_cbranch_execz .LBB22_1481
.LBB22_1499:
	v_cmp_ne_u16_e32 vcc_lo, 0, v2
	v_mov_b32_e32 v41, 0
	s_and_not1_b32 s2, s2, exec_lo
	s_and_b32 s3, vcc_lo, exec_lo
	s_delay_alu instid0(SALU_CYCLE_1)
	s_or_b32 s2, s2, s3
	s_or_b32 exec_lo, exec_lo, s4
	s_and_saveexec_b32 s3, s2
	s_cbranch_execnz .LBB22_1482
	s_branch .LBB22_1483
.LBB22_1500:
	s_mov_b32 s1, -1
                                        ; implicit-def: $vgpr41
	s_branch .LBB22_1505
.LBB22_1501:
	s_mov_b32 s1, -1
                                        ; implicit-def: $vgpr41
.LBB22_1502:
	s_delay_alu instid0(SALU_CYCLE_1)
	s_and_b32 vcc_lo, exec_lo, s1
	s_cbranch_vccz .LBB22_1504
; %bb.1503:
	global_load_u8 v2, v[0:1], off
	s_waitcnt vmcnt(0)
	v_lshlrev_b32_e32 v2, 24, v2
	s_delay_alu instid0(VALU_DEP_1) | instskip(NEXT) | instid1(VALU_DEP_1)
	v_and_b32_e32 v3, 0x7f000000, v2
	v_clz_i32_u32_e32 v4, v3
	v_add_nc_u32_e32 v6, 0x1000000, v3
	v_cmp_ne_u32_e32 vcc_lo, 0, v3
	s_delay_alu instid0(VALU_DEP_3) | instskip(NEXT) | instid1(VALU_DEP_1)
	v_min_u32_e32 v4, 32, v4
	v_sub_nc_u32_e64 v4, v4, 4 clamp
	s_delay_alu instid0(VALU_DEP_1) | instskip(SKIP_1) | instid1(VALU_DEP_2)
	v_lshlrev_b32_e32 v5, v4, v3
	v_lshlrev_b32_e32 v4, 23, v4
	v_lshrrev_b32_e32 v5, 4, v5
	s_delay_alu instid0(VALU_DEP_1) | instskip(SKIP_1) | instid1(VALU_DEP_2)
	v_sub_nc_u32_e32 v4, v5, v4
	v_ashrrev_i32_e32 v5, 8, v6
	v_add_nc_u32_e32 v4, 0x3c000000, v4
	s_delay_alu instid0(VALU_DEP_1) | instskip(NEXT) | instid1(VALU_DEP_1)
	v_and_or_b32 v4, 0x7f800000, v5, v4
	v_cndmask_b32_e32 v3, 0, v4, vcc_lo
	s_delay_alu instid0(VALU_DEP_1)
	v_and_or_b32 v41, 0x80000000, v2, v3
.LBB22_1504:
	s_mov_b32 s1, 0
.LBB22_1505:
	s_delay_alu instid0(SALU_CYCLE_1)
	s_and_not1_b32 vcc_lo, exec_lo, s1
	s_cbranch_vccnz .LBB22_1507
; %bb.1506:
	global_load_u8 v2, v[0:1], off
	s_waitcnt vmcnt(0)
	v_lshlrev_b32_e32 v3, 25, v2
	v_lshlrev_b16 v2, 8, v2
	s_delay_alu instid0(VALU_DEP_2) | instskip(NEXT) | instid1(VALU_DEP_2)
	v_lshrrev_b32_e32 v4, 4, v3
	v_and_or_b32 v5, 0x7f00, v2, 0.5
	v_bfe_i32 v2, v2, 0, 16
	s_delay_alu instid0(VALU_DEP_3) | instskip(NEXT) | instid1(VALU_DEP_1)
	v_or_b32_e32 v4, 0x70000000, v4
	v_dual_add_f32 v5, -0.5, v5 :: v_dual_mul_f32 v4, 0x7800000, v4
	v_cmp_gt_u32_e32 vcc_lo, 0x8000000, v3
	s_delay_alu instid0(VALU_DEP_2) | instskip(NEXT) | instid1(VALU_DEP_1)
	v_cndmask_b32_e32 v3, v4, v5, vcc_lo
	v_and_or_b32 v41, 0x80000000, v2, v3
.LBB22_1507:
	s_mov_b32 s1, 0
	s_mov_b32 s2, -1
.LBB22_1508:
	s_and_not1_b32 vcc_lo, exec_lo, s1
	s_mov_b32 s1, 0
	s_cbranch_vccnz .LBB22_1519
; %bb.1509:
	v_cmp_lt_i16_e32 vcc_lo, 14, v47
	s_cbranch_vccz .LBB22_1512
; %bb.1510:
	v_cmp_eq_u16_e32 vcc_lo, 15, v47
	s_cbranch_vccz .LBB22_1515
; %bb.1511:
	global_load_u16 v2, v[0:1], off
	s_mov_b32 s0, 0
	s_mov_b32 s2, -1
	s_waitcnt vmcnt(0)
	v_lshlrev_b32_e32 v41, 16, v2
	s_branch .LBB22_1517
.LBB22_1512:
	s_mov_b32 s1, -1
	s_branch .LBB22_1516
.LBB22_1513:
	s_or_saveexec_b32 s3, s3
	v_mov_b32_e32 v41, s2
	s_xor_b32 exec_lo, exec_lo, s3
	s_cbranch_execz .LBB22_1494
.LBB22_1514:
	v_cmp_ne_u16_e32 vcc_lo, 0, v2
	v_mov_b32_e32 v41, 0
	s_and_not1_b32 s1, s1, exec_lo
	s_and_b32 s2, vcc_lo, exec_lo
	s_delay_alu instid0(SALU_CYCLE_1)
	s_or_b32 s1, s1, s2
	s_or_b32 exec_lo, exec_lo, s3
	s_and_saveexec_b32 s2, s1
	s_cbranch_execnz .LBB22_1495
	s_branch .LBB22_1496
.LBB22_1515:
	s_mov_b32 s0, -1
.LBB22_1516:
                                        ; implicit-def: $vgpr41
.LBB22_1517:
	s_and_b32 vcc_lo, exec_lo, s1
	s_mov_b32 s1, 0
	s_cbranch_vccz .LBB22_1519
; %bb.1518:
	v_cmp_ne_u16_e64 s0, 11, v47
	s_mov_b32 s1, -1
                                        ; implicit-def: $vgpr41
.LBB22_1519:
	s_delay_alu instid0(VALU_DEP_1)
	s_and_b32 vcc_lo, exec_lo, s0
	s_cbranch_vccnz .LBB22_1551
; %bb.1520:
	s_and_not1_b32 vcc_lo, exec_lo, s1
	s_cbranch_vccnz .LBB22_1522
.LBB22_1521:
	global_load_u8 v2, v[0:1], off
	s_mov_b32 s2, -1
	s_waitcnt vmcnt(0)
	v_cmp_ne_u16_e32 vcc_lo, 0, v2
	v_cndmask_b32_e64 v41, 0, 1.0, vcc_lo
.LBB22_1522:
.LBB22_1523:
	s_and_not1_b32 vcc_lo, exec_lo, s2
	s_cbranch_vccnz .LBB22_1683
.LBB22_1524:
                                        ; implicit-def: $vgpr46
	s_mov_b32 s0, exec_lo
	s_waitcnt vmcnt(0)
	s_delay_alu instid0(VALU_DEP_1)
	v_cmpx_ge_f32_e32 0x40a00000, v41
	s_xor_b32 s44, exec_lo, s0
	s_cbranch_execz .LBB22_1530
; %bb.1525:
	v_mov_b32_e32 v46, 0xff800000
	s_mov_b32 s45, exec_lo
	v_cmpx_neq_f32_e32 0, v41
	s_cbranch_execz .LBB22_1529
; %bb.1526:
	v_mov_b32_e32 v46, 0x7fc00000
	s_mov_b32 s46, exec_lo
	v_cmpx_nge_f32_e32 0, v41
	s_cbranch_execz .LBB22_1528
; %bb.1527:
	v_mul_f32_e32 v0, v41, v41
	s_getpc_b64 s[0:1]
	s_add_u32 s0, s0, _Z17bessel_j1_forwardIfET_S0_@rel32@lo+4
	s_addc_u32 s1, s1, _Z17bessel_j1_forwardIfET_S0_@rel32@hi+12
	s_delay_alu instid0(VALU_DEP_1) | instskip(SKIP_1) | instid1(VALU_DEP_2)
	v_fmaak_f32 v1, 0, v0, 0x4414934d
	v_fmaak_f32 v2, 0, v0, 0x4e9695f3
	;; [unrolled: 1-line block ×3, first 2 shown]
	s_delay_alu instid0(VALU_DEP_2) | instskip(NEXT) | instid1(VALU_DEP_2)
	v_fmaak_f32 v2, v0, v2, 0xd316b96b
	v_fmaak_f32 v1, v0, v1, 0x4c8c277d
	s_delay_alu instid0(VALU_DEP_2) | instskip(NEXT) | instid1(VALU_DEP_2)
	v_fmaak_f32 v2, v0, v2, 0x56d04aa6
	v_fmaak_f32 v1, v0, v1, 0x508bc61d
	;; [unrolled: 3-line block ×5, first 2 shown]
	s_delay_alu instid0(VALU_DEP_1) | instskip(NEXT) | instid1(VALU_DEP_1)
	v_fmaak_f32 v0, v0, v1, 0x5e5c878d
	v_div_scale_f32 v1, null, v0, v0, v2
	v_div_scale_f32 v5, vcc_lo, v2, v0, v2
	s_delay_alu instid0(VALU_DEP_2) | instskip(SKIP_2) | instid1(VALU_DEP_1)
	v_rcp_f32_e32 v3, v1
	s_waitcnt_depctr 0xfff
	v_fma_f32 v4, -v1, v3, 1.0
	v_fmac_f32_e32 v3, v4, v3
	s_delay_alu instid0(VALU_DEP_1) | instskip(NEXT) | instid1(VALU_DEP_1)
	v_mul_f32_e32 v4, v5, v3
	v_fma_f32 v6, -v1, v4, v5
	s_delay_alu instid0(VALU_DEP_1) | instskip(NEXT) | instid1(VALU_DEP_1)
	v_fmac_f32_e32 v4, v6, v3
	v_fma_f32 v1, -v1, v4, v5
	s_delay_alu instid0(VALU_DEP_1) | instskip(NEXT) | instid1(VALU_DEP_1)
	v_div_fmas_f32 v1, v1, v3, v4
	v_div_fixup_f32 v57, v1, v0, v2
	v_mov_b32_e32 v0, v41
	s_swappc_b64 s[30:31], s[0:1]
	v_div_scale_f32 v1, null, v41, v41, -1.0
	v_cmp_gt_f32_e32 vcc_lo, 0x800000, v41
	v_div_scale_f32 v5, s0, -1.0, v41, -1.0
	s_delay_alu instid0(VALU_DEP_3) | instskip(SKIP_3) | instid1(VALU_DEP_1)
	v_rcp_f32_e32 v3, v1
	v_cndmask_b32_e64 v2, 1.0, 0x4f800000, vcc_lo
	s_waitcnt_depctr 0xfff
	v_fma_f32 v4, -v1, v3, 1.0
	v_dual_mul_f32 v2, v41, v2 :: v_dual_fmac_f32 v3, v4, v3
	s_delay_alu instid0(VALU_DEP_1) | instskip(SKIP_3) | instid1(VALU_DEP_2)
	v_log_f32_e32 v2, v2
	s_waitcnt_depctr 0xfff
	v_mul_f32_e32 v4, 0x3f317217, v2
	v_cmp_gt_f32_e64 s1, 0x7f800000, |v2|
	v_fma_f32 v7, 0x3f317217, v2, -v4
	s_delay_alu instid0(VALU_DEP_1) | instskip(NEXT) | instid1(VALU_DEP_1)
	v_dual_mul_f32 v6, v5, v3 :: v_dual_fmamk_f32 v7, v2, 0x3377d1cf, v7
	v_fma_f32 v8, -v1, v6, v5
	s_delay_alu instid0(VALU_DEP_2) | instskip(NEXT) | instid1(VALU_DEP_2)
	v_add_f32_e32 v4, v4, v7
	v_fmac_f32_e32 v6, v8, v3
	s_delay_alu instid0(VALU_DEP_2) | instskip(NEXT) | instid1(VALU_DEP_2)
	v_cndmask_b32_e64 v2, v2, v4, s1
	v_fma_f32 v1, -v1, v6, v5
	v_cndmask_b32_e64 v4, 0, 0x41b17218, vcc_lo
	s_mov_b32 vcc_lo, s0
	s_delay_alu instid0(VALU_DEP_2) | instskip(NEXT) | instid1(VALU_DEP_2)
	v_div_fmas_f32 v1, v1, v3, v6
	v_sub_f32_e32 v2, v2, v4
	s_delay_alu instid0(VALU_DEP_2) | instskip(NEXT) | instid1(VALU_DEP_1)
	v_div_fixup_f32 v1, v1, v41, -1.0
	v_fmac_f32_e32 v1, v2, v0
	s_delay_alu instid0(VALU_DEP_1) | instskip(NEXT) | instid1(VALU_DEP_1)
	v_mul_f32_e32 v46, 0x3f22f983, v1
	v_fmac_f32_e32 v46, v41, v57
.LBB22_1528:
	s_or_b32 exec_lo, exec_lo, s46
.LBB22_1529:
	s_delay_alu instid0(SALU_CYCLE_1)
	s_or_b32 exec_lo, exec_lo, s45
                                        ; implicit-def: $vgpr41
.LBB22_1530:
	s_and_not1_saveexec_b32 s3, s44
	s_cbranch_execz .LBB22_1540
; %bb.1531:
	v_add_f32_e32 v0, 0xc016cbe4, v41
                                        ; implicit-def: $vgpr3
                                        ; implicit-def: $vgpr2
	s_delay_alu instid0(VALU_DEP_1) | instskip(SKIP_1) | instid1(VALU_DEP_2)
	v_and_b32_e32 v1, 0x7fffffff, v0
	v_cmp_ngt_f32_e64 s4, 0x48000000, |v0|
	v_lshrrev_b32_e32 v5, 23, v1
	s_delay_alu instid0(VALU_DEP_2) | instskip(NEXT) | instid1(SALU_CYCLE_1)
	s_and_saveexec_b32 s0, s4
	s_xor_b32 s5, exec_lo, s0
	s_cbranch_execz .LBB22_1533
; %bb.1532:
	s_mov_b32 s0, 0x7fffff
	v_mov_b32_e32 v4, 0
	v_and_or_b32 v13, v1, s0, 0x800000
	v_add_nc_u32_e32 v11, 0xffffff88, v5
	s_delay_alu instid0(VALU_DEP_2) | instskip(NEXT) | instid1(VALU_DEP_2)
	v_mad_u64_u32 v[2:3], null, 0xfe5163ab, v13, 0
	v_cmp_lt_u32_e32 vcc_lo, 63, v11
	v_cndmask_b32_e64 v12, 0, 0xffffffc0, vcc_lo
	s_delay_alu instid0(VALU_DEP_3) | instskip(NEXT) | instid1(VALU_DEP_1)
	v_mad_u64_u32 v[6:7], null, 0x3c439041, v13, v[3:4]
	v_dual_mov_b32 v3, v7 :: v_dual_add_nc_u32 v12, v12, v11
	s_delay_alu instid0(VALU_DEP_1) | instskip(NEXT) | instid1(VALU_DEP_2)
	v_cmp_lt_u32_e64 s0, 31, v12
	v_mad_u64_u32 v[7:8], null, 0xdb629599, v13, v[3:4]
	s_delay_alu instid0(VALU_DEP_2) | instskip(NEXT) | instid1(VALU_DEP_1)
	v_cndmask_b32_e64 v14, 0, 0xffffffe0, s0
	v_dual_mov_b32 v3, v8 :: v_dual_add_nc_u32 v14, v14, v12
	s_delay_alu instid0(VALU_DEP_3) | instskip(NEXT) | instid1(VALU_DEP_2)
	v_cndmask_b32_e32 v2, v7, v2, vcc_lo
	v_cmp_lt_u32_e64 s1, 31, v14
	s_delay_alu instid0(VALU_DEP_3) | instskip(NEXT) | instid1(VALU_DEP_1)
	v_mad_u64_u32 v[8:9], null, 0xf534ddc0, v13, v[3:4]
	v_dual_mov_b32 v3, v9 :: v_dual_cndmask_b32 v6, v8, v6
	s_delay_alu instid0(VALU_DEP_1) | instskip(NEXT) | instid1(VALU_DEP_2)
	v_mad_u64_u32 v[9:10], null, 0xfc2757d1, v13, v[3:4]
	v_cndmask_b32_e64 v2, v6, v2, s0
	s_delay_alu instid0(VALU_DEP_2) | instskip(NEXT) | instid1(VALU_DEP_1)
	v_mov_b32_e32 v3, v10
	v_mad_u64_u32 v[10:11], null, 0x4e441529, v13, v[3:4]
	s_delay_alu instid0(VALU_DEP_1) | instskip(NEXT) | instid1(VALU_DEP_1)
	v_mov_b32_e32 v3, v11
	v_mad_u64_u32 v[11:12], null, 0xa2f9836e, v13, v[3:4]
	v_cndmask_b32_e64 v3, 0, 0xffffffe0, s1
	s_delay_alu instid0(VALU_DEP_1) | instskip(NEXT) | instid1(VALU_DEP_3)
	v_dual_cndmask_b32 v4, v10, v8 :: v_dual_add_nc_u32 v3, v3, v14
	v_dual_cndmask_b32 v11, v11, v9 :: v_dual_cndmask_b32 v10, v12, v10
	v_cndmask_b32_e32 v9, v9, v7, vcc_lo
	s_delay_alu instid0(VALU_DEP_3) | instskip(NEXT) | instid1(VALU_DEP_3)
	v_cmp_eq_u32_e64 s2, 0, v3
	v_cndmask_b32_e64 v8, v11, v4, s0
	s_delay_alu instid0(VALU_DEP_4) | instskip(NEXT) | instid1(VALU_DEP_4)
	v_cndmask_b32_e64 v10, v10, v11, s0
	v_cndmask_b32_e64 v4, v4, v9, s0
	v_sub_nc_u32_e32 v11, 32, v3
	v_cndmask_b32_e64 v9, v9, v6, s0
	s_delay_alu instid0(VALU_DEP_4) | instskip(NEXT) | instid1(VALU_DEP_4)
	v_cndmask_b32_e64 v10, v10, v8, s1
	v_cndmask_b32_e64 v8, v8, v4, s1
	s_delay_alu instid0(VALU_DEP_3) | instskip(SKIP_1) | instid1(VALU_DEP_3)
	v_cndmask_b32_e64 v4, v4, v9, s1
	v_cndmask_b32_e64 v2, v9, v2, s1
	v_alignbit_b32 v12, v10, v8, v11
	s_delay_alu instid0(VALU_DEP_3) | instskip(NEXT) | instid1(VALU_DEP_3)
	v_alignbit_b32 v13, v8, v4, v11
	v_alignbit_b32 v11, v4, v2, v11
	s_delay_alu instid0(VALU_DEP_3) | instskip(NEXT) | instid1(VALU_DEP_3)
	v_cndmask_b32_e64 v3, v12, v10, s2
	v_cndmask_b32_e64 v7, v13, v8, s2
	s_delay_alu instid0(VALU_DEP_3) | instskip(NEXT) | instid1(VALU_DEP_3)
	v_cndmask_b32_e64 v4, v11, v4, s2
	v_bfe_u32 v8, v3, 29, 1
	s_delay_alu instid0(VALU_DEP_3) | instskip(NEXT) | instid1(VALU_DEP_3)
	v_alignbit_b32 v6, v3, v7, 30
	v_alignbit_b32 v7, v7, v4, 30
	;; [unrolled: 1-line block ×3, first 2 shown]
	s_delay_alu instid0(VALU_DEP_4) | instskip(NEXT) | instid1(VALU_DEP_1)
	v_sub_nc_u32_e32 v10, 0, v8
	v_xor_b32_e32 v9, v6, v10
	v_cmp_ne_u32_e32 vcc_lo, v6, v10
	v_xor_b32_e32 v4, v7, v10
	v_xor_b32_e32 v2, v2, v10
	s_delay_alu instid0(VALU_DEP_4) | instskip(NEXT) | instid1(VALU_DEP_1)
	v_clz_i32_u32_e32 v12, v9
	v_add_nc_u32_e32 v11, 1, v12
	s_delay_alu instid0(VALU_DEP_1) | instskip(NEXT) | instid1(VALU_DEP_1)
	v_cndmask_b32_e32 v6, 33, v11, vcc_lo
	v_sub_nc_u32_e32 v7, 32, v6
	s_delay_alu instid0(VALU_DEP_1) | instskip(SKIP_3) | instid1(VALU_DEP_3)
	v_alignbit_b32 v9, v9, v4, v7
	v_alignbit_b32 v2, v4, v2, v7
	v_lshrrev_b32_e32 v4, 29, v3
	v_lshrrev_b32_e32 v3, 30, v3
	v_alignbit_b32 v7, v9, v2, 9
	s_delay_alu instid0(VALU_DEP_3) | instskip(SKIP_1) | instid1(VALU_DEP_4)
	v_lshlrev_b32_e32 v4, 31, v4
	v_alignbit_b32 v9, v6, v9, 9
	v_add_nc_u32_e32 v3, v8, v3
	s_delay_alu instid0(VALU_DEP_4) | instskip(NEXT) | instid1(VALU_DEP_3)
	v_clz_i32_u32_e32 v10, v7
	v_or_b32_e32 v9, v9, v4
	v_or_b32_e32 v4, 0x33800000, v4
	s_delay_alu instid0(VALU_DEP_3) | instskip(NEXT) | instid1(VALU_DEP_3)
	v_min_u32_e32 v10, 32, v10
	v_xor_b32_e32 v9, 1.0, v9
	s_delay_alu instid0(VALU_DEP_2) | instskip(SKIP_1) | instid1(VALU_DEP_3)
	v_sub_nc_u32_e32 v11, 31, v10
	v_add_lshl_u32 v6, v10, v6, 23
	v_mul_f32_e32 v10, 0x3fc90fda, v9
	s_delay_alu instid0(VALU_DEP_3) | instskip(NEXT) | instid1(VALU_DEP_3)
	v_alignbit_b32 v2, v7, v2, v11
	v_sub_nc_u32_e32 v4, v4, v6
	s_delay_alu instid0(VALU_DEP_3) | instskip(NEXT) | instid1(VALU_DEP_3)
	v_fma_f32 v6, 0x3fc90fda, v9, -v10
	v_lshrrev_b32_e32 v2, 9, v2
	s_delay_alu instid0(VALU_DEP_2) | instskip(NEXT) | instid1(VALU_DEP_2)
	v_fmamk_f32 v6, v9, 0x33a22168, v6
	v_or_b32_e32 v2, v4, v2
	s_delay_alu instid0(VALU_DEP_1) | instskip(NEXT) | instid1(VALU_DEP_1)
	v_fmac_f32_e32 v6, 0x3fc90fda, v2
	v_add_f32_e32 v2, v10, v6
	s_or_saveexec_b32 s0, s5
	v_mul_f32_e64 v7, 0x3f22f983, |v0|
	s_xor_b32 exec_lo, exec_lo, s0
	s_branch .LBB22_1534
.LBB22_1533:
	s_or_saveexec_b32 s0, s5
	v_mul_f32_e64 v7, 0x3f22f983, |v0|
	s_xor_b32 exec_lo, exec_lo, s0
.LBB22_1534:
	s_delay_alu instid0(VALU_DEP_1) | instskip(NEXT) | instid1(VALU_DEP_1)
	v_rndne_f32_e32 v3, v7
	v_fma_f32 v2, 0xbfc90fda, v3, |v0|
	s_delay_alu instid0(VALU_DEP_1) | instskip(NEXT) | instid1(VALU_DEP_1)
	v_fmamk_f32 v2, v3, 0xb3a22168, v2
	v_fmamk_f32 v2, v3, 0xa7c234c4, v2
	v_cvt_i32_f32_e32 v3, v3
; %bb.1535:
	s_or_b32 exec_lo, exec_lo, s0
                                        ; implicit-def: $vgpr6
                                        ; implicit-def: $vgpr4
	s_and_saveexec_b32 s0, s4
	s_delay_alu instid0(SALU_CYCLE_1)
	s_xor_b32 s4, exec_lo, s0
	s_cbranch_execz .LBB22_1537
; %bb.1536:
	s_mov_b32 s0, 0x7fffff
	v_mov_b32_e32 v8, 0
	v_and_or_b32 v15, v1, s0, 0x800000
	s_delay_alu instid0(VALU_DEP_1) | instskip(NEXT) | instid1(VALU_DEP_1)
	v_mad_u64_u32 v[6:7], null, 0xfe5163ab, v15, 0
	v_mad_u64_u32 v[9:10], null, 0x3c439041, v15, v[7:8]
	s_delay_alu instid0(VALU_DEP_1) | instskip(NEXT) | instid1(VALU_DEP_1)
	v_mov_b32_e32 v7, v10
	v_mad_u64_u32 v[10:11], null, 0xdb629599, v15, v[7:8]
	s_delay_alu instid0(VALU_DEP_1) | instskip(NEXT) | instid1(VALU_DEP_1)
	v_mov_b32_e32 v7, v11
	v_mad_u64_u32 v[11:12], null, 0xf534ddc0, v15, v[7:8]
	s_delay_alu instid0(VALU_DEP_1) | instskip(NEXT) | instid1(VALU_DEP_1)
	v_dual_mov_b32 v7, v12 :: v_dual_add_nc_u32 v12, 0xffffff88, v5
	v_mad_u64_u32 v[4:5], null, 0xfc2757d1, v15, v[7:8]
	s_delay_alu instid0(VALU_DEP_2) | instskip(SKIP_1) | instid1(VALU_DEP_3)
	v_cmp_lt_u32_e32 vcc_lo, 63, v12
	v_cndmask_b32_e64 v13, 0, 0xffffffc0, vcc_lo
	v_dual_mov_b32 v7, v5 :: v_dual_cndmask_b32 v6, v10, v6
	s_delay_alu instid0(VALU_DEP_2) | instskip(NEXT) | instid1(VALU_DEP_2)
	v_add_nc_u32_e32 v5, v13, v12
	v_mad_u64_u32 v[12:13], null, 0x4e441529, v15, v[7:8]
	s_delay_alu instid0(VALU_DEP_2) | instskip(NEXT) | instid1(VALU_DEP_2)
	v_cmp_lt_u32_e64 s0, 31, v5
	v_mov_b32_e32 v7, v13
	s_delay_alu instid0(VALU_DEP_2) | instskip(NEXT) | instid1(VALU_DEP_1)
	v_cndmask_b32_e64 v14, 0, 0xffffffe0, s0
	v_add_nc_u32_e32 v5, v14, v5
	s_delay_alu instid0(VALU_DEP_3) | instskip(SKIP_1) | instid1(VALU_DEP_3)
	v_mad_u64_u32 v[13:14], null, 0xa2f9836e, v15, v[7:8]
	v_cndmask_b32_e32 v8, v12, v11, vcc_lo
	v_cmp_lt_u32_e64 s1, 31, v5
	s_delay_alu instid0(VALU_DEP_3) | instskip(NEXT) | instid1(VALU_DEP_2)
	v_cndmask_b32_e32 v13, v13, v4, vcc_lo
	v_cndmask_b32_e64 v7, 0, 0xffffffe0, s1
	v_cndmask_b32_e32 v12, v14, v12, vcc_lo
	s_delay_alu instid0(VALU_DEP_2) | instskip(SKIP_2) | instid1(VALU_DEP_4)
	v_dual_cndmask_b32 v4, v4, v10 :: v_dual_add_nc_u32 v5, v7, v5
	v_cndmask_b32_e32 v7, v11, v9, vcc_lo
	v_cndmask_b32_e64 v9, v13, v8, s0
	v_cndmask_b32_e64 v11, v12, v13, s0
	s_delay_alu instid0(VALU_DEP_4)
	v_cndmask_b32_e64 v8, v8, v4, s0
	v_sub_nc_u32_e32 v12, 32, v5
	v_cndmask_b32_e64 v4, v4, v7, s0
	v_cmp_eq_u32_e64 s2, 0, v5
	v_cndmask_b32_e64 v11, v11, v9, s1
	v_cndmask_b32_e64 v9, v9, v8, s1
	;; [unrolled: 1-line block ×4, first 2 shown]
	s_delay_alu instid0(VALU_DEP_3) | instskip(NEXT) | instid1(VALU_DEP_3)
	v_alignbit_b32 v13, v11, v9, v12
	v_cndmask_b32_e64 v4, v4, v6, s1
	s_delay_alu instid0(VALU_DEP_3) | instskip(NEXT) | instid1(VALU_DEP_3)
	v_alignbit_b32 v14, v9, v8, v12
	v_cndmask_b32_e64 v5, v13, v11, s2
	;; [unrolled: 3-line block ×3, first 2 shown]
	s_delay_alu instid0(VALU_DEP_3) | instskip(NEXT) | instid1(VALU_DEP_3)
	v_bfe_u32 v10, v5, 29, 1
	v_cndmask_b32_e64 v8, v12, v8, s2
	s_delay_alu instid0(VALU_DEP_3) | instskip(NEXT) | instid1(VALU_DEP_3)
	v_alignbit_b32 v7, v5, v9, 30
	v_sub_nc_u32_e32 v11, 0, v10
	s_delay_alu instid0(VALU_DEP_3) | instskip(SKIP_1) | instid1(VALU_DEP_3)
	v_alignbit_b32 v9, v9, v8, 30
	v_alignbit_b32 v4, v8, v4, 30
	v_xor_b32_e32 v6, v7, v11
	v_cmp_ne_u32_e32 vcc_lo, v7, v11
	s_delay_alu instid0(VALU_DEP_4) | instskip(NEXT) | instid1(VALU_DEP_4)
	v_xor_b32_e32 v8, v9, v11
	v_xor_b32_e32 v4, v4, v11
	s_delay_alu instid0(VALU_DEP_4) | instskip(NEXT) | instid1(VALU_DEP_1)
	v_clz_i32_u32_e32 v13, v6
	v_add_nc_u32_e32 v12, 1, v13
	s_delay_alu instid0(VALU_DEP_1) | instskip(NEXT) | instid1(VALU_DEP_1)
	v_cndmask_b32_e32 v7, 33, v12, vcc_lo
	v_sub_nc_u32_e32 v9, 32, v7
	s_delay_alu instid0(VALU_DEP_1) | instskip(SKIP_3) | instid1(VALU_DEP_3)
	v_alignbit_b32 v6, v6, v8, v9
	v_alignbit_b32 v4, v8, v4, v9
	v_lshrrev_b32_e32 v8, 29, v5
	v_lshrrev_b32_e32 v5, 30, v5
	v_alignbit_b32 v9, v6, v4, 9
	s_delay_alu instid0(VALU_DEP_3) | instskip(SKIP_1) | instid1(VALU_DEP_3)
	v_lshlrev_b32_e32 v8, 31, v8
	v_alignbit_b32 v6, v7, v6, 9
	v_clz_i32_u32_e32 v11, v9
	s_delay_alu instid0(VALU_DEP_2) | instskip(SKIP_1) | instid1(VALU_DEP_3)
	v_or_b32_e32 v6, v6, v8
	v_or_b32_e32 v8, 0x33800000, v8
	v_min_u32_e32 v11, 32, v11
	s_delay_alu instid0(VALU_DEP_3) | instskip(NEXT) | instid1(VALU_DEP_2)
	v_xor_b32_e32 v6, 1.0, v6
	v_sub_nc_u32_e32 v12, 31, v11
	v_add_lshl_u32 v7, v11, v7, 23
	s_delay_alu instid0(VALU_DEP_3) | instskip(NEXT) | instid1(VALU_DEP_3)
	v_mul_f32_e32 v11, 0x3fc90fda, v6
	v_alignbit_b32 v4, v9, v4, v12
	s_delay_alu instid0(VALU_DEP_3) | instskip(NEXT) | instid1(VALU_DEP_3)
	v_sub_nc_u32_e32 v7, v8, v7
	v_fma_f32 v8, 0x3fc90fda, v6, -v11
	s_delay_alu instid0(VALU_DEP_3) | instskip(NEXT) | instid1(VALU_DEP_2)
	v_lshrrev_b32_e32 v4, 9, v4
	v_fmamk_f32 v6, v6, 0x33a22168, v8
	s_delay_alu instid0(VALU_DEP_2) | instskip(NEXT) | instid1(VALU_DEP_1)
	v_or_b32_e32 v4, v7, v4
                                        ; implicit-def: $vgpr7
	v_fmac_f32_e32 v6, 0x3fc90fda, v4
	s_delay_alu instid0(VALU_DEP_1)
	v_add_f32_e32 v4, v11, v6
	v_add_nc_u32_e32 v6, v10, v5
	s_and_not1_saveexec_b32 s0, s4
	s_cbranch_execnz .LBB22_1538
	s_branch .LBB22_1539
.LBB22_1537:
	s_and_not1_saveexec_b32 s0, s4
.LBB22_1538:
	v_rndne_f32_e32 v5, v7
	s_delay_alu instid0(VALU_DEP_1) | instskip(SKIP_1) | instid1(VALU_DEP_2)
	v_fma_f32 v4, 0xbfc90fda, v5, |v0|
	v_cvt_i32_f32_e32 v6, v5
	v_fmamk_f32 v4, v5, 0xb3a22168, v4
	s_delay_alu instid0(VALU_DEP_1)
	v_fmamk_f32 v4, v5, 0xa7c234c4, v4
.LBB22_1539:
	s_or_b32 exec_lo, exec_lo, s0
	v_div_scale_f32 v5, null, v41, v41, 0x40a00000
	v_div_scale_f32 v9, vcc_lo, 0x40a00000, v41, 0x40a00000
	s_mov_b32 s0, 0xb94c1982
	s_delay_alu instid0(VALU_DEP_2) | instskip(SKIP_4) | instid1(VALU_DEP_1)
	v_rcp_f32_e32 v7, v5
	s_mov_b32 s1, 0x37d75334
	v_xor_b32_e32 v1, v1, v0
	s_waitcnt_depctr 0xfff
	v_fma_f32 v8, -v5, v7, 1.0
	v_fmac_f32_e32 v7, v8, v7
	s_delay_alu instid0(VALU_DEP_1) | instskip(NEXT) | instid1(VALU_DEP_1)
	v_mul_f32_e32 v8, v9, v7
	v_fma_f32 v10, -v5, v8, v9
	s_delay_alu instid0(VALU_DEP_1) | instskip(SKIP_1) | instid1(VALU_DEP_2)
	v_fmac_f32_e32 v8, v10, v7
	v_mul_f32_e32 v10, v4, v4
	v_fma_f32 v5, -v5, v8, v9
	s_delay_alu instid0(VALU_DEP_2) | instskip(SKIP_1) | instid1(VALU_DEP_3)
	v_fmaak_f32 v19, s0, v10, 0x3c0881c4
	v_fmaak_f32 v20, s1, v10, 0xbab64f3b
	v_div_fmas_f32 v5, v5, v7, v8
	v_mul_f32_e32 v7, v2, v2
	s_delay_alu instid0(VALU_DEP_4)
	v_fmaak_f32 v19, v10, v19, 0xbe2aaa9d
	v_mul_f32_e32 v16, 0x4f800000, v41
	v_fmaak_f32 v20, v10, v20, 0x3d2aabf7
	v_div_fixup_f32 v5, v5, v41, 0x40a00000
	v_fmaak_f32 v17, s0, v7, 0x3c0881c4
	v_cmp_gt_f32_e64 s0, 0xf800000, v41
	v_fmaak_f32 v18, s1, v7, 0xbab64f3b
	v_mul_f32_e32 v19, v10, v19
	v_dual_mul_f32 v9, v5, v5 :: v_dual_and_b32 v8, 1, v3
	v_lshlrev_b32_e32 v3, 30, v3
	v_and_b32_e32 v11, 1, v6
	v_cndmask_b32_e64 v16, v41, v16, s0
	s_delay_alu instid0(VALU_DEP_4) | instskip(SKIP_3) | instid1(VALU_DEP_4)
	v_fmaak_f32 v14, 0, v9, 0x3a47c962
	v_fmaak_f32 v13, 0, v9, 0x3a15c4d9
	;; [unrolled: 1-line block ×3, first 2 shown]
	v_dual_fmaak_f32 v15, 0, v9, 0x42947983 :: v_dual_lshlrev_b32 v6, 30, v6
	v_fmaak_f32 v14, v9, v14, 0x3d95ca45
	s_delay_alu instid0(VALU_DEP_4) | instskip(SKIP_2) | instid1(VALU_DEP_3)
	v_dual_fmaak_f32 v13, v9, v13, 0x3d8cfeeb :: v_dual_fmac_f32 v4, v4, v19
	v_sqrt_f32_e32 v24, v16
	v_fmaak_f32 v17, v7, v17, 0xbe2aaa9d
	v_fmaak_f32 v14, v9, v14, 0x3f9047f6
	s_delay_alu instid0(VALU_DEP_3)
	v_fmaak_f32 v13, v9, v13, 0x3f8d754e
	v_fmaak_f32 v12, v9, v12, 0x409f6dae
	;; [unrolled: 1-line block ×3, first 2 shown]
	v_mul_f32_e32 v17, v7, v17
	v_fmaak_f32 v15, v9, v15, 0x44840e5d
	v_fmaak_f32 v20, v10, v20, 0xbf000004
	v_cmp_eq_u32_e64 s2, 0, v8
	v_fmaak_f32 v18, v7, v18, 0xbf000004
	v_fmac_f32_e32 v2, v2, v17
	v_fmaak_f32 v13, v9, v13, 0x40a25d18
	v_fmaak_f32 v15, v9, v15, 0x459bd349
	v_fma_f32 v10, v10, v20, 1.0
	v_fma_f32 v7, v7, v18, 1.0
	v_and_b32_e32 v3, 0x80000000, v3
	v_dual_fmaak_f32 v14, v9, v14, 0x40a39628 :: v_dual_add_nc_u32 v19, -1, v24
	v_fmaak_f32 v13, v9, v13, 0x410665cf
	v_fmaak_f32 v15, v9, v15, 0x46156947
	v_cndmask_b32_e64 v2, v7, v2, s2
	v_cmp_eq_u32_e64 s2, 0, v11
	v_fmaak_f32 v14, v9, v14, 0x4106c8e4
	v_fmaak_f32 v13, v9, v13, 0x40a6b6ea
	;; [unrolled: 1-line block ×3, first 2 shown]
	v_fma_f32 v7, -v19, v24, v16
	v_cndmask_b32_e64 v4, -v4, v10, s2
	v_fmaak_f32 v14, v9, v14, 0x40a6dd51
	v_fma_f32 v13, v9, v13, 1.0
	v_fmaak_f32 v15, v9, v15, 0x4530a316
	v_xor3_b32 v1, v1, v3, v2
	v_and_b32_e32 v6, 0x80000000, v6
	v_fma_f32 v14, v9, v14, 1.0
	s_delay_alu instid0(VALU_DEP_4) | instskip(NEXT) | instid1(VALU_DEP_3)
	v_fmaak_f32 v15, v9, v15, 0x43a80bfb
	v_xor_b32_e32 v4, v6, v4
	s_delay_alu instid0(VALU_DEP_3) | instskip(SKIP_1) | instid1(VALU_DEP_1)
	v_div_scale_f32 v27, vcc_lo, v14, v13, v14
	v_fmaak_f32 v12, v9, v12, 0x4297a5cd
	v_fmaak_f32 v12, v9, v12, 0x43b763ca
	s_delay_alu instid0(VALU_DEP_1) | instskip(NEXT) | instid1(VALU_DEP_1)
	v_fmaak_f32 v12, v9, v12, 0x4431b6ce
	v_fmaak_f32 v12, v9, v12, 0x44155f56
	s_delay_alu instid0(VALU_DEP_1) | instskip(NEXT) | instid1(VALU_DEP_1)
	v_fmaak_f32 v12, v9, v12, 0x4353b052
	v_fmaak_f32 v9, v9, v12, 0x41c9a7fa
	v_div_scale_f32 v12, null, v13, v13, v14
	s_delay_alu instid0(VALU_DEP_2) | instskip(NEXT) | instid1(VALU_DEP_2)
	v_div_scale_f32 v21, null, v15, v15, v9
	v_rcp_f32_e32 v22, v12
	s_delay_alu instid0(VALU_DEP_1) | instskip(SKIP_3) | instid1(VALU_DEP_2)
	v_rcp_f32_e32 v23, v21
	s_waitcnt_depctr 0xfff
	v_fma_f32 v25, -v12, v22, 1.0
	v_fma_f32 v26, -v21, v23, 1.0
	v_fmac_f32_e32 v22, v25, v22
	v_div_scale_f32 v25, s1, v9, v15, v9
	s_delay_alu instid0(VALU_DEP_3) | instskip(NEXT) | instid1(VALU_DEP_1)
	v_dual_fmac_f32 v23, v26, v23 :: v_dual_add_nc_u32 v26, 1, v24
	v_dual_mul_f32 v17, v27, v22 :: v_dual_mul_f32 v18, v25, v23
	s_delay_alu instid0(VALU_DEP_2) | instskip(NEXT) | instid1(VALU_DEP_2)
	v_fma_f32 v8, -v26, v24, v16
	v_fma_f32 v20, -v12, v17, v27
	s_delay_alu instid0(VALU_DEP_3) | instskip(NEXT) | instid1(VALU_DEP_2)
	v_fma_f32 v28, -v21, v18, v25
	v_fmac_f32_e32 v17, v20, v22
	s_delay_alu instid0(VALU_DEP_2) | instskip(NEXT) | instid1(VALU_DEP_2)
	v_fmac_f32_e32 v18, v28, v23
	v_fma_f32 v10, -v12, v17, v27
	s_delay_alu instid0(VALU_DEP_2) | instskip(NEXT) | instid1(VALU_DEP_2)
	v_fma_f32 v2, -v21, v18, v25
	v_div_fmas_f32 v3, v10, v22, v17
	s_mov_b32 vcc_lo, s1
	v_cmp_lt_f32_e64 s1, 0, v8
	s_delay_alu instid0(VALU_DEP_3)
	v_div_fmas_f32 v2, v2, v23, v18
	v_cmp_ge_f32_e32 vcc_lo, 0, v7
	v_div_fixup_f32 v3, v3, v13, v14
	v_cndmask_b32_e32 v6, v24, v19, vcc_lo
	v_cmp_class_f32_e64 vcc_lo, v0, 0x1f8
	v_div_fixup_f32 v0, v2, v15, v9
	s_delay_alu instid0(VALU_DEP_3) | instskip(SKIP_1) | instid1(VALU_DEP_3)
	v_cndmask_b32_e64 v2, v6, v26, s1
	v_cndmask_b32_e32 v4, 0x7fc00000, v4, vcc_lo
	v_dual_mul_f32 v0, v5, v0 :: v_dual_cndmask_b32 v1, 0x7fc00000, v1
	v_cmp_class_f32_e64 vcc_lo, v16, 0x260
	s_delay_alu instid0(VALU_DEP_2) | instskip(NEXT) | instid1(VALU_DEP_1)
	v_dual_mul_f32 v5, 0x37800000, v2 :: v_dual_mul_f32 v0, v0, v4
	v_cndmask_b32_e64 v2, v2, v5, s0
	s_delay_alu instid0(VALU_DEP_1) | instskip(NEXT) | instid1(VALU_DEP_1)
	v_dual_fmac_f32 v0, v3, v1 :: v_dual_cndmask_b32 v1, v2, v16
	v_mul_f32_e32 v0, 0x3f4c422a, v0
	s_delay_alu instid0(VALU_DEP_1) | instskip(NEXT) | instid1(VALU_DEP_1)
	v_div_scale_f32 v2, null, v1, v1, v0
	v_rcp_f32_e32 v3, v2
	s_waitcnt_depctr 0xfff
	v_fma_f32 v4, -v2, v3, 1.0
	s_delay_alu instid0(VALU_DEP_1) | instskip(SKIP_1) | instid1(VALU_DEP_1)
	v_fmac_f32_e32 v3, v4, v3
	v_div_scale_f32 v4, vcc_lo, v0, v1, v0
	v_mul_f32_e32 v5, v4, v3
	s_delay_alu instid0(VALU_DEP_1) | instskip(NEXT) | instid1(VALU_DEP_1)
	v_fma_f32 v6, -v2, v5, v4
	v_fmac_f32_e32 v5, v6, v3
	s_delay_alu instid0(VALU_DEP_1) | instskip(NEXT) | instid1(VALU_DEP_1)
	v_fma_f32 v2, -v2, v5, v4
	v_div_fmas_f32 v2, v2, v3, v5
	s_delay_alu instid0(VALU_DEP_1)
	v_div_fixup_f32 v46, v2, v1, v0
.LBB22_1540:
	s_or_b32 exec_lo, exec_lo, s3
	v_mul_lo_u32 v0, s41, v56
	v_cmp_gt_i16_e32 vcc_lo, 11, v47
	s_delay_alu instid0(VALU_DEP_2) | instskip(SKIP_1) | instid1(VALU_DEP_1)
	v_ashrrev_i32_e32 v1, 31, v0
	v_add_co_u32 v0, s0, s38, v0
	v_add_co_ci_u32_e64 v1, s0, s39, v1, s0
	s_cbranch_vccnz .LBB22_1547
; %bb.1541:
	v_cmp_lt_i16_e32 vcc_lo, 25, v47
	s_mov_b32 s1, 0
	s_cbranch_vccz .LBB22_1548
; %bb.1542:
	v_cmp_lt_i16_e32 vcc_lo, 28, v47
	s_cbranch_vccz .LBB22_1549
; %bb.1543:
	v_cmp_lt_i16_e32 vcc_lo, 43, v47
	;; [unrolled: 3-line block ×3, first 2 shown]
	s_cbranch_vccz .LBB22_1553
; %bb.1545:
	v_cmp_eq_u16_e32 vcc_lo, 46, v47
	s_mov_b32 s3, 0
	s_cbranch_vccz .LBB22_1556
; %bb.1546:
	global_load_b32 v2, v[0:1], off
	s_mov_b32 s0, 0
	s_mov_b32 s2, -1
	s_waitcnt vmcnt(0)
	v_lshlrev_b32_e32 v41, 16, v2
	s_branch .LBB22_1558
.LBB22_1547:
	s_mov_b32 s0, -1
	s_mov_b32 s2, 0
                                        ; implicit-def: $vgpr41
	s_branch .LBB22_1624
.LBB22_1548:
	s_mov_b32 s3, -1
	s_mov_b32 s2, 0
	s_mov_b32 s0, 0
                                        ; implicit-def: $vgpr41
	s_branch .LBB22_1587
.LBB22_1549:
	s_mov_b32 s3, -1
	s_mov_b32 s2, 0
	s_mov_b32 s0, 0
                                        ; implicit-def: $vgpr41
	s_branch .LBB22_1568
.LBB22_1550:
	s_mov_b32 s3, -1
	s_mov_b32 s2, 0
	s_mov_b32 s0, 0
                                        ; implicit-def: $vgpr41
	s_branch .LBB22_1563
.LBB22_1551:
	s_cbranch_execnz .LBB22_1554
; %bb.1552:
	s_or_b32 s35, s35, exec_lo
                                        ; implicit-def: $vgpr41
	s_cbranch_execz .LBB22_1521
	s_branch .LBB22_1522
.LBB22_1553:
	s_mov_b32 s3, -1
	s_mov_b32 s2, 0
	s_mov_b32 s0, 0
	s_branch .LBB22_1557
.LBB22_1554:
	s_trap 2
	s_sendmsg_rtn_b32 s0, sendmsg(MSG_RTN_GET_DOORBELL)
	s_mov_b32 ttmp2, m0
	s_waitcnt lgkmcnt(0)
	s_and_b32 s0, s0, 0x3ff
	s_delay_alu instid0(SALU_CYCLE_1) | instskip(NEXT) | instid1(SALU_CYCLE_1)
	s_bitset1_b32 s0, 10
	s_mov_b32 m0, s0
	s_sendmsg sendmsg(MSG_INTERRUPT)
	s_mov_b32 m0, ttmp2
.LBB22_1555:                            ; =>This Inner Loop Header: Depth=1
	s_sethalt 5
	s_branch .LBB22_1555
.LBB22_1556:
	s_mov_b32 s0, -1
	s_mov_b32 s2, 0
.LBB22_1557:
                                        ; implicit-def: $vgpr41
.LBB22_1558:
	s_and_b32 vcc_lo, exec_lo, s3
	s_cbranch_vccz .LBB22_1562
; %bb.1559:
	v_cmp_eq_u16_e32 vcc_lo, 44, v47
	s_cbranch_vccz .LBB22_1561
; %bb.1560:
	global_load_u8 v2, v[0:1], off
	s_mov_b32 s0, 0
	s_mov_b32 s2, -1
	s_waitcnt vmcnt(0)
	v_lshlrev_b32_e32 v3, 23, v2
	v_cmp_ne_u32_e32 vcc_lo, 0xff, v2
	s_delay_alu instid0(VALU_DEP_2) | instskip(SKIP_1) | instid1(VALU_DEP_2)
	v_cndmask_b32_e32 v3, 0x7f800001, v3, vcc_lo
	v_cmp_ne_u32_e32 vcc_lo, 0, v2
	v_cndmask_b32_e32 v41, 0x400000, v3, vcc_lo
	s_branch .LBB22_1562
.LBB22_1561:
	s_mov_b32 s0, -1
                                        ; implicit-def: $vgpr41
.LBB22_1562:
	s_mov_b32 s3, 0
.LBB22_1563:
	s_delay_alu instid0(SALU_CYCLE_1)
	s_and_b32 vcc_lo, exec_lo, s3
	s_cbranch_vccz .LBB22_1567
; %bb.1564:
	v_cmp_eq_u16_e32 vcc_lo, 29, v47
	s_cbranch_vccz .LBB22_1566
; %bb.1565:
	global_load_b64 v[2:3], v[0:1], off
	s_mov_b32 s0, 0
	s_mov_b32 s2, -1
	s_mov_b32 s3, 0
	s_waitcnt vmcnt(0)
	v_clz_i32_u32_e32 v4, v3
	s_delay_alu instid0(VALU_DEP_1) | instskip(NEXT) | instid1(VALU_DEP_1)
	v_min_u32_e32 v4, 32, v4
	v_lshlrev_b64 v[2:3], v4, v[2:3]
	s_delay_alu instid0(VALU_DEP_1) | instskip(NEXT) | instid1(VALU_DEP_1)
	v_min_u32_e32 v2, 1, v2
	v_or_b32_e32 v2, v3, v2
	v_sub_nc_u32_e32 v3, 32, v4
	s_delay_alu instid0(VALU_DEP_2) | instskip(NEXT) | instid1(VALU_DEP_1)
	v_cvt_f32_u32_e32 v2, v2
	v_ldexp_f32 v41, v2, v3
	s_branch .LBB22_1568
.LBB22_1566:
	s_mov_b32 s0, -1
                                        ; implicit-def: $vgpr41
.LBB22_1567:
	s_mov_b32 s3, 0
.LBB22_1568:
	s_delay_alu instid0(SALU_CYCLE_1)
	s_and_b32 vcc_lo, exec_lo, s3
	s_cbranch_vccz .LBB22_1586
; %bb.1569:
	v_cmp_gt_i16_e32 vcc_lo, 27, v47
	s_cbranch_vccnz .LBB22_1572
; %bb.1570:
	v_cmp_lt_i16_e32 vcc_lo, 27, v47
	s_cbranch_vccz .LBB22_1573
; %bb.1571:
	global_load_b32 v2, v[0:1], off
	s_mov_b32 s2, 0
	s_waitcnt vmcnt(0)
	v_cvt_f32_u32_e32 v41, v2
	s_branch .LBB22_1574
.LBB22_1572:
	s_mov_b32 s2, -1
                                        ; implicit-def: $vgpr41
	s_branch .LBB22_1577
.LBB22_1573:
	s_mov_b32 s2, -1
                                        ; implicit-def: $vgpr41
.LBB22_1574:
	s_delay_alu instid0(SALU_CYCLE_1)
	s_and_not1_b32 vcc_lo, exec_lo, s2
	s_cbranch_vccnz .LBB22_1576
; %bb.1575:
	global_load_u16 v2, v[0:1], off
	s_waitcnt vmcnt(0)
	v_cvt_f32_u32_e32 v41, v2
.LBB22_1576:
	s_mov_b32 s2, 0
.LBB22_1577:
	s_delay_alu instid0(SALU_CYCLE_1)
	s_and_not1_b32 vcc_lo, exec_lo, s2
	s_cbranch_vccnz .LBB22_1585
; %bb.1578:
	global_load_u8 v2, v[0:1], off
	s_mov_b32 s2, 0
	s_mov_b32 s4, exec_lo
                                        ; implicit-def: $sgpr3
	s_waitcnt vmcnt(0)
	v_cmpx_lt_i16_e32 0x7f, v2
	s_xor_b32 s4, exec_lo, s4
	s_cbranch_execz .LBB22_1599
; %bb.1579:
	s_mov_b32 s2, -1
	s_mov_b32 s5, exec_lo
                                        ; implicit-def: $sgpr3
	v_cmpx_eq_u16_e32 0x80, v2
; %bb.1580:
	s_mov_b32 s3, 0x7f800001
	s_xor_b32 s2, exec_lo, -1
; %bb.1581:
	s_or_b32 exec_lo, exec_lo, s5
	s_delay_alu instid0(SALU_CYCLE_1)
	s_and_b32 s2, s2, exec_lo
	s_or_saveexec_b32 s4, s4
	v_mov_b32_e32 v41, s3
	s_xor_b32 exec_lo, exec_lo, s4
	s_cbranch_execnz .LBB22_1600
.LBB22_1582:
	s_or_b32 exec_lo, exec_lo, s4
	s_and_saveexec_b32 s3, s2
	s_cbranch_execz .LBB22_1584
.LBB22_1583:
	v_and_b32_e32 v3, 0xffff, v2
	v_lshlrev_b32_e32 v2, 24, v2
	s_delay_alu instid0(VALU_DEP_2) | instskip(NEXT) | instid1(VALU_DEP_2)
	v_and_b32_e32 v4, 7, v3
	v_and_b32_e32 v2, 0x80000000, v2
	s_delay_alu instid0(VALU_DEP_2) | instskip(NEXT) | instid1(VALU_DEP_1)
	v_clz_i32_u32_e32 v5, v4
	v_min_u32_e32 v5, 32, v5
	s_delay_alu instid0(VALU_DEP_1) | instskip(SKIP_1) | instid1(VALU_DEP_2)
	v_subrev_nc_u32_e32 v6, 28, v5
	v_sub_nc_u32_e32 v5, 29, v5
	v_lshlrev_b32_e32 v6, v6, v3
	v_bfe_u32 v3, v3, 3, 4
	s_delay_alu instid0(VALU_DEP_2) | instskip(NEXT) | instid1(VALU_DEP_2)
	v_and_b32_e32 v6, 7, v6
	v_cmp_eq_u32_e32 vcc_lo, 0, v3
	s_delay_alu instid0(VALU_DEP_2) | instskip(NEXT) | instid1(VALU_DEP_1)
	v_dual_cndmask_b32 v3, v3, v5 :: v_dual_cndmask_b32 v4, v4, v6
	v_lshl_add_u32 v3, v3, 23, 0x3b800000
	s_delay_alu instid0(VALU_DEP_2) | instskip(NEXT) | instid1(VALU_DEP_1)
	v_lshlrev_b32_e32 v4, 20, v4
	v_or3_b32 v41, v2, v3, v4
.LBB22_1584:
	s_or_b32 exec_lo, exec_lo, s3
.LBB22_1585:
	s_mov_b32 s2, -1
.LBB22_1586:
	s_mov_b32 s3, 0
.LBB22_1587:
	s_delay_alu instid0(SALU_CYCLE_1)
	s_and_b32 vcc_lo, exec_lo, s3
	s_cbranch_vccz .LBB22_1620
; %bb.1588:
	v_cmp_lt_i16_e32 vcc_lo, 22, v47
	s_cbranch_vccz .LBB22_1598
; %bb.1589:
	v_cmp_gt_i16_e32 vcc_lo, 24, v47
	s_cbranch_vccnz .LBB22_1601
; %bb.1590:
	v_cmp_lt_i16_e32 vcc_lo, 24, v47
	s_cbranch_vccz .LBB22_1602
; %bb.1591:
	global_load_u8 v2, v[0:1], off
	s_mov_b32 s3, exec_lo
                                        ; implicit-def: $sgpr2
	s_waitcnt vmcnt(0)
	v_cmpx_lt_i16_e32 0x7f, v2
	s_xor_b32 s3, exec_lo, s3
	s_cbranch_execz .LBB22_1614
; %bb.1592:
	s_mov_b32 s1, -1
	s_mov_b32 s4, exec_lo
                                        ; implicit-def: $sgpr2
	v_cmpx_eq_u16_e32 0x80, v2
; %bb.1593:
	s_mov_b32 s2, 0x7f800001
	s_xor_b32 s1, exec_lo, -1
; %bb.1594:
	s_or_b32 exec_lo, exec_lo, s4
	s_delay_alu instid0(SALU_CYCLE_1)
	s_and_b32 s1, s1, exec_lo
	s_or_saveexec_b32 s3, s3
	v_mov_b32_e32 v41, s2
	s_xor_b32 exec_lo, exec_lo, s3
	s_cbranch_execnz .LBB22_1615
.LBB22_1595:
	s_or_b32 exec_lo, exec_lo, s3
	s_and_saveexec_b32 s2, s1
	s_cbranch_execz .LBB22_1597
.LBB22_1596:
	v_and_b32_e32 v3, 0xffff, v2
	v_lshlrev_b32_e32 v2, 24, v2
	s_delay_alu instid0(VALU_DEP_2) | instskip(NEXT) | instid1(VALU_DEP_2)
	v_and_b32_e32 v4, 3, v3
	v_and_b32_e32 v2, 0x80000000, v2
	s_delay_alu instid0(VALU_DEP_2) | instskip(NEXT) | instid1(VALU_DEP_1)
	v_clz_i32_u32_e32 v5, v4
	v_min_u32_e32 v5, 32, v5
	s_delay_alu instid0(VALU_DEP_1) | instskip(SKIP_1) | instid1(VALU_DEP_2)
	v_subrev_nc_u32_e32 v6, 29, v5
	v_sub_nc_u32_e32 v5, 30, v5
	v_lshlrev_b32_e32 v6, v6, v3
	v_bfe_u32 v3, v3, 2, 5
	s_delay_alu instid0(VALU_DEP_2) | instskip(NEXT) | instid1(VALU_DEP_2)
	v_and_b32_e32 v6, 3, v6
	v_cmp_eq_u32_e32 vcc_lo, 0, v3
	s_delay_alu instid0(VALU_DEP_2) | instskip(NEXT) | instid1(VALU_DEP_1)
	v_dual_cndmask_b32 v3, v3, v5 :: v_dual_cndmask_b32 v4, v4, v6
	v_lshl_add_u32 v3, v3, 23, 0x37800000
	s_delay_alu instid0(VALU_DEP_2) | instskip(NEXT) | instid1(VALU_DEP_1)
	v_lshlrev_b32_e32 v4, 21, v4
	v_or3_b32 v41, v2, v3, v4
.LBB22_1597:
	s_or_b32 exec_lo, exec_lo, s2
	s_mov_b32 s1, 0
	s_branch .LBB22_1603
.LBB22_1598:
	s_mov_b32 s1, -1
                                        ; implicit-def: $vgpr41
	s_branch .LBB22_1609
.LBB22_1599:
	s_or_saveexec_b32 s4, s4
	v_mov_b32_e32 v41, s3
	s_xor_b32 exec_lo, exec_lo, s4
	s_cbranch_execz .LBB22_1582
.LBB22_1600:
	v_cmp_ne_u16_e32 vcc_lo, 0, v2
	v_mov_b32_e32 v41, 0
	s_and_not1_b32 s2, s2, exec_lo
	s_and_b32 s3, vcc_lo, exec_lo
	s_delay_alu instid0(SALU_CYCLE_1)
	s_or_b32 s2, s2, s3
	s_or_b32 exec_lo, exec_lo, s4
	s_and_saveexec_b32 s3, s2
	s_cbranch_execnz .LBB22_1583
	s_branch .LBB22_1584
.LBB22_1601:
	s_mov_b32 s1, -1
                                        ; implicit-def: $vgpr41
	s_branch .LBB22_1606
.LBB22_1602:
	s_mov_b32 s1, -1
                                        ; implicit-def: $vgpr41
.LBB22_1603:
	s_delay_alu instid0(SALU_CYCLE_1)
	s_and_b32 vcc_lo, exec_lo, s1
	s_cbranch_vccz .LBB22_1605
; %bb.1604:
	global_load_u8 v2, v[0:1], off
	s_waitcnt vmcnt(0)
	v_lshlrev_b32_e32 v2, 24, v2
	s_delay_alu instid0(VALU_DEP_1) | instskip(NEXT) | instid1(VALU_DEP_1)
	v_and_b32_e32 v3, 0x7f000000, v2
	v_clz_i32_u32_e32 v4, v3
	v_add_nc_u32_e32 v6, 0x1000000, v3
	v_cmp_ne_u32_e32 vcc_lo, 0, v3
	s_delay_alu instid0(VALU_DEP_3) | instskip(NEXT) | instid1(VALU_DEP_1)
	v_min_u32_e32 v4, 32, v4
	v_sub_nc_u32_e64 v4, v4, 4 clamp
	s_delay_alu instid0(VALU_DEP_1) | instskip(SKIP_1) | instid1(VALU_DEP_2)
	v_lshlrev_b32_e32 v5, v4, v3
	v_lshlrev_b32_e32 v4, 23, v4
	v_lshrrev_b32_e32 v5, 4, v5
	s_delay_alu instid0(VALU_DEP_1) | instskip(SKIP_1) | instid1(VALU_DEP_2)
	v_sub_nc_u32_e32 v4, v5, v4
	v_ashrrev_i32_e32 v5, 8, v6
	v_add_nc_u32_e32 v4, 0x3c000000, v4
	s_delay_alu instid0(VALU_DEP_1) | instskip(NEXT) | instid1(VALU_DEP_1)
	v_and_or_b32 v4, 0x7f800000, v5, v4
	v_cndmask_b32_e32 v3, 0, v4, vcc_lo
	s_delay_alu instid0(VALU_DEP_1)
	v_and_or_b32 v41, 0x80000000, v2, v3
.LBB22_1605:
	s_mov_b32 s1, 0
.LBB22_1606:
	s_delay_alu instid0(SALU_CYCLE_1)
	s_and_not1_b32 vcc_lo, exec_lo, s1
	s_cbranch_vccnz .LBB22_1608
; %bb.1607:
	global_load_u8 v2, v[0:1], off
	s_waitcnt vmcnt(0)
	v_lshlrev_b32_e32 v3, 25, v2
	v_lshlrev_b16 v2, 8, v2
	s_delay_alu instid0(VALU_DEP_2) | instskip(NEXT) | instid1(VALU_DEP_2)
	v_lshrrev_b32_e32 v4, 4, v3
	v_and_or_b32 v5, 0x7f00, v2, 0.5
	v_bfe_i32 v2, v2, 0, 16
	s_delay_alu instid0(VALU_DEP_3) | instskip(NEXT) | instid1(VALU_DEP_1)
	v_or_b32_e32 v4, 0x70000000, v4
	v_dual_add_f32 v5, -0.5, v5 :: v_dual_mul_f32 v4, 0x7800000, v4
	v_cmp_gt_u32_e32 vcc_lo, 0x8000000, v3
	s_delay_alu instid0(VALU_DEP_2) | instskip(NEXT) | instid1(VALU_DEP_1)
	v_cndmask_b32_e32 v3, v4, v5, vcc_lo
	v_and_or_b32 v41, 0x80000000, v2, v3
.LBB22_1608:
	s_mov_b32 s1, 0
	s_mov_b32 s2, -1
.LBB22_1609:
	s_and_not1_b32 vcc_lo, exec_lo, s1
	s_mov_b32 s1, 0
	s_cbranch_vccnz .LBB22_1620
; %bb.1610:
	v_cmp_lt_i16_e32 vcc_lo, 14, v47
	s_cbranch_vccz .LBB22_1613
; %bb.1611:
	v_cmp_eq_u16_e32 vcc_lo, 15, v47
	s_cbranch_vccz .LBB22_1616
; %bb.1612:
	global_load_u16 v2, v[0:1], off
	s_mov_b32 s0, 0
	s_mov_b32 s2, -1
	s_waitcnt vmcnt(0)
	v_lshlrev_b32_e32 v41, 16, v2
	s_branch .LBB22_1618
.LBB22_1613:
	s_mov_b32 s1, -1
	s_branch .LBB22_1617
.LBB22_1614:
	s_or_saveexec_b32 s3, s3
	v_mov_b32_e32 v41, s2
	s_xor_b32 exec_lo, exec_lo, s3
	s_cbranch_execz .LBB22_1595
.LBB22_1615:
	v_cmp_ne_u16_e32 vcc_lo, 0, v2
	v_mov_b32_e32 v41, 0
	s_and_not1_b32 s1, s1, exec_lo
	s_and_b32 s2, vcc_lo, exec_lo
	s_delay_alu instid0(SALU_CYCLE_1)
	s_or_b32 s1, s1, s2
	s_or_b32 exec_lo, exec_lo, s3
	s_and_saveexec_b32 s2, s1
	s_cbranch_execnz .LBB22_1596
	s_branch .LBB22_1597
.LBB22_1616:
	s_mov_b32 s0, -1
.LBB22_1617:
                                        ; implicit-def: $vgpr41
.LBB22_1618:
	s_and_b32 vcc_lo, exec_lo, s1
	s_mov_b32 s1, 0
	s_cbranch_vccz .LBB22_1620
; %bb.1619:
	v_cmp_ne_u16_e64 s0, 11, v47
	s_mov_b32 s1, -1
                                        ; implicit-def: $vgpr41
.LBB22_1620:
	s_delay_alu instid0(VALU_DEP_1)
	s_and_b32 vcc_lo, exec_lo, s0
	s_cbranch_vccnz .LBB22_2170
; %bb.1621:
	s_and_not1_b32 vcc_lo, exec_lo, s1
	s_cbranch_vccnz .LBB22_1623
.LBB22_1622:
	global_load_u8 v2, v[0:1], off
	s_mov_b32 s2, -1
	s_waitcnt vmcnt(0)
	v_cmp_ne_u16_e32 vcc_lo, 0, v2
	v_cndmask_b32_e64 v41, 0, 1.0, vcc_lo
.LBB22_1623:
	s_mov_b32 s0, 0
.LBB22_1624:
	s_delay_alu instid0(SALU_CYCLE_1)
	s_and_b32 vcc_lo, exec_lo, s0
	s_cbranch_vccz .LBB22_1673
; %bb.1625:
	v_cmp_gt_i16_e32 vcc_lo, 5, v47
	s_cbranch_vccnz .LBB22_1630
; %bb.1626:
	v_cmp_gt_i16_e32 vcc_lo, 8, v47
	s_cbranch_vccnz .LBB22_1631
	;; [unrolled: 3-line block ×3, first 2 shown]
; %bb.1628:
	v_cmp_lt_i16_e32 vcc_lo, 9, v47
	s_cbranch_vccz .LBB22_1633
; %bb.1629:
	global_load_b64 v[2:3], v[0:1], off
	s_mov_b32 s0, 0
	s_waitcnt vmcnt(0)
	v_cvt_f32_f64_e32 v41, v[2:3]
	s_branch .LBB22_1634
.LBB22_1630:
	s_mov_b32 s0, -1
                                        ; implicit-def: $vgpr41
	s_branch .LBB22_1652
.LBB22_1631:
	s_mov_b32 s0, -1
                                        ; implicit-def: $vgpr41
	s_branch .LBB22_1640
.LBB22_1632:
	s_mov_b32 s0, -1
                                        ; implicit-def: $vgpr41
	s_branch .LBB22_1637
.LBB22_1633:
	s_mov_b32 s0, -1
                                        ; implicit-def: $vgpr41
.LBB22_1634:
	s_delay_alu instid0(SALU_CYCLE_1)
	s_and_not1_b32 vcc_lo, exec_lo, s0
	s_cbranch_vccnz .LBB22_1636
; %bb.1635:
	global_load_b32 v41, v[0:1], off
.LBB22_1636:
	s_mov_b32 s0, 0
.LBB22_1637:
	s_delay_alu instid0(SALU_CYCLE_1)
	s_and_not1_b32 vcc_lo, exec_lo, s0
	s_cbranch_vccnz .LBB22_1639
; %bb.1638:
	global_load_b32 v2, v[0:1], off
	s_waitcnt vmcnt(0)
	v_cvt_f32_f16_e32 v41, v2
.LBB22_1639:
	s_mov_b32 s0, 0
.LBB22_1640:
	s_delay_alu instid0(SALU_CYCLE_1)
	s_and_not1_b32 vcc_lo, exec_lo, s0
	s_cbranch_vccnz .LBB22_1651
; %bb.1641:
	v_cmp_gt_i16_e32 vcc_lo, 6, v47
	s_cbranch_vccnz .LBB22_1644
; %bb.1642:
	v_cmp_lt_i16_e32 vcc_lo, 6, v47
	s_cbranch_vccz .LBB22_1645
; %bb.1643:
	global_load_b64 v[2:3], v[0:1], off
	s_mov_b32 s0, 0
	s_waitcnt vmcnt(0)
	v_cvt_f32_f64_e32 v41, v[2:3]
	s_branch .LBB22_1646
.LBB22_1644:
	s_mov_b32 s0, -1
                                        ; implicit-def: $vgpr41
	s_branch .LBB22_1649
.LBB22_1645:
	s_mov_b32 s0, -1
                                        ; implicit-def: $vgpr41
.LBB22_1646:
	s_delay_alu instid0(SALU_CYCLE_1)
	s_and_not1_b32 vcc_lo, exec_lo, s0
	s_cbranch_vccnz .LBB22_1648
; %bb.1647:
	global_load_b32 v41, v[0:1], off
.LBB22_1648:
	s_mov_b32 s0, 0
.LBB22_1649:
	s_delay_alu instid0(SALU_CYCLE_1)
	s_and_not1_b32 vcc_lo, exec_lo, s0
	s_cbranch_vccnz .LBB22_1651
; %bb.1650:
	global_load_u16 v2, v[0:1], off
	s_waitcnt vmcnt(0)
	v_cvt_f32_f16_e32 v41, v2
.LBB22_1651:
	s_mov_b32 s0, 0
.LBB22_1652:
	s_delay_alu instid0(SALU_CYCLE_1)
	s_and_not1_b32 vcc_lo, exec_lo, s0
	s_cbranch_vccnz .LBB22_1672
; %bb.1653:
	v_cmp_gt_i16_e32 vcc_lo, 2, v47
	s_cbranch_vccnz .LBB22_1657
; %bb.1654:
	v_cmp_gt_i16_e32 vcc_lo, 3, v47
	s_cbranch_vccnz .LBB22_1658
; %bb.1655:
	v_cmp_lt_i16_e32 vcc_lo, 3, v47
	s_cbranch_vccz .LBB22_1659
; %bb.1656:
	global_load_b64 v[2:3], v[0:1], off
	s_mov_b32 s0, 0
	s_waitcnt vmcnt(0)
	v_xor_b32_e32 v4, v2, v3
	v_cls_i32_e32 v5, v3
	s_delay_alu instid0(VALU_DEP_2) | instskip(NEXT) | instid1(VALU_DEP_2)
	v_ashrrev_i32_e32 v4, 31, v4
	v_add_nc_u32_e32 v5, -1, v5
	s_delay_alu instid0(VALU_DEP_2) | instskip(NEXT) | instid1(VALU_DEP_1)
	v_add_nc_u32_e32 v4, 32, v4
	v_min_u32_e32 v4, v5, v4
	s_delay_alu instid0(VALU_DEP_1) | instskip(NEXT) | instid1(VALU_DEP_1)
	v_lshlrev_b64 v[2:3], v4, v[2:3]
	v_min_u32_e32 v2, 1, v2
	s_delay_alu instid0(VALU_DEP_1) | instskip(SKIP_1) | instid1(VALU_DEP_2)
	v_or_b32_e32 v2, v3, v2
	v_sub_nc_u32_e32 v3, 32, v4
	v_cvt_f32_i32_e32 v2, v2
	s_delay_alu instid0(VALU_DEP_1)
	v_ldexp_f32 v41, v2, v3
	s_branch .LBB22_1660
.LBB22_1657:
	s_mov_b32 s0, -1
                                        ; implicit-def: $vgpr41
	s_branch .LBB22_1666
.LBB22_1658:
	s_mov_b32 s0, -1
                                        ; implicit-def: $vgpr41
	s_branch .LBB22_1663
.LBB22_1659:
	s_mov_b32 s0, -1
                                        ; implicit-def: $vgpr41
.LBB22_1660:
	s_delay_alu instid0(SALU_CYCLE_1)
	s_and_not1_b32 vcc_lo, exec_lo, s0
	s_cbranch_vccnz .LBB22_1662
; %bb.1661:
	global_load_b32 v2, v[0:1], off
	s_waitcnt vmcnt(0)
	v_cvt_f32_i32_e32 v41, v2
.LBB22_1662:
	s_mov_b32 s0, 0
.LBB22_1663:
	s_delay_alu instid0(SALU_CYCLE_1)
	s_and_not1_b32 vcc_lo, exec_lo, s0
	s_cbranch_vccnz .LBB22_1665
; %bb.1664:
	global_load_i16 v2, v[0:1], off
	s_waitcnt vmcnt(0)
	v_cvt_f32_i32_e32 v41, v2
.LBB22_1665:
	s_mov_b32 s0, 0
.LBB22_1666:
	s_delay_alu instid0(SALU_CYCLE_1)
	s_and_not1_b32 vcc_lo, exec_lo, s0
	s_cbranch_vccnz .LBB22_1672
; %bb.1667:
	v_cmp_lt_i16_e32 vcc_lo, 0, v47
	s_mov_b32 s0, 0
	s_cbranch_vccz .LBB22_1669
; %bb.1668:
	global_load_i8 v2, v[0:1], off
	s_waitcnt vmcnt(0)
	v_cvt_f32_i32_e32 v41, v2
	s_branch .LBB22_1670
.LBB22_1669:
	s_mov_b32 s0, -1
                                        ; implicit-def: $vgpr41
.LBB22_1670:
	s_delay_alu instid0(SALU_CYCLE_1)
	s_and_not1_b32 vcc_lo, exec_lo, s0
	s_cbranch_vccnz .LBB22_1672
; %bb.1671:
	global_load_u8 v0, v[0:1], off
	s_waitcnt vmcnt(0)
	v_cvt_f32_ubyte0_e32 v41, v0
.LBB22_1672:
	s_mov_b32 s2, -1
.LBB22_1673:
	s_delay_alu instid0(SALU_CYCLE_1)
	s_and_not1_b32 vcc_lo, exec_lo, s2
	s_cbranch_vccnz .LBB22_1683
; %bb.1674:
                                        ; implicit-def: $vgpr0
	s_mov_b32 s0, exec_lo
	s_waitcnt vmcnt(0)
	s_delay_alu instid0(VALU_DEP_1)
	v_cmpx_ge_f32_e32 0x40a00000, v41
	s_xor_b32 s38, exec_lo, s0
	s_cbranch_execz .LBB22_1680
; %bb.1675:
	v_mov_b32_e32 v0, 0xff800000
	s_mov_b32 s39, exec_lo
	v_cmpx_neq_f32_e32 0, v41
	s_cbranch_execz .LBB22_1679
; %bb.1676:
	v_mov_b32_e32 v0, 0x7fc00000
	s_mov_b32 s41, exec_lo
	v_cmpx_nge_f32_e32 0, v41
	s_cbranch_execz .LBB22_1678
; %bb.1677:
	v_mul_f32_e32 v0, v41, v41
	s_getpc_b64 s[0:1]
	s_add_u32 s0, s0, _Z17bessel_j1_forwardIfET_S0_@rel32@lo+4
	s_addc_u32 s1, s1, _Z17bessel_j1_forwardIfET_S0_@rel32@hi+12
	s_delay_alu instid0(VALU_DEP_1) | instskip(SKIP_1) | instid1(VALU_DEP_2)
	v_fmaak_f32 v1, 0, v0, 0x4414934d
	v_fmaak_f32 v2, 0, v0, 0x4e9695f3
	;; [unrolled: 1-line block ×3, first 2 shown]
	s_delay_alu instid0(VALU_DEP_2) | instskip(NEXT) | instid1(VALU_DEP_2)
	v_fmaak_f32 v2, v0, v2, 0xd316b96b
	v_fmaak_f32 v1, v0, v1, 0x4c8c277d
	s_delay_alu instid0(VALU_DEP_2) | instskip(NEXT) | instid1(VALU_DEP_2)
	v_fmaak_f32 v2, v0, v2, 0x56d04aa6
	v_fmaak_f32 v1, v0, v1, 0x508bc61d
	;; [unrolled: 3-line block ×5, first 2 shown]
	s_delay_alu instid0(VALU_DEP_1) | instskip(NEXT) | instid1(VALU_DEP_1)
	v_fmaak_f32 v0, v0, v1, 0x5e5c878d
	v_div_scale_f32 v1, null, v0, v0, v2
	v_div_scale_f32 v5, vcc_lo, v2, v0, v2
	s_delay_alu instid0(VALU_DEP_2) | instskip(SKIP_2) | instid1(VALU_DEP_1)
	v_rcp_f32_e32 v3, v1
	s_waitcnt_depctr 0xfff
	v_fma_f32 v4, -v1, v3, 1.0
	v_fmac_f32_e32 v3, v4, v3
	s_delay_alu instid0(VALU_DEP_1) | instskip(NEXT) | instid1(VALU_DEP_1)
	v_mul_f32_e32 v4, v5, v3
	v_fma_f32 v6, -v1, v4, v5
	s_delay_alu instid0(VALU_DEP_1) | instskip(NEXT) | instid1(VALU_DEP_1)
	v_fmac_f32_e32 v4, v6, v3
	v_fma_f32 v1, -v1, v4, v5
	s_delay_alu instid0(VALU_DEP_1) | instskip(NEXT) | instid1(VALU_DEP_1)
	v_div_fmas_f32 v1, v1, v3, v4
	v_div_fixup_f32 v47, v1, v0, v2
	v_mov_b32_e32 v0, v41
	s_swappc_b64 s[30:31], s[0:1]
	v_div_scale_f32 v1, null, v41, v41, -1.0
	v_cmp_gt_f32_e32 vcc_lo, 0x800000, v41
	v_div_scale_f32 v5, s0, -1.0, v41, -1.0
	s_delay_alu instid0(VALU_DEP_3) | instskip(SKIP_3) | instid1(VALU_DEP_1)
	v_rcp_f32_e32 v3, v1
	v_cndmask_b32_e64 v2, 1.0, 0x4f800000, vcc_lo
	s_waitcnt_depctr 0xfff
	v_fma_f32 v4, -v1, v3, 1.0
	v_dual_mul_f32 v2, v41, v2 :: v_dual_fmac_f32 v3, v4, v3
	s_delay_alu instid0(VALU_DEP_1) | instskip(SKIP_3) | instid1(VALU_DEP_2)
	v_log_f32_e32 v2, v2
	s_waitcnt_depctr 0xfff
	v_mul_f32_e32 v4, 0x3f317217, v2
	v_cmp_gt_f32_e64 s1, 0x7f800000, |v2|
	v_fma_f32 v7, 0x3f317217, v2, -v4
	s_delay_alu instid0(VALU_DEP_1) | instskip(NEXT) | instid1(VALU_DEP_1)
	v_dual_mul_f32 v6, v5, v3 :: v_dual_fmamk_f32 v7, v2, 0x3377d1cf, v7
	v_fma_f32 v8, -v1, v6, v5
	s_delay_alu instid0(VALU_DEP_2) | instskip(NEXT) | instid1(VALU_DEP_2)
	v_add_f32_e32 v4, v4, v7
	v_fmac_f32_e32 v6, v8, v3
	s_delay_alu instid0(VALU_DEP_2) | instskip(NEXT) | instid1(VALU_DEP_2)
	v_cndmask_b32_e64 v2, v2, v4, s1
	v_fma_f32 v1, -v1, v6, v5
	v_cndmask_b32_e64 v4, 0, 0x41b17218, vcc_lo
	s_mov_b32 vcc_lo, s0
	s_delay_alu instid0(VALU_DEP_2) | instskip(NEXT) | instid1(VALU_DEP_2)
	v_div_fmas_f32 v1, v1, v3, v6
	v_sub_f32_e32 v2, v2, v4
	s_delay_alu instid0(VALU_DEP_2) | instskip(NEXT) | instid1(VALU_DEP_1)
	v_div_fixup_f32 v1, v1, v41, -1.0
	v_fmac_f32_e32 v1, v2, v0
	s_delay_alu instid0(VALU_DEP_1) | instskip(NEXT) | instid1(VALU_DEP_1)
	v_mul_f32_e32 v0, 0x3f22f983, v1
	v_fmac_f32_e32 v0, v41, v47
.LBB22_1678:
	s_or_b32 exec_lo, exec_lo, s41
.LBB22_1679:
	s_delay_alu instid0(SALU_CYCLE_1)
	s_or_b32 exec_lo, exec_lo, s39
                                        ; implicit-def: $vgpr41
.LBB22_1680:
	s_and_not1_saveexec_b32 s3, s38
	s_cbranch_execz .LBB22_1735
; %bb.1681:
	v_add_f32_e32 v0, 0xc016cbe4, v41
                                        ; implicit-def: $vgpr3
                                        ; implicit-def: $vgpr2
	s_delay_alu instid0(VALU_DEP_1) | instskip(SKIP_1) | instid1(VALU_DEP_2)
	v_and_b32_e32 v1, 0x7fffffff, v0
	v_cmp_ngt_f32_e64 s4, 0x48000000, |v0|
	v_lshrrev_b32_e32 v5, 23, v1
	s_delay_alu instid0(VALU_DEP_2) | instskip(NEXT) | instid1(SALU_CYCLE_1)
	s_and_saveexec_b32 s0, s4
	s_xor_b32 s5, exec_lo, s0
	s_cbranch_execz .LBB22_1728
; %bb.1682:
	s_mov_b32 s0, 0x7fffff
	v_mov_b32_e32 v4, 0
	v_and_or_b32 v13, v1, s0, 0x800000
	v_add_nc_u32_e32 v11, 0xffffff88, v5
	s_delay_alu instid0(VALU_DEP_2) | instskip(NEXT) | instid1(VALU_DEP_2)
	v_mad_u64_u32 v[2:3], null, 0xfe5163ab, v13, 0
	v_cmp_lt_u32_e32 vcc_lo, 63, v11
	v_cndmask_b32_e64 v12, 0, 0xffffffc0, vcc_lo
	s_delay_alu instid0(VALU_DEP_3) | instskip(NEXT) | instid1(VALU_DEP_1)
	v_mad_u64_u32 v[6:7], null, 0x3c439041, v13, v[3:4]
	v_dual_mov_b32 v3, v7 :: v_dual_add_nc_u32 v12, v12, v11
	s_delay_alu instid0(VALU_DEP_1) | instskip(NEXT) | instid1(VALU_DEP_2)
	v_cmp_lt_u32_e64 s0, 31, v12
	v_mad_u64_u32 v[7:8], null, 0xdb629599, v13, v[3:4]
	s_delay_alu instid0(VALU_DEP_2) | instskip(NEXT) | instid1(VALU_DEP_1)
	v_cndmask_b32_e64 v14, 0, 0xffffffe0, s0
	v_dual_mov_b32 v3, v8 :: v_dual_add_nc_u32 v14, v14, v12
	s_delay_alu instid0(VALU_DEP_3) | instskip(NEXT) | instid1(VALU_DEP_2)
	v_cndmask_b32_e32 v2, v7, v2, vcc_lo
	v_cmp_lt_u32_e64 s1, 31, v14
	s_delay_alu instid0(VALU_DEP_3) | instskip(NEXT) | instid1(VALU_DEP_1)
	v_mad_u64_u32 v[8:9], null, 0xf534ddc0, v13, v[3:4]
	v_dual_mov_b32 v3, v9 :: v_dual_cndmask_b32 v6, v8, v6
	s_delay_alu instid0(VALU_DEP_1) | instskip(NEXT) | instid1(VALU_DEP_2)
	v_mad_u64_u32 v[9:10], null, 0xfc2757d1, v13, v[3:4]
	v_cndmask_b32_e64 v2, v6, v2, s0
	s_delay_alu instid0(VALU_DEP_2) | instskip(NEXT) | instid1(VALU_DEP_1)
	v_mov_b32_e32 v3, v10
	v_mad_u64_u32 v[10:11], null, 0x4e441529, v13, v[3:4]
	s_delay_alu instid0(VALU_DEP_1) | instskip(NEXT) | instid1(VALU_DEP_1)
	v_mov_b32_e32 v3, v11
	v_mad_u64_u32 v[11:12], null, 0xa2f9836e, v13, v[3:4]
	v_cndmask_b32_e64 v3, 0, 0xffffffe0, s1
	s_delay_alu instid0(VALU_DEP_1) | instskip(NEXT) | instid1(VALU_DEP_3)
	v_dual_cndmask_b32 v4, v10, v8 :: v_dual_add_nc_u32 v3, v3, v14
	v_dual_cndmask_b32 v11, v11, v9 :: v_dual_cndmask_b32 v10, v12, v10
	v_cndmask_b32_e32 v9, v9, v7, vcc_lo
	s_delay_alu instid0(VALU_DEP_3) | instskip(NEXT) | instid1(VALU_DEP_3)
	v_cmp_eq_u32_e64 s2, 0, v3
	v_cndmask_b32_e64 v8, v11, v4, s0
	s_delay_alu instid0(VALU_DEP_4) | instskip(NEXT) | instid1(VALU_DEP_4)
	v_cndmask_b32_e64 v10, v10, v11, s0
	v_cndmask_b32_e64 v4, v4, v9, s0
	v_sub_nc_u32_e32 v11, 32, v3
	v_cndmask_b32_e64 v9, v9, v6, s0
	s_delay_alu instid0(VALU_DEP_4) | instskip(NEXT) | instid1(VALU_DEP_4)
	v_cndmask_b32_e64 v10, v10, v8, s1
	v_cndmask_b32_e64 v8, v8, v4, s1
	s_delay_alu instid0(VALU_DEP_3) | instskip(SKIP_1) | instid1(VALU_DEP_3)
	v_cndmask_b32_e64 v4, v4, v9, s1
	v_cndmask_b32_e64 v2, v9, v2, s1
	v_alignbit_b32 v12, v10, v8, v11
	s_delay_alu instid0(VALU_DEP_3) | instskip(NEXT) | instid1(VALU_DEP_3)
	v_alignbit_b32 v13, v8, v4, v11
	v_alignbit_b32 v11, v4, v2, v11
	s_delay_alu instid0(VALU_DEP_3) | instskip(NEXT) | instid1(VALU_DEP_3)
	v_cndmask_b32_e64 v3, v12, v10, s2
	v_cndmask_b32_e64 v7, v13, v8, s2
	s_delay_alu instid0(VALU_DEP_3) | instskip(NEXT) | instid1(VALU_DEP_3)
	v_cndmask_b32_e64 v4, v11, v4, s2
	v_bfe_u32 v8, v3, 29, 1
	s_delay_alu instid0(VALU_DEP_3) | instskip(NEXT) | instid1(VALU_DEP_3)
	v_alignbit_b32 v6, v3, v7, 30
	v_alignbit_b32 v7, v7, v4, 30
	;; [unrolled: 1-line block ×3, first 2 shown]
	s_delay_alu instid0(VALU_DEP_4) | instskip(NEXT) | instid1(VALU_DEP_1)
	v_sub_nc_u32_e32 v10, 0, v8
	v_xor_b32_e32 v9, v6, v10
	v_cmp_ne_u32_e32 vcc_lo, v6, v10
	v_xor_b32_e32 v4, v7, v10
	v_xor_b32_e32 v2, v2, v10
	s_delay_alu instid0(VALU_DEP_4) | instskip(NEXT) | instid1(VALU_DEP_1)
	v_clz_i32_u32_e32 v12, v9
	v_add_nc_u32_e32 v11, 1, v12
	s_delay_alu instid0(VALU_DEP_1) | instskip(NEXT) | instid1(VALU_DEP_1)
	v_cndmask_b32_e32 v6, 33, v11, vcc_lo
	v_sub_nc_u32_e32 v7, 32, v6
	s_delay_alu instid0(VALU_DEP_1) | instskip(SKIP_3) | instid1(VALU_DEP_3)
	v_alignbit_b32 v9, v9, v4, v7
	v_alignbit_b32 v2, v4, v2, v7
	v_lshrrev_b32_e32 v4, 29, v3
	v_lshrrev_b32_e32 v3, 30, v3
	v_alignbit_b32 v7, v9, v2, 9
	s_delay_alu instid0(VALU_DEP_3) | instskip(SKIP_1) | instid1(VALU_DEP_4)
	v_lshlrev_b32_e32 v4, 31, v4
	v_alignbit_b32 v9, v6, v9, 9
	v_add_nc_u32_e32 v3, v8, v3
	s_delay_alu instid0(VALU_DEP_4) | instskip(NEXT) | instid1(VALU_DEP_3)
	v_clz_i32_u32_e32 v10, v7
	v_or_b32_e32 v9, v9, v4
	v_or_b32_e32 v4, 0x33800000, v4
	s_delay_alu instid0(VALU_DEP_3) | instskip(NEXT) | instid1(VALU_DEP_3)
	v_min_u32_e32 v10, 32, v10
	v_xor_b32_e32 v9, 1.0, v9
	s_delay_alu instid0(VALU_DEP_2) | instskip(SKIP_1) | instid1(VALU_DEP_3)
	v_sub_nc_u32_e32 v11, 31, v10
	v_add_lshl_u32 v6, v10, v6, 23
	v_mul_f32_e32 v10, 0x3fc90fda, v9
	s_delay_alu instid0(VALU_DEP_3) | instskip(NEXT) | instid1(VALU_DEP_3)
	v_alignbit_b32 v2, v7, v2, v11
	v_sub_nc_u32_e32 v4, v4, v6
	s_delay_alu instid0(VALU_DEP_3) | instskip(NEXT) | instid1(VALU_DEP_3)
	v_fma_f32 v6, 0x3fc90fda, v9, -v10
	v_lshrrev_b32_e32 v2, 9, v2
	s_delay_alu instid0(VALU_DEP_2) | instskip(NEXT) | instid1(VALU_DEP_2)
	v_fmamk_f32 v6, v9, 0x33a22168, v6
	v_or_b32_e32 v2, v4, v2
	s_delay_alu instid0(VALU_DEP_1) | instskip(NEXT) | instid1(VALU_DEP_1)
	v_fmac_f32_e32 v6, 0x3fc90fda, v2
	v_add_f32_e32 v2, v10, v6
	s_or_saveexec_b32 s0, s5
	v_mul_f32_e64 v7, 0x3f22f983, |v0|
	s_xor_b32 exec_lo, exec_lo, s0
	s_branch .LBB22_1729
.LBB22_1683:
	s_mov_b32 s0, 0
	s_mov_b32 s1, 0
                                        ; implicit-def: $vgpr4
                                        ; implicit-def: $vgpr2_vgpr3
                                        ; implicit-def: $vgpr0
.LBB22_1684:
	s_and_not1_b32 s2, s43, exec_lo
	s_and_b32 s3, s35, exec_lo
	s_and_b32 s0, s0, exec_lo
	;; [unrolled: 1-line block ×3, first 2 shown]
	s_or_b32 s43, s2, s3
.LBB22_1685:
	s_or_b32 exec_lo, exec_lo, s42
	s_and_saveexec_b32 s1, s43
	s_cbranch_execz .LBB22_1688
; %bb.1686:
	; divergent unreachable
	s_or_b32 exec_lo, exec_lo, s1
	s_and_saveexec_b32 s1, s35
	s_delay_alu instid0(SALU_CYCLE_1)
	s_xor_b32 s1, exec_lo, s1
	s_cbranch_execnz .LBB22_1689
.LBB22_1687:
	s_or_b32 exec_lo, exec_lo, s1
	s_and_saveexec_b32 s1, s0
	s_cbranch_execnz .LBB22_1690
	s_branch .LBB22_1727
.LBB22_1688:
	s_or_b32 exec_lo, exec_lo, s1
	s_and_saveexec_b32 s1, s35
	s_delay_alu instid0(SALU_CYCLE_1)
	s_xor_b32 s1, exec_lo, s1
	s_cbranch_execz .LBB22_1687
.LBB22_1689:
	v_cmp_neq_f32_e32 vcc_lo, 0, v0
	v_cndmask_b32_e64 v1, 0, 1, vcc_lo
	global_store_b8 v[2:3], v1, off
	s_or_b32 exec_lo, exec_lo, s1
	s_and_saveexec_b32 s1, s0
	s_cbranch_execz .LBB22_1727
.LBB22_1690:
	v_cmp_gt_i16_e32 vcc_lo, 5, v4
	s_mov_b32 s0, -1
	s_cbranch_vccnz .LBB22_1711
; %bb.1691:
	v_cmp_gt_i16_e32 vcc_lo, 8, v4
	s_cbranch_vccnz .LBB22_1701
; %bb.1692:
	v_cmp_gt_i16_e32 vcc_lo, 9, v4
	s_cbranch_vccnz .LBB22_1698
; %bb.1693:
	v_cmp_lt_i16_e32 vcc_lo, 9, v4
	s_cbranch_vccz .LBB22_1695
; %bb.1694:
	v_cvt_f64_f32_e32 v[5:6], v0
	v_mov_b32_e32 v7, 0
	s_mov_b32 s0, 0
	s_delay_alu instid0(VALU_DEP_1)
	v_mov_b32_e32 v8, v7
	global_store_b128 v[2:3], v[5:8], off
.LBB22_1695:
	s_and_not1_b32 vcc_lo, exec_lo, s0
	s_cbranch_vccnz .LBB22_1697
; %bb.1696:
	v_mov_b32_e32 v1, 0
	global_store_b64 v[2:3], v[0:1], off
.LBB22_1697:
	s_mov_b32 s0, 0
.LBB22_1698:
	s_delay_alu instid0(SALU_CYCLE_1)
	s_and_not1_b32 vcc_lo, exec_lo, s0
	s_cbranch_vccnz .LBB22_1700
; %bb.1699:
	v_cvt_f16_f32_e32 v1, v0
	s_delay_alu instid0(VALU_DEP_1)
	v_and_b32_e32 v1, 0xffff, v1
	global_store_b32 v[2:3], v1, off
.LBB22_1700:
	s_mov_b32 s0, 0
.LBB22_1701:
	s_delay_alu instid0(SALU_CYCLE_1)
	s_and_not1_b32 vcc_lo, exec_lo, s0
	s_cbranch_vccnz .LBB22_1710
; %bb.1702:
	v_cmp_gt_i16_e32 vcc_lo, 6, v4
	s_mov_b32 s0, -1
	s_cbranch_vccnz .LBB22_1708
; %bb.1703:
	v_cmp_lt_i16_e32 vcc_lo, 6, v4
	s_cbranch_vccz .LBB22_1705
; %bb.1704:
	v_cvt_f64_f32_e32 v[5:6], v0
	s_mov_b32 s0, 0
	global_store_b64 v[2:3], v[5:6], off
.LBB22_1705:
	s_and_not1_b32 vcc_lo, exec_lo, s0
	s_cbranch_vccnz .LBB22_1707
; %bb.1706:
	global_store_b32 v[2:3], v0, off
.LBB22_1707:
	s_mov_b32 s0, 0
.LBB22_1708:
	s_delay_alu instid0(SALU_CYCLE_1)
	s_and_not1_b32 vcc_lo, exec_lo, s0
	s_cbranch_vccnz .LBB22_1710
; %bb.1709:
	v_cvt_f16_f32_e32 v1, v0
	global_store_b16 v[2:3], v1, off
.LBB22_1710:
	s_mov_b32 s0, 0
.LBB22_1711:
	s_delay_alu instid0(SALU_CYCLE_1)
	s_and_not1_b32 vcc_lo, exec_lo, s0
	s_cbranch_vccnz .LBB22_1727
; %bb.1712:
	v_cmp_gt_i16_e32 vcc_lo, 2, v4
	s_mov_b32 s0, -1
	s_cbranch_vccnz .LBB22_1722
; %bb.1713:
	v_cmp_gt_i16_e32 vcc_lo, 3, v4
	s_cbranch_vccnz .LBB22_1719
; %bb.1714:
	v_cmp_lt_i16_e32 vcc_lo, 3, v4
	s_cbranch_vccz .LBB22_1716
; %bb.1715:
	v_trunc_f32_e32 v1, v0
	s_mov_b32 s0, 0
	s_delay_alu instid0(VALU_DEP_1) | instskip(NEXT) | instid1(VALU_DEP_1)
	v_mul_f32_e64 v5, 0x2f800000, |v1|
	v_floor_f32_e32 v5, v5
	s_delay_alu instid0(VALU_DEP_1) | instskip(SKIP_2) | instid1(VALU_DEP_3)
	v_fma_f32 v6, 0xcf800000, v5, |v1|
	v_ashrrev_i32_e32 v1, 31, v1
	v_cvt_u32_f32_e32 v5, v5
	v_cvt_u32_f32_e32 v6, v6
	s_delay_alu instid0(VALU_DEP_2) | instskip(NEXT) | instid1(VALU_DEP_2)
	v_xor_b32_e32 v7, v5, v1
	v_xor_b32_e32 v6, v6, v1
	s_delay_alu instid0(VALU_DEP_1) | instskip(NEXT) | instid1(VALU_DEP_3)
	v_sub_co_u32 v5, vcc_lo, v6, v1
	v_sub_co_ci_u32_e32 v6, vcc_lo, v7, v1, vcc_lo
	global_store_b64 v[2:3], v[5:6], off
.LBB22_1716:
	s_and_not1_b32 vcc_lo, exec_lo, s0
	s_cbranch_vccnz .LBB22_1718
; %bb.1717:
	v_cvt_i32_f32_e32 v1, v0
	global_store_b32 v[2:3], v1, off
.LBB22_1718:
	s_mov_b32 s0, 0
.LBB22_1719:
	s_delay_alu instid0(SALU_CYCLE_1)
	s_and_not1_b32 vcc_lo, exec_lo, s0
	s_cbranch_vccnz .LBB22_1721
; %bb.1720:
	v_cvt_i32_f32_e32 v1, v0
	global_store_b16 v[2:3], v1, off
.LBB22_1721:
	s_mov_b32 s0, 0
.LBB22_1722:
	s_delay_alu instid0(SALU_CYCLE_1)
	s_and_not1_b32 vcc_lo, exec_lo, s0
	s_cbranch_vccnz .LBB22_1727
; %bb.1723:
	v_cmp_lt_i16_e32 vcc_lo, 0, v4
	s_mov_b32 s0, -1
	s_cbranch_vccz .LBB22_1725
; %bb.1724:
	v_cvt_i32_f32_e32 v1, v0
	s_mov_b32 s0, 0
	global_store_b8 v[2:3], v1, off
.LBB22_1725:
	s_and_not1_b32 vcc_lo, exec_lo, s0
	s_cbranch_vccnz .LBB22_1727
; %bb.1726:
	v_trunc_f32_e32 v0, v0
	s_delay_alu instid0(VALU_DEP_1) | instskip(NEXT) | instid1(VALU_DEP_1)
	v_mul_f32_e64 v1, 0x2f800000, |v0|
	v_floor_f32_e32 v1, v1
	s_delay_alu instid0(VALU_DEP_1) | instskip(SKIP_1) | instid1(VALU_DEP_2)
	v_fma_f32 v1, 0xcf800000, v1, |v0|
	v_ashrrev_i32_e32 v0, 31, v0
	v_cvt_u32_f32_e32 v1, v1
	s_delay_alu instid0(VALU_DEP_1) | instskip(NEXT) | instid1(VALU_DEP_1)
	v_xor_b32_e32 v1, v1, v0
	v_sub_nc_u32_e32 v0, v1, v0
	global_store_b8 v[2:3], v0, off
	s_endpgm
.LBB22_1727:
	s_endpgm
.LBB22_1728:
	s_or_saveexec_b32 s0, s5
	v_mul_f32_e64 v7, 0x3f22f983, |v0|
	s_xor_b32 exec_lo, exec_lo, s0
.LBB22_1729:
	s_delay_alu instid0(VALU_DEP_1) | instskip(NEXT) | instid1(VALU_DEP_1)
	v_rndne_f32_e32 v3, v7
	v_fma_f32 v2, 0xbfc90fda, v3, |v0|
	s_delay_alu instid0(VALU_DEP_1) | instskip(NEXT) | instid1(VALU_DEP_1)
	v_fmamk_f32 v2, v3, 0xb3a22168, v2
	v_fmamk_f32 v2, v3, 0xa7c234c4, v2
	v_cvt_i32_f32_e32 v3, v3
; %bb.1730:
	s_or_b32 exec_lo, exec_lo, s0
                                        ; implicit-def: $vgpr6
                                        ; implicit-def: $vgpr4
	s_and_saveexec_b32 s0, s4
	s_delay_alu instid0(SALU_CYCLE_1)
	s_xor_b32 s4, exec_lo, s0
	s_cbranch_execz .LBB22_1732
; %bb.1731:
	s_mov_b32 s0, 0x7fffff
	v_mov_b32_e32 v8, 0
	v_and_or_b32 v15, v1, s0, 0x800000
	s_delay_alu instid0(VALU_DEP_1) | instskip(NEXT) | instid1(VALU_DEP_1)
	v_mad_u64_u32 v[6:7], null, 0xfe5163ab, v15, 0
	v_mad_u64_u32 v[9:10], null, 0x3c439041, v15, v[7:8]
	s_delay_alu instid0(VALU_DEP_1) | instskip(NEXT) | instid1(VALU_DEP_1)
	v_mov_b32_e32 v7, v10
	v_mad_u64_u32 v[10:11], null, 0xdb629599, v15, v[7:8]
	s_delay_alu instid0(VALU_DEP_1) | instskip(NEXT) | instid1(VALU_DEP_1)
	v_mov_b32_e32 v7, v11
	v_mad_u64_u32 v[11:12], null, 0xf534ddc0, v15, v[7:8]
	s_delay_alu instid0(VALU_DEP_1) | instskip(NEXT) | instid1(VALU_DEP_1)
	v_dual_mov_b32 v7, v12 :: v_dual_add_nc_u32 v12, 0xffffff88, v5
	v_mad_u64_u32 v[4:5], null, 0xfc2757d1, v15, v[7:8]
	s_delay_alu instid0(VALU_DEP_2) | instskip(SKIP_1) | instid1(VALU_DEP_3)
	v_cmp_lt_u32_e32 vcc_lo, 63, v12
	v_cndmask_b32_e64 v13, 0, 0xffffffc0, vcc_lo
	v_dual_mov_b32 v7, v5 :: v_dual_cndmask_b32 v6, v10, v6
	s_delay_alu instid0(VALU_DEP_2) | instskip(NEXT) | instid1(VALU_DEP_2)
	v_add_nc_u32_e32 v5, v13, v12
	v_mad_u64_u32 v[12:13], null, 0x4e441529, v15, v[7:8]
	s_delay_alu instid0(VALU_DEP_2) | instskip(NEXT) | instid1(VALU_DEP_2)
	v_cmp_lt_u32_e64 s0, 31, v5
	v_mov_b32_e32 v7, v13
	s_delay_alu instid0(VALU_DEP_2) | instskip(NEXT) | instid1(VALU_DEP_1)
	v_cndmask_b32_e64 v14, 0, 0xffffffe0, s0
	v_add_nc_u32_e32 v5, v14, v5
	s_delay_alu instid0(VALU_DEP_3) | instskip(SKIP_1) | instid1(VALU_DEP_3)
	v_mad_u64_u32 v[13:14], null, 0xa2f9836e, v15, v[7:8]
	v_cndmask_b32_e32 v8, v12, v11, vcc_lo
	v_cmp_lt_u32_e64 s1, 31, v5
	s_delay_alu instid0(VALU_DEP_3) | instskip(NEXT) | instid1(VALU_DEP_2)
	v_cndmask_b32_e32 v13, v13, v4, vcc_lo
	v_cndmask_b32_e64 v7, 0, 0xffffffe0, s1
	v_cndmask_b32_e32 v12, v14, v12, vcc_lo
	s_delay_alu instid0(VALU_DEP_2) | instskip(SKIP_2) | instid1(VALU_DEP_4)
	v_dual_cndmask_b32 v4, v4, v10 :: v_dual_add_nc_u32 v5, v7, v5
	v_cndmask_b32_e32 v7, v11, v9, vcc_lo
	v_cndmask_b32_e64 v9, v13, v8, s0
	v_cndmask_b32_e64 v11, v12, v13, s0
	s_delay_alu instid0(VALU_DEP_4)
	v_cndmask_b32_e64 v8, v8, v4, s0
	v_sub_nc_u32_e32 v12, 32, v5
	v_cndmask_b32_e64 v4, v4, v7, s0
	v_cmp_eq_u32_e64 s2, 0, v5
	v_cndmask_b32_e64 v11, v11, v9, s1
	v_cndmask_b32_e64 v9, v9, v8, s1
	v_cndmask_b32_e64 v6, v7, v6, s0
	v_cndmask_b32_e64 v8, v8, v4, s1
	s_delay_alu instid0(VALU_DEP_3) | instskip(NEXT) | instid1(VALU_DEP_3)
	v_alignbit_b32 v13, v11, v9, v12
	v_cndmask_b32_e64 v4, v4, v6, s1
	s_delay_alu instid0(VALU_DEP_3) | instskip(NEXT) | instid1(VALU_DEP_3)
	v_alignbit_b32 v14, v9, v8, v12
	v_cndmask_b32_e64 v5, v13, v11, s2
	;; [unrolled: 3-line block ×3, first 2 shown]
	s_delay_alu instid0(VALU_DEP_3) | instskip(NEXT) | instid1(VALU_DEP_3)
	v_bfe_u32 v10, v5, 29, 1
	v_cndmask_b32_e64 v8, v12, v8, s2
	s_delay_alu instid0(VALU_DEP_3) | instskip(NEXT) | instid1(VALU_DEP_3)
	v_alignbit_b32 v7, v5, v9, 30
	v_sub_nc_u32_e32 v11, 0, v10
	s_delay_alu instid0(VALU_DEP_3) | instskip(SKIP_1) | instid1(VALU_DEP_3)
	v_alignbit_b32 v9, v9, v8, 30
	v_alignbit_b32 v4, v8, v4, 30
	v_xor_b32_e32 v6, v7, v11
	v_cmp_ne_u32_e32 vcc_lo, v7, v11
	s_delay_alu instid0(VALU_DEP_4) | instskip(NEXT) | instid1(VALU_DEP_4)
	v_xor_b32_e32 v8, v9, v11
	v_xor_b32_e32 v4, v4, v11
	s_delay_alu instid0(VALU_DEP_4) | instskip(NEXT) | instid1(VALU_DEP_1)
	v_clz_i32_u32_e32 v13, v6
	v_add_nc_u32_e32 v12, 1, v13
	s_delay_alu instid0(VALU_DEP_1) | instskip(NEXT) | instid1(VALU_DEP_1)
	v_cndmask_b32_e32 v7, 33, v12, vcc_lo
	v_sub_nc_u32_e32 v9, 32, v7
	s_delay_alu instid0(VALU_DEP_1) | instskip(SKIP_3) | instid1(VALU_DEP_3)
	v_alignbit_b32 v6, v6, v8, v9
	v_alignbit_b32 v4, v8, v4, v9
	v_lshrrev_b32_e32 v8, 29, v5
	v_lshrrev_b32_e32 v5, 30, v5
	v_alignbit_b32 v9, v6, v4, 9
	s_delay_alu instid0(VALU_DEP_3) | instskip(SKIP_1) | instid1(VALU_DEP_3)
	v_lshlrev_b32_e32 v8, 31, v8
	v_alignbit_b32 v6, v7, v6, 9
	v_clz_i32_u32_e32 v11, v9
	s_delay_alu instid0(VALU_DEP_2) | instskip(SKIP_1) | instid1(VALU_DEP_3)
	v_or_b32_e32 v6, v6, v8
	v_or_b32_e32 v8, 0x33800000, v8
	v_min_u32_e32 v11, 32, v11
	s_delay_alu instid0(VALU_DEP_3) | instskip(NEXT) | instid1(VALU_DEP_2)
	v_xor_b32_e32 v6, 1.0, v6
	v_sub_nc_u32_e32 v12, 31, v11
	v_add_lshl_u32 v7, v11, v7, 23
	s_delay_alu instid0(VALU_DEP_3) | instskip(NEXT) | instid1(VALU_DEP_3)
	v_mul_f32_e32 v11, 0x3fc90fda, v6
	v_alignbit_b32 v4, v9, v4, v12
	s_delay_alu instid0(VALU_DEP_3) | instskip(NEXT) | instid1(VALU_DEP_3)
	v_sub_nc_u32_e32 v7, v8, v7
	v_fma_f32 v8, 0x3fc90fda, v6, -v11
	s_delay_alu instid0(VALU_DEP_3) | instskip(NEXT) | instid1(VALU_DEP_2)
	v_lshrrev_b32_e32 v4, 9, v4
	v_fmamk_f32 v6, v6, 0x33a22168, v8
	s_delay_alu instid0(VALU_DEP_2) | instskip(NEXT) | instid1(VALU_DEP_1)
	v_or_b32_e32 v4, v7, v4
                                        ; implicit-def: $vgpr7
	v_fmac_f32_e32 v6, 0x3fc90fda, v4
	s_delay_alu instid0(VALU_DEP_1)
	v_add_f32_e32 v4, v11, v6
	v_add_nc_u32_e32 v6, v10, v5
	s_and_not1_saveexec_b32 s0, s4
	s_cbranch_execnz .LBB22_1733
	s_branch .LBB22_1734
.LBB22_1732:
	s_and_not1_saveexec_b32 s0, s4
.LBB22_1733:
	v_rndne_f32_e32 v5, v7
	s_delay_alu instid0(VALU_DEP_1) | instskip(SKIP_1) | instid1(VALU_DEP_2)
	v_fma_f32 v4, 0xbfc90fda, v5, |v0|
	v_cvt_i32_f32_e32 v6, v5
	v_fmamk_f32 v4, v5, 0xb3a22168, v4
	s_delay_alu instid0(VALU_DEP_1)
	v_fmamk_f32 v4, v5, 0xa7c234c4, v4
.LBB22_1734:
	s_or_b32 exec_lo, exec_lo, s0
	v_div_scale_f32 v5, null, v41, v41, 0x40a00000
	v_div_scale_f32 v9, vcc_lo, 0x40a00000, v41, 0x40a00000
	s_mov_b32 s0, 0xb94c1982
	s_delay_alu instid0(VALU_DEP_2) | instskip(SKIP_4) | instid1(VALU_DEP_1)
	v_rcp_f32_e32 v7, v5
	s_mov_b32 s1, 0x37d75334
	v_xor_b32_e32 v1, v1, v0
	s_waitcnt_depctr 0xfff
	v_fma_f32 v8, -v5, v7, 1.0
	v_fmac_f32_e32 v7, v8, v7
	s_delay_alu instid0(VALU_DEP_1) | instskip(NEXT) | instid1(VALU_DEP_1)
	v_mul_f32_e32 v8, v9, v7
	v_fma_f32 v10, -v5, v8, v9
	s_delay_alu instid0(VALU_DEP_1) | instskip(SKIP_1) | instid1(VALU_DEP_2)
	v_fmac_f32_e32 v8, v10, v7
	v_mul_f32_e32 v10, v4, v4
	v_fma_f32 v5, -v5, v8, v9
	s_delay_alu instid0(VALU_DEP_2) | instskip(SKIP_1) | instid1(VALU_DEP_3)
	v_fmaak_f32 v19, s0, v10, 0x3c0881c4
	v_fmaak_f32 v20, s1, v10, 0xbab64f3b
	v_div_fmas_f32 v5, v5, v7, v8
	v_mul_f32_e32 v7, v2, v2
	s_delay_alu instid0(VALU_DEP_4)
	v_fmaak_f32 v19, v10, v19, 0xbe2aaa9d
	v_mul_f32_e32 v16, 0x4f800000, v41
	v_fmaak_f32 v20, v10, v20, 0x3d2aabf7
	v_div_fixup_f32 v5, v5, v41, 0x40a00000
	v_fmaak_f32 v17, s0, v7, 0x3c0881c4
	v_cmp_gt_f32_e64 s0, 0xf800000, v41
	v_fmaak_f32 v18, s1, v7, 0xbab64f3b
	v_mul_f32_e32 v19, v10, v19
	v_dual_mul_f32 v9, v5, v5 :: v_dual_and_b32 v8, 1, v3
	v_lshlrev_b32_e32 v3, 30, v3
	v_and_b32_e32 v11, 1, v6
	v_cndmask_b32_e64 v16, v41, v16, s0
	s_delay_alu instid0(VALU_DEP_4) | instskip(SKIP_3) | instid1(VALU_DEP_4)
	v_fmaak_f32 v14, 0, v9, 0x3a47c962
	v_fmaak_f32 v13, 0, v9, 0x3a15c4d9
	;; [unrolled: 1-line block ×3, first 2 shown]
	v_dual_fmaak_f32 v15, 0, v9, 0x42947983 :: v_dual_lshlrev_b32 v6, 30, v6
	v_fmaak_f32 v14, v9, v14, 0x3d95ca45
	s_delay_alu instid0(VALU_DEP_4) | instskip(SKIP_2) | instid1(VALU_DEP_3)
	v_dual_fmaak_f32 v13, v9, v13, 0x3d8cfeeb :: v_dual_fmac_f32 v4, v4, v19
	v_sqrt_f32_e32 v24, v16
	v_fmaak_f32 v17, v7, v17, 0xbe2aaa9d
	v_fmaak_f32 v14, v9, v14, 0x3f9047f6
	s_delay_alu instid0(VALU_DEP_3)
	v_fmaak_f32 v13, v9, v13, 0x3f8d754e
	v_fmaak_f32 v12, v9, v12, 0x409f6dae
	;; [unrolled: 1-line block ×3, first 2 shown]
	v_mul_f32_e32 v17, v7, v17
	v_fmaak_f32 v15, v9, v15, 0x44840e5d
	v_fmaak_f32 v20, v10, v20, 0xbf000004
	v_cmp_eq_u32_e64 s2, 0, v8
	v_fmaak_f32 v18, v7, v18, 0xbf000004
	v_fmac_f32_e32 v2, v2, v17
	v_fmaak_f32 v13, v9, v13, 0x40a25d18
	v_fmaak_f32 v15, v9, v15, 0x459bd349
	v_fma_f32 v10, v10, v20, 1.0
	v_fma_f32 v7, v7, v18, 1.0
	v_and_b32_e32 v3, 0x80000000, v3
	v_dual_fmaak_f32 v14, v9, v14, 0x40a39628 :: v_dual_add_nc_u32 v19, -1, v24
	v_fmaak_f32 v13, v9, v13, 0x410665cf
	v_fmaak_f32 v15, v9, v15, 0x46156947
	v_cndmask_b32_e64 v2, v7, v2, s2
	v_cmp_eq_u32_e64 s2, 0, v11
	v_fmaak_f32 v14, v9, v14, 0x4106c8e4
	v_fmaak_f32 v13, v9, v13, 0x40a6b6ea
	;; [unrolled: 1-line block ×3, first 2 shown]
	v_fma_f32 v7, -v19, v24, v16
	v_cndmask_b32_e64 v4, -v4, v10, s2
	v_fmaak_f32 v14, v9, v14, 0x40a6dd51
	v_fma_f32 v13, v9, v13, 1.0
	v_fmaak_f32 v15, v9, v15, 0x4530a316
	v_xor3_b32 v1, v1, v3, v2
	v_and_b32_e32 v6, 0x80000000, v6
	v_fma_f32 v14, v9, v14, 1.0
	s_delay_alu instid0(VALU_DEP_4) | instskip(NEXT) | instid1(VALU_DEP_3)
	v_fmaak_f32 v15, v9, v15, 0x43a80bfb
	v_xor_b32_e32 v4, v6, v4
	s_delay_alu instid0(VALU_DEP_3) | instskip(SKIP_1) | instid1(VALU_DEP_1)
	v_div_scale_f32 v27, vcc_lo, v14, v13, v14
	v_fmaak_f32 v12, v9, v12, 0x4297a5cd
	v_fmaak_f32 v12, v9, v12, 0x43b763ca
	s_delay_alu instid0(VALU_DEP_1) | instskip(NEXT) | instid1(VALU_DEP_1)
	v_fmaak_f32 v12, v9, v12, 0x4431b6ce
	v_fmaak_f32 v12, v9, v12, 0x44155f56
	s_delay_alu instid0(VALU_DEP_1) | instskip(NEXT) | instid1(VALU_DEP_1)
	v_fmaak_f32 v12, v9, v12, 0x4353b052
	v_fmaak_f32 v9, v9, v12, 0x41c9a7fa
	v_div_scale_f32 v12, null, v13, v13, v14
	s_delay_alu instid0(VALU_DEP_2) | instskip(NEXT) | instid1(VALU_DEP_2)
	v_div_scale_f32 v21, null, v15, v15, v9
	v_rcp_f32_e32 v22, v12
	s_delay_alu instid0(VALU_DEP_1) | instskip(SKIP_3) | instid1(VALU_DEP_2)
	v_rcp_f32_e32 v23, v21
	s_waitcnt_depctr 0xfff
	v_fma_f32 v25, -v12, v22, 1.0
	v_fma_f32 v26, -v21, v23, 1.0
	v_fmac_f32_e32 v22, v25, v22
	v_div_scale_f32 v25, s1, v9, v15, v9
	s_delay_alu instid0(VALU_DEP_3) | instskip(NEXT) | instid1(VALU_DEP_1)
	v_dual_fmac_f32 v23, v26, v23 :: v_dual_add_nc_u32 v26, 1, v24
	v_dual_mul_f32 v17, v27, v22 :: v_dual_mul_f32 v18, v25, v23
	s_delay_alu instid0(VALU_DEP_2) | instskip(NEXT) | instid1(VALU_DEP_2)
	v_fma_f32 v8, -v26, v24, v16
	v_fma_f32 v20, -v12, v17, v27
	s_delay_alu instid0(VALU_DEP_3) | instskip(NEXT) | instid1(VALU_DEP_2)
	v_fma_f32 v28, -v21, v18, v25
	v_fmac_f32_e32 v17, v20, v22
	s_delay_alu instid0(VALU_DEP_2) | instskip(NEXT) | instid1(VALU_DEP_2)
	v_fmac_f32_e32 v18, v28, v23
	v_fma_f32 v10, -v12, v17, v27
	s_delay_alu instid0(VALU_DEP_2) | instskip(NEXT) | instid1(VALU_DEP_2)
	v_fma_f32 v2, -v21, v18, v25
	v_div_fmas_f32 v3, v10, v22, v17
	s_mov_b32 vcc_lo, s1
	v_cmp_lt_f32_e64 s1, 0, v8
	s_delay_alu instid0(VALU_DEP_3)
	v_div_fmas_f32 v2, v2, v23, v18
	v_cmp_ge_f32_e32 vcc_lo, 0, v7
	v_div_fixup_f32 v3, v3, v13, v14
	v_cndmask_b32_e32 v6, v24, v19, vcc_lo
	v_cmp_class_f32_e64 vcc_lo, v0, 0x1f8
	v_div_fixup_f32 v0, v2, v15, v9
	s_delay_alu instid0(VALU_DEP_3) | instskip(SKIP_1) | instid1(VALU_DEP_3)
	v_cndmask_b32_e64 v2, v6, v26, s1
	v_cndmask_b32_e32 v4, 0x7fc00000, v4, vcc_lo
	v_dual_mul_f32 v0, v5, v0 :: v_dual_cndmask_b32 v1, 0x7fc00000, v1
	v_cmp_class_f32_e64 vcc_lo, v16, 0x260
	s_delay_alu instid0(VALU_DEP_2) | instskip(NEXT) | instid1(VALU_DEP_1)
	v_dual_mul_f32 v5, 0x37800000, v2 :: v_dual_mul_f32 v0, v0, v4
	v_cndmask_b32_e64 v2, v2, v5, s0
	s_delay_alu instid0(VALU_DEP_1) | instskip(NEXT) | instid1(VALU_DEP_1)
	v_dual_fmac_f32 v0, v3, v1 :: v_dual_cndmask_b32 v1, v2, v16
	v_mul_f32_e32 v0, 0x3f4c422a, v0
	s_delay_alu instid0(VALU_DEP_1) | instskip(NEXT) | instid1(VALU_DEP_1)
	v_div_scale_f32 v2, null, v1, v1, v0
	v_rcp_f32_e32 v3, v2
	s_waitcnt_depctr 0xfff
	v_fma_f32 v4, -v2, v3, 1.0
	s_delay_alu instid0(VALU_DEP_1) | instskip(SKIP_1) | instid1(VALU_DEP_1)
	v_fmac_f32_e32 v3, v4, v3
	v_div_scale_f32 v4, vcc_lo, v0, v1, v0
	v_mul_f32_e32 v5, v4, v3
	s_delay_alu instid0(VALU_DEP_1) | instskip(NEXT) | instid1(VALU_DEP_1)
	v_fma_f32 v6, -v2, v5, v4
	v_fmac_f32_e32 v5, v6, v3
	s_delay_alu instid0(VALU_DEP_1) | instskip(NEXT) | instid1(VALU_DEP_1)
	v_fma_f32 v2, -v2, v5, v4
	v_div_fmas_f32 v2, v2, v3, v5
	s_delay_alu instid0(VALU_DEP_1)
	v_div_fixup_f32 v0, v2, v1, v0
.LBB22_1735:
	s_or_b32 exec_lo, exec_lo, s3
	v_mul_lo_u32 v3, s40, v45
	v_and_b32_e32 v4, 0xff, v43
	s_delay_alu instid0(VALU_DEP_1) | instskip(NEXT) | instid1(VALU_DEP_3)
	v_cmp_gt_i16_e32 vcc_lo, 11, v4
	v_ashrrev_i32_e32 v2, 31, v3
	v_add_co_u32 v1, s0, s36, v3
	s_delay_alu instid0(VALU_DEP_1)
	v_add_co_ci_u32_e64 v2, s0, s37, v2, s0
	s_cbranch_vccnz .LBB22_1813
; %bb.1736:
	v_cmp_lt_i16_e32 vcc_lo, 25, v4
	s_mov_b32 s3, -1
	s_mov_b32 s1, 0
	s_mov_b32 s2, 0
	;; [unrolled: 1-line block ×3, first 2 shown]
	s_cbranch_vccz .LBB22_1769
; %bb.1737:
	v_cmp_lt_i16_e32 vcc_lo, 28, v4
	s_cbranch_vccz .LBB22_1752
; %bb.1738:
	v_cmp_lt_i16_e32 vcc_lo, 43, v4
	;; [unrolled: 3-line block ×3, first 2 shown]
	s_cbranch_vccz .LBB22_1742
; %bb.1740:
	v_cmp_eq_u16_e32 vcc_lo, 46, v4
	s_mov_b32 s0, -1
	s_mov_b32 s3, 0
	s_cbranch_vccz .LBB22_1742
; %bb.1741:
	v_bfe_u32 v5, v42, 16, 1
	v_cmp_o_f32_e32 vcc_lo, v42, v42
	s_mov_b32 s0, 0
	s_mov_b32 s2, -1
	s_delay_alu instid0(VALU_DEP_2) | instskip(NEXT) | instid1(VALU_DEP_1)
	v_add3_u32 v5, v42, v5, 0x7fff
	v_lshrrev_b32_e32 v5, 16, v5
	s_delay_alu instid0(VALU_DEP_1)
	v_cndmask_b32_e32 v5, 0x7fc0, v5, vcc_lo
	global_store_b32 v[1:2], v5, off
.LBB22_1742:
	s_and_b32 vcc_lo, exec_lo, s3
	s_cbranch_vccz .LBB22_1747
; %bb.1743:
	v_cmp_eq_u16_e32 vcc_lo, 44, v4
	s_mov_b32 s0, -1
	s_cbranch_vccz .LBB22_1747
; %bb.1744:
	v_bfe_u32 v6, v42, 23, 8
	v_mov_b32_e32 v5, 0xff
	s_mov_b32 s2, exec_lo
	s_delay_alu instid0(VALU_DEP_2)
	v_cmpx_ne_u32_e32 0xff, v6
; %bb.1745:
	v_and_b32_e32 v5, 0x400000, v42
	v_and_or_b32 v6, 0x3fffff, v42, v6
	s_delay_alu instid0(VALU_DEP_2) | instskip(NEXT) | instid1(VALU_DEP_2)
	v_cmp_ne_u32_e32 vcc_lo, 0, v5
	v_cmp_ne_u32_e64 s0, 0, v6
	v_lshrrev_b32_e32 v5, 23, v42
	s_delay_alu instid0(VALU_DEP_2) | instskip(NEXT) | instid1(SALU_CYCLE_1)
	s_and_b32 s0, vcc_lo, s0
	v_cndmask_b32_e64 v6, 0, 1, s0
	s_delay_alu instid0(VALU_DEP_1)
	v_add_nc_u32_e32 v5, v5, v6
; %bb.1746:
	s_or_b32 exec_lo, exec_lo, s2
	s_mov_b32 s0, 0
	s_mov_b32 s2, -1
	global_store_b8 v[1:2], v5, off
.LBB22_1747:
	s_mov_b32 s3, 0
.LBB22_1748:
	s_delay_alu instid0(SALU_CYCLE_1)
	s_and_b32 vcc_lo, exec_lo, s3
	s_cbranch_vccz .LBB22_1751
; %bb.1749:
	v_cmp_eq_u16_e32 vcc_lo, 29, v4
	s_mov_b32 s0, -1
	s_cbranch_vccz .LBB22_1751
; %bb.1750:
	v_trunc_f32_e32 v5, v42
	s_mov_b32 s0, 0
	s_mov_b32 s2, -1
	s_delay_alu instid0(VALU_DEP_1) | instskip(NEXT) | instid1(VALU_DEP_1)
	v_mul_f32_e32 v6, 0x2f800000, v5
	v_floor_f32_e32 v6, v6
	s_delay_alu instid0(VALU_DEP_1) | instskip(SKIP_1) | instid1(VALU_DEP_2)
	v_fmamk_f32 v5, v6, 0xcf800000, v5
	v_cvt_u32_f32_e32 v6, v6
	v_cvt_u32_f32_e32 v5, v5
	global_store_b64 v[1:2], v[5:6], off
.LBB22_1751:
	s_mov_b32 s3, 0
.LBB22_1752:
	s_delay_alu instid0(SALU_CYCLE_1)
	s_and_b32 vcc_lo, exec_lo, s3
	s_cbranch_vccz .LBB22_1768
; %bb.1753:
	v_cmp_gt_i16_e32 vcc_lo, 27, v4
	s_mov_b32 s2, -1
	s_cbranch_vccnz .LBB22_1759
; %bb.1754:
	v_cmp_lt_i16_e32 vcc_lo, 27, v4
	v_cvt_u32_f32_e32 v5, v42
	s_cbranch_vccz .LBB22_1756
; %bb.1755:
	s_mov_b32 s2, 0
	global_store_b32 v[1:2], v5, off
.LBB22_1756:
	s_and_not1_b32 vcc_lo, exec_lo, s2
	s_cbranch_vccnz .LBB22_1758
; %bb.1757:
	global_store_b16 v[1:2], v5, off
.LBB22_1758:
	s_mov_b32 s2, 0
.LBB22_1759:
	s_delay_alu instid0(SALU_CYCLE_1)
	s_and_not1_b32 vcc_lo, exec_lo, s2
	s_cbranch_vccnz .LBB22_1767
; %bb.1760:
	v_and_b32_e32 v5, 0x7fffffff, v42
	v_mov_b32_e32 v6, 0x80
	s_mov_b32 s2, exec_lo
	s_delay_alu instid0(VALU_DEP_2)
	v_cmpx_gt_u32_e32 0x43800000, v5
	s_cbranch_execz .LBB22_1766
; %bb.1761:
	v_cmp_lt_u32_e32 vcc_lo, 0x3bffffff, v5
	s_mov_b32 s3, 0
                                        ; implicit-def: $vgpr5
	s_and_saveexec_b32 s4, vcc_lo
	s_delay_alu instid0(SALU_CYCLE_1)
	s_xor_b32 s4, exec_lo, s4
	s_cbranch_execz .LBB22_2172
; %bb.1762:
	v_bfe_u32 v5, v42, 20, 1
	s_mov_b32 s3, exec_lo
	s_delay_alu instid0(VALU_DEP_1) | instskip(NEXT) | instid1(VALU_DEP_1)
	v_add3_u32 v5, v42, v5, 0x487ffff
	v_lshrrev_b32_e32 v5, 20, v5
	s_or_saveexec_b32 s4, s4
                                        ; implicit-def: $sgpr5
	s_delay_alu instid0(SALU_CYCLE_1)
	s_xor_b32 exec_lo, exec_lo, s4
	s_cbranch_execnz .LBB22_2173
.LBB22_1763:
	s_or_b32 exec_lo, exec_lo, s4
	v_mov_b32_e32 v6, s5
	s_and_saveexec_b32 s4, s3
.LBB22_1764:
	v_lshrrev_b32_e32 v6, 24, v42
	s_delay_alu instid0(VALU_DEP_1)
	v_and_or_b32 v6, 0x80, v6, v5
.LBB22_1765:
	s_or_b32 exec_lo, exec_lo, s4
.LBB22_1766:
	s_delay_alu instid0(SALU_CYCLE_1)
	s_or_b32 exec_lo, exec_lo, s2
	global_store_b8 v[1:2], v6, off
.LBB22_1767:
	s_mov_b32 s2, -1
.LBB22_1768:
	s_mov_b32 s3, 0
.LBB22_1769:
	s_delay_alu instid0(SALU_CYCLE_1)
	s_and_b32 vcc_lo, exec_lo, s3
	s_cbranch_vccz .LBB22_1809
; %bb.1770:
	v_cmp_lt_i16_e32 vcc_lo, 22, v4
	s_mov_b32 s1, -1
	s_cbranch_vccz .LBB22_1802
; %bb.1771:
	v_cmp_gt_i16_e32 vcc_lo, 24, v4
	s_cbranch_vccnz .LBB22_1791
; %bb.1772:
	v_cmp_lt_i16_e32 vcc_lo, 24, v4
	s_cbranch_vccz .LBB22_1780
; %bb.1773:
	v_and_b32_e32 v5, 0x7fffffff, v42
	v_mov_b32_e32 v6, 0x80
	s_mov_b32 s1, exec_lo
	s_delay_alu instid0(VALU_DEP_2)
	v_cmpx_gt_u32_e32 0x47800000, v5
	s_cbranch_execz .LBB22_1779
; %bb.1774:
	v_cmp_lt_u32_e32 vcc_lo, 0x37ffffff, v5
	s_mov_b32 s2, 0
                                        ; implicit-def: $vgpr5
	s_and_saveexec_b32 s3, vcc_lo
	s_delay_alu instid0(SALU_CYCLE_1)
	s_xor_b32 s3, exec_lo, s3
	s_cbranch_execz .LBB22_2178
; %bb.1775:
	v_bfe_u32 v5, v42, 21, 1
	s_mov_b32 s2, exec_lo
	s_delay_alu instid0(VALU_DEP_1) | instskip(NEXT) | instid1(VALU_DEP_1)
	v_add3_u32 v5, v42, v5, 0x88fffff
	v_lshrrev_b32_e32 v5, 21, v5
	s_or_saveexec_b32 s3, s3
                                        ; implicit-def: $sgpr4
	s_delay_alu instid0(SALU_CYCLE_1)
	s_xor_b32 exec_lo, exec_lo, s3
	s_cbranch_execnz .LBB22_2179
.LBB22_1776:
	s_or_b32 exec_lo, exec_lo, s3
	v_mov_b32_e32 v6, s4
	s_and_saveexec_b32 s3, s2
.LBB22_1777:
	v_lshrrev_b32_e32 v6, 24, v42
	s_delay_alu instid0(VALU_DEP_1)
	v_and_or_b32 v6, 0x80, v6, v5
.LBB22_1778:
	s_or_b32 exec_lo, exec_lo, s3
.LBB22_1779:
	s_delay_alu instid0(SALU_CYCLE_1)
	s_or_b32 exec_lo, exec_lo, s1
	s_mov_b32 s1, 0
	global_store_b8 v[1:2], v6, off
.LBB22_1780:
	s_and_b32 vcc_lo, exec_lo, s1
	s_cbranch_vccz .LBB22_1790
; %bb.1781:
	v_and_b32_e32 v6, 0x7fffffff, v42
	s_mov_b32 s1, exec_lo
                                        ; implicit-def: $vgpr5
	s_delay_alu instid0(VALU_DEP_1)
	v_cmpx_gt_u32_e32 0x43f00000, v6
	s_xor_b32 s1, exec_lo, s1
	s_cbranch_execz .LBB22_1787
; %bb.1782:
	s_mov_b32 s2, exec_lo
                                        ; implicit-def: $vgpr5
	v_cmpx_lt_u32_e32 0x3c7fffff, v6
	s_xor_b32 s2, exec_lo, s2
; %bb.1783:
	v_bfe_u32 v5, v42, 20, 1
	s_delay_alu instid0(VALU_DEP_1) | instskip(NEXT) | instid1(VALU_DEP_1)
	v_add3_u32 v5, v42, v5, 0x407ffff
	v_and_b32_e32 v6, 0xff00000, v5
	v_lshrrev_b32_e32 v5, 20, v5
	s_delay_alu instid0(VALU_DEP_2) | instskip(NEXT) | instid1(VALU_DEP_2)
	v_cmp_ne_u32_e32 vcc_lo, 0x7f00000, v6
	v_cndmask_b32_e32 v5, 0x7e, v5, vcc_lo
; %bb.1784:
	s_and_not1_saveexec_b32 s2, s2
; %bb.1785:
	v_add_f32_e64 v5, 0x46800000, |v42|
; %bb.1786:
	s_or_b32 exec_lo, exec_lo, s2
                                        ; implicit-def: $vgpr6
.LBB22_1787:
	s_and_not1_saveexec_b32 s1, s1
; %bb.1788:
	v_mov_b32_e32 v5, 0x7f
	v_cmp_lt_u32_e32 vcc_lo, 0x7f800000, v6
	s_delay_alu instid0(VALU_DEP_2)
	v_cndmask_b32_e32 v5, 0x7e, v5, vcc_lo
; %bb.1789:
	s_or_b32 exec_lo, exec_lo, s1
	v_lshrrev_b32_e32 v6, 24, v42
	s_delay_alu instid0(VALU_DEP_1)
	v_and_or_b32 v5, 0x80, v6, v5
	global_store_b8 v[1:2], v5, off
.LBB22_1790:
	s_mov_b32 s1, 0
.LBB22_1791:
	s_delay_alu instid0(SALU_CYCLE_1)
	s_and_not1_b32 vcc_lo, exec_lo, s1
	s_cbranch_vccnz .LBB22_1801
; %bb.1792:
	v_and_b32_e32 v6, 0x7fffffff, v42
	s_mov_b32 s1, exec_lo
                                        ; implicit-def: $vgpr5
	s_delay_alu instid0(VALU_DEP_1)
	v_cmpx_gt_u32_e32 0x47800000, v6
	s_xor_b32 s1, exec_lo, s1
	s_cbranch_execz .LBB22_1798
; %bb.1793:
	s_mov_b32 s2, exec_lo
                                        ; implicit-def: $vgpr5
	v_cmpx_lt_u32_e32 0x387fffff, v6
	s_xor_b32 s2, exec_lo, s2
; %bb.1794:
	v_bfe_u32 v5, v42, 21, 1
	s_delay_alu instid0(VALU_DEP_1) | instskip(NEXT) | instid1(VALU_DEP_1)
	v_add3_u32 v5, v42, v5, 0x80fffff
	v_lshrrev_b32_e32 v5, 21, v5
; %bb.1795:
	s_and_not1_saveexec_b32 s2, s2
; %bb.1796:
	v_add_f32_e64 v5, 0x43000000, |v42|
; %bb.1797:
	s_or_b32 exec_lo, exec_lo, s2
                                        ; implicit-def: $vgpr6
.LBB22_1798:
	s_and_not1_saveexec_b32 s1, s1
; %bb.1799:
	v_mov_b32_e32 v5, 0x7f
	v_cmp_lt_u32_e32 vcc_lo, 0x7f800000, v6
	s_delay_alu instid0(VALU_DEP_2)
	v_cndmask_b32_e32 v5, 0x7c, v5, vcc_lo
; %bb.1800:
	s_or_b32 exec_lo, exec_lo, s1
	v_lshrrev_b32_e32 v6, 24, v42
	s_delay_alu instid0(VALU_DEP_1)
	v_and_or_b32 v5, 0x80, v6, v5
	global_store_b8 v[1:2], v5, off
.LBB22_1801:
	s_mov_b32 s1, 0
	s_mov_b32 s2, -1
.LBB22_1802:
	s_and_not1_b32 vcc_lo, exec_lo, s1
	s_mov_b32 s1, 0
	s_cbranch_vccnz .LBB22_1809
; %bb.1803:
	v_cmp_lt_i16_e32 vcc_lo, 14, v4
	s_mov_b32 s1, -1
	s_cbranch_vccz .LBB22_1807
; %bb.1804:
	v_cmp_eq_u16_e32 vcc_lo, 15, v4
	s_mov_b32 s0, -1
	s_cbranch_vccz .LBB22_1806
; %bb.1805:
	v_bfe_u32 v5, v42, 16, 1
	v_cmp_o_f32_e32 vcc_lo, v42, v42
	s_mov_b32 s0, 0
	s_mov_b32 s2, -1
	s_delay_alu instid0(VALU_DEP_2) | instskip(NEXT) | instid1(VALU_DEP_1)
	v_add3_u32 v5, v42, v5, 0x7fff
	v_lshrrev_b32_e32 v5, 16, v5
	s_delay_alu instid0(VALU_DEP_1)
	v_cndmask_b32_e32 v5, 0x7fc0, v5, vcc_lo
	global_store_b16 v[1:2], v5, off
.LBB22_1806:
	s_mov_b32 s1, 0
.LBB22_1807:
	s_delay_alu instid0(SALU_CYCLE_1)
	s_and_b32 vcc_lo, exec_lo, s1
	s_mov_b32 s1, 0
	s_cbranch_vccz .LBB22_1809
; %bb.1808:
	v_cmp_ne_u16_e64 s0, 11, v4
	s_mov_b32 s1, -1
.LBB22_1809:
	s_delay_alu instid0(VALU_DEP_1)
	s_and_b32 vcc_lo, exec_lo, s0
	s_cbranch_vccnz .LBB22_2176
; %bb.1810:
	s_and_not1_b32 vcc_lo, exec_lo, s1
	s_cbranch_vccnz .LBB22_1812
.LBB22_1811:
	v_cmp_neq_f32_e32 vcc_lo, 0, v42
	s_mov_b32 s2, -1
	v_cndmask_b32_e64 v5, 0, 1, vcc_lo
	global_store_b8 v[1:2], v5, off
.LBB22_1812:
	s_mov_b32 s0, 0
	s_branch .LBB22_1814
.LBB22_1813:
	s_mov_b32 s0, -1
	s_mov_b32 s2, 0
.LBB22_1814:
	s_and_b32 vcc_lo, exec_lo, s0
	s_cbranch_vccz .LBB22_1853
; %bb.1815:
	v_cmp_gt_i16_e32 vcc_lo, 5, v4
	s_mov_b32 s0, -1
	s_cbranch_vccnz .LBB22_1836
; %bb.1816:
	v_cmp_gt_i16_e32 vcc_lo, 8, v4
	s_cbranch_vccnz .LBB22_1826
; %bb.1817:
	v_cmp_gt_i16_e32 vcc_lo, 9, v4
	s_cbranch_vccnz .LBB22_1823
; %bb.1818:
	v_cmp_lt_i16_e32 vcc_lo, 9, v4
	s_cbranch_vccz .LBB22_1820
; %bb.1819:
	v_cvt_f64_f32_e32 v[5:6], v42
	v_mov_b32_e32 v7, 0
	s_mov_b32 s0, 0
	s_delay_alu instid0(VALU_DEP_1)
	v_mov_b32_e32 v8, v7
	global_store_b128 v[1:2], v[5:8], off
.LBB22_1820:
	s_and_not1_b32 vcc_lo, exec_lo, s0
	s_cbranch_vccnz .LBB22_1822
; %bb.1821:
	v_mov_b32_e32 v43, 0
	global_store_b64 v[1:2], v[42:43], off
.LBB22_1822:
	s_mov_b32 s0, 0
.LBB22_1823:
	s_delay_alu instid0(SALU_CYCLE_1)
	s_and_not1_b32 vcc_lo, exec_lo, s0
	s_cbranch_vccnz .LBB22_1825
; %bb.1824:
	v_cvt_f16_f32_e32 v5, v42
	s_delay_alu instid0(VALU_DEP_1)
	v_and_b32_e32 v5, 0xffff, v5
	global_store_b32 v[1:2], v5, off
.LBB22_1825:
	s_mov_b32 s0, 0
.LBB22_1826:
	s_delay_alu instid0(SALU_CYCLE_1)
	s_and_not1_b32 vcc_lo, exec_lo, s0
	s_cbranch_vccnz .LBB22_1835
; %bb.1827:
	v_cmp_gt_i16_e32 vcc_lo, 6, v4
	s_mov_b32 s0, -1
	s_cbranch_vccnz .LBB22_1833
; %bb.1828:
	v_cmp_lt_i16_e32 vcc_lo, 6, v4
	s_cbranch_vccz .LBB22_1830
; %bb.1829:
	v_cvt_f64_f32_e32 v[5:6], v42
	s_mov_b32 s0, 0
	global_store_b64 v[1:2], v[5:6], off
.LBB22_1830:
	s_and_not1_b32 vcc_lo, exec_lo, s0
	s_cbranch_vccnz .LBB22_1832
; %bb.1831:
	global_store_b32 v[1:2], v42, off
.LBB22_1832:
	s_mov_b32 s0, 0
.LBB22_1833:
	s_delay_alu instid0(SALU_CYCLE_1)
	s_and_not1_b32 vcc_lo, exec_lo, s0
	s_cbranch_vccnz .LBB22_1835
; %bb.1834:
	v_cvt_f16_f32_e32 v5, v42
	global_store_b16 v[1:2], v5, off
.LBB22_1835:
	s_mov_b32 s0, 0
.LBB22_1836:
	s_delay_alu instid0(SALU_CYCLE_1)
	s_and_not1_b32 vcc_lo, exec_lo, s0
	s_cbranch_vccnz .LBB22_1852
; %bb.1837:
	v_cmp_gt_i16_e32 vcc_lo, 2, v4
	s_mov_b32 s0, -1
	s_cbranch_vccnz .LBB22_1847
; %bb.1838:
	v_cmp_gt_i16_e32 vcc_lo, 3, v4
	s_cbranch_vccnz .LBB22_1844
; %bb.1839:
	v_cmp_lt_i16_e32 vcc_lo, 3, v4
	s_cbranch_vccz .LBB22_1841
; %bb.1840:
	v_trunc_f32_e32 v5, v42
	s_mov_b32 s0, 0
	s_delay_alu instid0(VALU_DEP_1) | instskip(SKIP_1) | instid1(VALU_DEP_2)
	v_mul_f32_e64 v6, 0x2f800000, |v5|
	v_ashrrev_i32_e32 v8, 31, v5
	v_floor_f32_e32 v6, v6
	s_delay_alu instid0(VALU_DEP_1) | instskip(SKIP_1) | instid1(VALU_DEP_2)
	v_fma_f32 v7, 0xcf800000, v6, |v5|
	v_cvt_u32_f32_e32 v6, v6
	v_cvt_u32_f32_e32 v5, v7
	s_delay_alu instid0(VALU_DEP_2) | instskip(NEXT) | instid1(VALU_DEP_2)
	v_xor_b32_e32 v6, v6, v8
	v_xor_b32_e32 v5, v5, v8
	s_delay_alu instid0(VALU_DEP_1) | instskip(NEXT) | instid1(VALU_DEP_3)
	v_sub_co_u32 v5, vcc_lo, v5, v8
	v_sub_co_ci_u32_e32 v6, vcc_lo, v6, v8, vcc_lo
	global_store_b64 v[1:2], v[5:6], off
.LBB22_1841:
	s_and_not1_b32 vcc_lo, exec_lo, s0
	s_cbranch_vccnz .LBB22_1843
; %bb.1842:
	v_cvt_i32_f32_e32 v5, v42
	global_store_b32 v[1:2], v5, off
.LBB22_1843:
	s_mov_b32 s0, 0
.LBB22_1844:
	s_delay_alu instid0(SALU_CYCLE_1)
	s_and_not1_b32 vcc_lo, exec_lo, s0
	s_cbranch_vccnz .LBB22_1846
; %bb.1845:
	v_cvt_i32_f32_e32 v5, v42
	global_store_b16 v[1:2], v5, off
.LBB22_1846:
	s_mov_b32 s0, 0
.LBB22_1847:
	s_delay_alu instid0(SALU_CYCLE_1)
	s_and_not1_b32 vcc_lo, exec_lo, s0
	s_cbranch_vccnz .LBB22_1852
; %bb.1848:
	v_cmp_lt_i16_e32 vcc_lo, 0, v4
	s_mov_b32 s0, -1
	s_cbranch_vccz .LBB22_1850
; %bb.1849:
	v_cvt_i32_f32_e32 v5, v42
	s_mov_b32 s0, 0
	global_store_b8 v[1:2], v5, off
.LBB22_1850:
	s_and_not1_b32 vcc_lo, exec_lo, s0
	s_cbranch_vccnz .LBB22_1852
; %bb.1851:
	v_trunc_f32_e32 v5, v42
	s_delay_alu instid0(VALU_DEP_1) | instskip(NEXT) | instid1(VALU_DEP_1)
	v_mul_f32_e64 v6, 0x2f800000, |v5|
	v_floor_f32_e32 v6, v6
	s_delay_alu instid0(VALU_DEP_1) | instskip(SKIP_1) | instid1(VALU_DEP_2)
	v_fma_f32 v6, 0xcf800000, v6, |v5|
	v_ashrrev_i32_e32 v5, 31, v5
	v_cvt_u32_f32_e32 v6, v6
	s_delay_alu instid0(VALU_DEP_1) | instskip(NEXT) | instid1(VALU_DEP_1)
	v_xor_b32_e32 v6, v6, v5
	v_sub_nc_u32_e32 v5, v6, v5
	global_store_b8 v[1:2], v5, off
.LBB22_1852:
	s_mov_b32 s2, -1
.LBB22_1853:
	s_delay_alu instid0(SALU_CYCLE_1)
	s_and_not1_b32 vcc_lo, exec_lo, s2
	s_cbranch_vccnz .LBB22_2168
; %bb.1854:
	s_lshl_b32 s1, s40, 7
	v_cmp_gt_i16_e32 vcc_lo, 11, v4
	v_add_nc_u32_e32 v3, s1, v3
	s_delay_alu instid0(VALU_DEP_1) | instskip(SKIP_1) | instid1(VALU_DEP_1)
	v_ashrrev_i32_e32 v2, 31, v3
	v_add_co_u32 v1, s0, s36, v3
	v_add_co_ci_u32_e64 v2, s0, s37, v2, s0
	s_cbranch_vccnz .LBB22_1932
; %bb.1855:
	v_cmp_lt_i16_e32 vcc_lo, 25, v4
	s_mov_b32 s4, -1
	s_mov_b32 s2, 0
	s_mov_b32 s3, 0
	;; [unrolled: 1-line block ×3, first 2 shown]
	s_cbranch_vccz .LBB22_1888
; %bb.1856:
	v_cmp_lt_i16_e32 vcc_lo, 28, v4
	s_cbranch_vccz .LBB22_1871
; %bb.1857:
	v_cmp_lt_i16_e32 vcc_lo, 43, v4
	;; [unrolled: 3-line block ×3, first 2 shown]
	s_cbranch_vccz .LBB22_1861
; %bb.1859:
	v_cmp_eq_u16_e32 vcc_lo, 46, v4
	s_mov_b32 s0, -1
	s_mov_b32 s4, 0
	s_cbranch_vccz .LBB22_1861
; %bb.1860:
	v_bfe_u32 v5, v44, 16, 1
	v_cmp_o_f32_e32 vcc_lo, v44, v44
	s_mov_b32 s0, 0
	s_mov_b32 s3, -1
	s_delay_alu instid0(VALU_DEP_2) | instskip(NEXT) | instid1(VALU_DEP_1)
	v_add3_u32 v5, v44, v5, 0x7fff
	v_lshrrev_b32_e32 v5, 16, v5
	s_delay_alu instid0(VALU_DEP_1)
	v_cndmask_b32_e32 v5, 0x7fc0, v5, vcc_lo
	global_store_b32 v[1:2], v5, off
.LBB22_1861:
	s_and_b32 vcc_lo, exec_lo, s4
	s_cbranch_vccz .LBB22_1866
; %bb.1862:
	v_cmp_eq_u16_e32 vcc_lo, 44, v4
	s_mov_b32 s0, -1
	s_cbranch_vccz .LBB22_1866
; %bb.1863:
	v_bfe_u32 v6, v44, 23, 8
	v_mov_b32_e32 v5, 0xff
	s_mov_b32 s3, exec_lo
	s_delay_alu instid0(VALU_DEP_2)
	v_cmpx_ne_u32_e32 0xff, v6
; %bb.1864:
	v_and_b32_e32 v5, 0x400000, v44
	v_and_or_b32 v6, 0x3fffff, v44, v6
	s_delay_alu instid0(VALU_DEP_2) | instskip(NEXT) | instid1(VALU_DEP_2)
	v_cmp_ne_u32_e32 vcc_lo, 0, v5
	v_cmp_ne_u32_e64 s0, 0, v6
	v_lshrrev_b32_e32 v5, 23, v44
	s_delay_alu instid0(VALU_DEP_2) | instskip(NEXT) | instid1(SALU_CYCLE_1)
	s_and_b32 s0, vcc_lo, s0
	v_cndmask_b32_e64 v6, 0, 1, s0
	s_delay_alu instid0(VALU_DEP_1)
	v_add_nc_u32_e32 v5, v5, v6
; %bb.1865:
	s_or_b32 exec_lo, exec_lo, s3
	s_mov_b32 s0, 0
	s_mov_b32 s3, -1
	global_store_b8 v[1:2], v5, off
.LBB22_1866:
	s_mov_b32 s4, 0
.LBB22_1867:
	s_delay_alu instid0(SALU_CYCLE_1)
	s_and_b32 vcc_lo, exec_lo, s4
	s_cbranch_vccz .LBB22_1870
; %bb.1868:
	v_cmp_eq_u16_e32 vcc_lo, 29, v4
	s_mov_b32 s0, -1
	s_cbranch_vccz .LBB22_1870
; %bb.1869:
	v_trunc_f32_e32 v5, v44
	s_mov_b32 s0, 0
	s_mov_b32 s3, -1
	s_delay_alu instid0(VALU_DEP_1) | instskip(NEXT) | instid1(VALU_DEP_1)
	v_mul_f32_e32 v6, 0x2f800000, v5
	v_floor_f32_e32 v6, v6
	s_delay_alu instid0(VALU_DEP_1) | instskip(SKIP_1) | instid1(VALU_DEP_2)
	v_fmamk_f32 v5, v6, 0xcf800000, v5
	v_cvt_u32_f32_e32 v6, v6
	v_cvt_u32_f32_e32 v5, v5
	global_store_b64 v[1:2], v[5:6], off
.LBB22_1870:
	s_mov_b32 s4, 0
.LBB22_1871:
	s_delay_alu instid0(SALU_CYCLE_1)
	s_and_b32 vcc_lo, exec_lo, s4
	s_cbranch_vccz .LBB22_1887
; %bb.1872:
	v_cmp_gt_i16_e32 vcc_lo, 27, v4
	s_mov_b32 s3, -1
	s_cbranch_vccnz .LBB22_1878
; %bb.1873:
	v_cmp_lt_i16_e32 vcc_lo, 27, v4
	v_cvt_u32_f32_e32 v5, v44
	s_cbranch_vccz .LBB22_1875
; %bb.1874:
	s_mov_b32 s3, 0
	global_store_b32 v[1:2], v5, off
.LBB22_1875:
	s_and_not1_b32 vcc_lo, exec_lo, s3
	s_cbranch_vccnz .LBB22_1877
; %bb.1876:
	global_store_b16 v[1:2], v5, off
.LBB22_1877:
	s_mov_b32 s3, 0
.LBB22_1878:
	s_delay_alu instid0(SALU_CYCLE_1)
	s_and_not1_b32 vcc_lo, exec_lo, s3
	s_cbranch_vccnz .LBB22_1886
; %bb.1879:
	v_and_b32_e32 v5, 0x7fffffff, v44
	v_mov_b32_e32 v6, 0x80
	s_mov_b32 s3, exec_lo
	s_delay_alu instid0(VALU_DEP_2)
	v_cmpx_gt_u32_e32 0x43800000, v5
	s_cbranch_execz .LBB22_1885
; %bb.1880:
	v_cmp_lt_u32_e32 vcc_lo, 0x3bffffff, v5
	s_mov_b32 s4, 0
                                        ; implicit-def: $vgpr5
	s_and_saveexec_b32 s5, vcc_lo
	s_delay_alu instid0(SALU_CYCLE_1)
	s_xor_b32 s5, exec_lo, s5
	s_cbranch_execz .LBB22_2180
; %bb.1881:
	v_bfe_u32 v5, v44, 20, 1
	s_mov_b32 s4, exec_lo
	s_delay_alu instid0(VALU_DEP_1) | instskip(NEXT) | instid1(VALU_DEP_1)
	v_add3_u32 v5, v44, v5, 0x487ffff
	v_lshrrev_b32_e32 v5, 20, v5
	s_or_saveexec_b32 s5, s5
                                        ; implicit-def: $sgpr6
	s_delay_alu instid0(SALU_CYCLE_1)
	s_xor_b32 exec_lo, exec_lo, s5
	s_cbranch_execnz .LBB22_2181
.LBB22_1882:
	s_or_b32 exec_lo, exec_lo, s5
	v_mov_b32_e32 v6, s6
	s_and_saveexec_b32 s5, s4
.LBB22_1883:
	v_lshrrev_b32_e32 v6, 24, v44
	s_delay_alu instid0(VALU_DEP_1)
	v_and_or_b32 v6, 0x80, v6, v5
.LBB22_1884:
	s_or_b32 exec_lo, exec_lo, s5
.LBB22_1885:
	s_delay_alu instid0(SALU_CYCLE_1)
	s_or_b32 exec_lo, exec_lo, s3
	global_store_b8 v[1:2], v6, off
.LBB22_1886:
	s_mov_b32 s3, -1
.LBB22_1887:
	s_mov_b32 s4, 0
.LBB22_1888:
	s_delay_alu instid0(SALU_CYCLE_1)
	s_and_b32 vcc_lo, exec_lo, s4
	s_cbranch_vccz .LBB22_1928
; %bb.1889:
	v_cmp_lt_i16_e32 vcc_lo, 22, v4
	s_mov_b32 s2, -1
	s_cbranch_vccz .LBB22_1921
; %bb.1890:
	v_cmp_gt_i16_e32 vcc_lo, 24, v4
	s_cbranch_vccnz .LBB22_1910
; %bb.1891:
	v_cmp_lt_i16_e32 vcc_lo, 24, v4
	s_cbranch_vccz .LBB22_1899
; %bb.1892:
	v_and_b32_e32 v5, 0x7fffffff, v44
	v_mov_b32_e32 v6, 0x80
	s_mov_b32 s2, exec_lo
	s_delay_alu instid0(VALU_DEP_2)
	v_cmpx_gt_u32_e32 0x47800000, v5
	s_cbranch_execz .LBB22_1898
; %bb.1893:
	v_cmp_lt_u32_e32 vcc_lo, 0x37ffffff, v5
	s_mov_b32 s3, 0
                                        ; implicit-def: $vgpr5
	s_and_saveexec_b32 s4, vcc_lo
	s_delay_alu instid0(SALU_CYCLE_1)
	s_xor_b32 s4, exec_lo, s4
	s_cbranch_execz .LBB22_2186
; %bb.1894:
	v_bfe_u32 v5, v44, 21, 1
	s_mov_b32 s3, exec_lo
	s_delay_alu instid0(VALU_DEP_1) | instskip(NEXT) | instid1(VALU_DEP_1)
	v_add3_u32 v5, v44, v5, 0x88fffff
	v_lshrrev_b32_e32 v5, 21, v5
	s_or_saveexec_b32 s4, s4
                                        ; implicit-def: $sgpr5
	s_delay_alu instid0(SALU_CYCLE_1)
	s_xor_b32 exec_lo, exec_lo, s4
	s_cbranch_execnz .LBB22_2187
.LBB22_1895:
	s_or_b32 exec_lo, exec_lo, s4
	v_mov_b32_e32 v6, s5
	s_and_saveexec_b32 s4, s3
.LBB22_1896:
	v_lshrrev_b32_e32 v6, 24, v44
	s_delay_alu instid0(VALU_DEP_1)
	v_and_or_b32 v6, 0x80, v6, v5
.LBB22_1897:
	s_or_b32 exec_lo, exec_lo, s4
.LBB22_1898:
	s_delay_alu instid0(SALU_CYCLE_1)
	s_or_b32 exec_lo, exec_lo, s2
	s_mov_b32 s2, 0
	global_store_b8 v[1:2], v6, off
.LBB22_1899:
	s_and_b32 vcc_lo, exec_lo, s2
	s_cbranch_vccz .LBB22_1909
; %bb.1900:
	v_and_b32_e32 v6, 0x7fffffff, v44
	s_mov_b32 s2, exec_lo
                                        ; implicit-def: $vgpr5
	s_delay_alu instid0(VALU_DEP_1)
	v_cmpx_gt_u32_e32 0x43f00000, v6
	s_xor_b32 s2, exec_lo, s2
	s_cbranch_execz .LBB22_1906
; %bb.1901:
	s_mov_b32 s3, exec_lo
                                        ; implicit-def: $vgpr5
	v_cmpx_lt_u32_e32 0x3c7fffff, v6
	s_xor_b32 s3, exec_lo, s3
; %bb.1902:
	v_bfe_u32 v5, v44, 20, 1
	s_delay_alu instid0(VALU_DEP_1) | instskip(NEXT) | instid1(VALU_DEP_1)
	v_add3_u32 v5, v44, v5, 0x407ffff
	v_and_b32_e32 v6, 0xff00000, v5
	v_lshrrev_b32_e32 v5, 20, v5
	s_delay_alu instid0(VALU_DEP_2) | instskip(NEXT) | instid1(VALU_DEP_2)
	v_cmp_ne_u32_e32 vcc_lo, 0x7f00000, v6
	v_cndmask_b32_e32 v5, 0x7e, v5, vcc_lo
; %bb.1903:
	s_and_not1_saveexec_b32 s3, s3
; %bb.1904:
	v_add_f32_e64 v5, 0x46800000, |v44|
; %bb.1905:
	s_or_b32 exec_lo, exec_lo, s3
                                        ; implicit-def: $vgpr6
.LBB22_1906:
	s_and_not1_saveexec_b32 s2, s2
; %bb.1907:
	v_mov_b32_e32 v5, 0x7f
	v_cmp_lt_u32_e32 vcc_lo, 0x7f800000, v6
	s_delay_alu instid0(VALU_DEP_2)
	v_cndmask_b32_e32 v5, 0x7e, v5, vcc_lo
; %bb.1908:
	s_or_b32 exec_lo, exec_lo, s2
	v_lshrrev_b32_e32 v6, 24, v44
	s_delay_alu instid0(VALU_DEP_1)
	v_and_or_b32 v5, 0x80, v6, v5
	global_store_b8 v[1:2], v5, off
.LBB22_1909:
	s_mov_b32 s2, 0
.LBB22_1910:
	s_delay_alu instid0(SALU_CYCLE_1)
	s_and_not1_b32 vcc_lo, exec_lo, s2
	s_cbranch_vccnz .LBB22_1920
; %bb.1911:
	v_and_b32_e32 v6, 0x7fffffff, v44
	s_mov_b32 s2, exec_lo
                                        ; implicit-def: $vgpr5
	s_delay_alu instid0(VALU_DEP_1)
	v_cmpx_gt_u32_e32 0x47800000, v6
	s_xor_b32 s2, exec_lo, s2
	s_cbranch_execz .LBB22_1917
; %bb.1912:
	s_mov_b32 s3, exec_lo
                                        ; implicit-def: $vgpr5
	v_cmpx_lt_u32_e32 0x387fffff, v6
	s_xor_b32 s3, exec_lo, s3
; %bb.1913:
	v_bfe_u32 v5, v44, 21, 1
	s_delay_alu instid0(VALU_DEP_1) | instskip(NEXT) | instid1(VALU_DEP_1)
	v_add3_u32 v5, v44, v5, 0x80fffff
	v_lshrrev_b32_e32 v5, 21, v5
; %bb.1914:
	s_and_not1_saveexec_b32 s3, s3
; %bb.1915:
	v_add_f32_e64 v5, 0x43000000, |v44|
; %bb.1916:
	s_or_b32 exec_lo, exec_lo, s3
                                        ; implicit-def: $vgpr6
.LBB22_1917:
	s_and_not1_saveexec_b32 s2, s2
; %bb.1918:
	v_mov_b32_e32 v5, 0x7f
	v_cmp_lt_u32_e32 vcc_lo, 0x7f800000, v6
	s_delay_alu instid0(VALU_DEP_2)
	v_cndmask_b32_e32 v5, 0x7c, v5, vcc_lo
; %bb.1919:
	s_or_b32 exec_lo, exec_lo, s2
	v_lshrrev_b32_e32 v6, 24, v44
	s_delay_alu instid0(VALU_DEP_1)
	v_and_or_b32 v5, 0x80, v6, v5
	global_store_b8 v[1:2], v5, off
.LBB22_1920:
	s_mov_b32 s2, 0
	s_mov_b32 s3, -1
.LBB22_1921:
	s_and_not1_b32 vcc_lo, exec_lo, s2
	s_mov_b32 s2, 0
	s_cbranch_vccnz .LBB22_1928
; %bb.1922:
	v_cmp_lt_i16_e32 vcc_lo, 14, v4
	s_mov_b32 s2, -1
	s_cbranch_vccz .LBB22_1926
; %bb.1923:
	v_cmp_eq_u16_e32 vcc_lo, 15, v4
	s_mov_b32 s0, -1
	s_cbranch_vccz .LBB22_1925
; %bb.1924:
	v_bfe_u32 v5, v44, 16, 1
	v_cmp_o_f32_e32 vcc_lo, v44, v44
	s_mov_b32 s0, 0
	s_mov_b32 s3, -1
	s_delay_alu instid0(VALU_DEP_2) | instskip(NEXT) | instid1(VALU_DEP_1)
	v_add3_u32 v5, v44, v5, 0x7fff
	v_lshrrev_b32_e32 v5, 16, v5
	s_delay_alu instid0(VALU_DEP_1)
	v_cndmask_b32_e32 v5, 0x7fc0, v5, vcc_lo
	global_store_b16 v[1:2], v5, off
.LBB22_1925:
	s_mov_b32 s2, 0
.LBB22_1926:
	s_delay_alu instid0(SALU_CYCLE_1)
	s_and_b32 vcc_lo, exec_lo, s2
	s_mov_b32 s2, 0
	s_cbranch_vccz .LBB22_1928
; %bb.1927:
	v_cmp_ne_u16_e64 s0, 11, v4
	s_mov_b32 s2, -1
.LBB22_1928:
	s_delay_alu instid0(VALU_DEP_1)
	s_and_b32 vcc_lo, exec_lo, s0
	s_cbranch_vccnz .LBB22_2184
; %bb.1929:
	s_and_not1_b32 vcc_lo, exec_lo, s2
	s_cbranch_vccnz .LBB22_1931
.LBB22_1930:
	v_cmp_neq_f32_e32 vcc_lo, 0, v44
	s_mov_b32 s3, -1
	v_cndmask_b32_e64 v5, 0, 1, vcc_lo
	global_store_b8 v[1:2], v5, off
.LBB22_1931:
	s_mov_b32 s0, 0
	s_branch .LBB22_1933
.LBB22_1932:
	s_mov_b32 s0, -1
	s_mov_b32 s3, 0
.LBB22_1933:
	s_and_b32 vcc_lo, exec_lo, s0
	s_cbranch_vccz .LBB22_1972
; %bb.1934:
	v_cmp_gt_i16_e32 vcc_lo, 5, v4
	s_mov_b32 s0, -1
	s_cbranch_vccnz .LBB22_1955
; %bb.1935:
	v_cmp_gt_i16_e32 vcc_lo, 8, v4
	s_cbranch_vccnz .LBB22_1945
; %bb.1936:
	v_cmp_gt_i16_e32 vcc_lo, 9, v4
	s_cbranch_vccnz .LBB22_1942
; %bb.1937:
	v_cmp_lt_i16_e32 vcc_lo, 9, v4
	s_cbranch_vccz .LBB22_1939
; %bb.1938:
	v_cvt_f64_f32_e32 v[5:6], v44
	v_mov_b32_e32 v7, 0
	s_mov_b32 s0, 0
	s_delay_alu instid0(VALU_DEP_1)
	v_mov_b32_e32 v8, v7
	global_store_b128 v[1:2], v[5:8], off
.LBB22_1939:
	s_and_not1_b32 vcc_lo, exec_lo, s0
	s_cbranch_vccnz .LBB22_1941
; %bb.1940:
	v_mov_b32_e32 v45, 0
	global_store_b64 v[1:2], v[44:45], off
.LBB22_1941:
	s_mov_b32 s0, 0
.LBB22_1942:
	s_delay_alu instid0(SALU_CYCLE_1)
	s_and_not1_b32 vcc_lo, exec_lo, s0
	s_cbranch_vccnz .LBB22_1944
; %bb.1943:
	v_cvt_f16_f32_e32 v5, v44
	s_delay_alu instid0(VALU_DEP_1)
	v_and_b32_e32 v5, 0xffff, v5
	global_store_b32 v[1:2], v5, off
.LBB22_1944:
	s_mov_b32 s0, 0
.LBB22_1945:
	s_delay_alu instid0(SALU_CYCLE_1)
	s_and_not1_b32 vcc_lo, exec_lo, s0
	s_cbranch_vccnz .LBB22_1954
; %bb.1946:
	v_cmp_gt_i16_e32 vcc_lo, 6, v4
	s_mov_b32 s0, -1
	s_cbranch_vccnz .LBB22_1952
; %bb.1947:
	v_cmp_lt_i16_e32 vcc_lo, 6, v4
	s_cbranch_vccz .LBB22_1949
; %bb.1948:
	v_cvt_f64_f32_e32 v[5:6], v44
	s_mov_b32 s0, 0
	global_store_b64 v[1:2], v[5:6], off
.LBB22_1949:
	s_and_not1_b32 vcc_lo, exec_lo, s0
	s_cbranch_vccnz .LBB22_1951
; %bb.1950:
	global_store_b32 v[1:2], v44, off
.LBB22_1951:
	s_mov_b32 s0, 0
.LBB22_1952:
	s_delay_alu instid0(SALU_CYCLE_1)
	s_and_not1_b32 vcc_lo, exec_lo, s0
	s_cbranch_vccnz .LBB22_1954
; %bb.1953:
	v_cvt_f16_f32_e32 v5, v44
	global_store_b16 v[1:2], v5, off
.LBB22_1954:
	s_mov_b32 s0, 0
.LBB22_1955:
	s_delay_alu instid0(SALU_CYCLE_1)
	s_and_not1_b32 vcc_lo, exec_lo, s0
	s_cbranch_vccnz .LBB22_1971
; %bb.1956:
	v_cmp_gt_i16_e32 vcc_lo, 2, v4
	s_mov_b32 s0, -1
	s_cbranch_vccnz .LBB22_1966
; %bb.1957:
	v_cmp_gt_i16_e32 vcc_lo, 3, v4
	s_cbranch_vccnz .LBB22_1963
; %bb.1958:
	v_cmp_lt_i16_e32 vcc_lo, 3, v4
	s_cbranch_vccz .LBB22_1960
; %bb.1959:
	v_trunc_f32_e32 v5, v44
	s_mov_b32 s0, 0
	s_delay_alu instid0(VALU_DEP_1) | instskip(SKIP_1) | instid1(VALU_DEP_2)
	v_mul_f32_e64 v6, 0x2f800000, |v5|
	v_ashrrev_i32_e32 v8, 31, v5
	v_floor_f32_e32 v6, v6
	s_delay_alu instid0(VALU_DEP_1) | instskip(SKIP_1) | instid1(VALU_DEP_2)
	v_fma_f32 v7, 0xcf800000, v6, |v5|
	v_cvt_u32_f32_e32 v6, v6
	v_cvt_u32_f32_e32 v5, v7
	s_delay_alu instid0(VALU_DEP_2) | instskip(NEXT) | instid1(VALU_DEP_2)
	v_xor_b32_e32 v6, v6, v8
	v_xor_b32_e32 v5, v5, v8
	s_delay_alu instid0(VALU_DEP_1) | instskip(NEXT) | instid1(VALU_DEP_3)
	v_sub_co_u32 v5, vcc_lo, v5, v8
	v_sub_co_ci_u32_e32 v6, vcc_lo, v6, v8, vcc_lo
	global_store_b64 v[1:2], v[5:6], off
.LBB22_1960:
	s_and_not1_b32 vcc_lo, exec_lo, s0
	s_cbranch_vccnz .LBB22_1962
; %bb.1961:
	v_cvt_i32_f32_e32 v5, v44
	global_store_b32 v[1:2], v5, off
.LBB22_1962:
	s_mov_b32 s0, 0
.LBB22_1963:
	s_delay_alu instid0(SALU_CYCLE_1)
	s_and_not1_b32 vcc_lo, exec_lo, s0
	s_cbranch_vccnz .LBB22_1965
; %bb.1964:
	v_cvt_i32_f32_e32 v5, v44
	global_store_b16 v[1:2], v5, off
.LBB22_1965:
	s_mov_b32 s0, 0
.LBB22_1966:
	s_delay_alu instid0(SALU_CYCLE_1)
	s_and_not1_b32 vcc_lo, exec_lo, s0
	s_cbranch_vccnz .LBB22_1971
; %bb.1967:
	v_cmp_lt_i16_e32 vcc_lo, 0, v4
	s_mov_b32 s0, -1
	s_cbranch_vccz .LBB22_1969
; %bb.1968:
	v_cvt_i32_f32_e32 v5, v44
	s_mov_b32 s0, 0
	global_store_b8 v[1:2], v5, off
.LBB22_1969:
	s_and_not1_b32 vcc_lo, exec_lo, s0
	s_cbranch_vccnz .LBB22_1971
; %bb.1970:
	v_trunc_f32_e32 v5, v44
	s_delay_alu instid0(VALU_DEP_1) | instskip(NEXT) | instid1(VALU_DEP_1)
	v_mul_f32_e64 v6, 0x2f800000, |v5|
	v_floor_f32_e32 v6, v6
	s_delay_alu instid0(VALU_DEP_1) | instskip(SKIP_1) | instid1(VALU_DEP_2)
	v_fma_f32 v6, 0xcf800000, v6, |v5|
	v_ashrrev_i32_e32 v5, 31, v5
	v_cvt_u32_f32_e32 v6, v6
	s_delay_alu instid0(VALU_DEP_1) | instskip(NEXT) | instid1(VALU_DEP_1)
	v_xor_b32_e32 v6, v6, v5
	v_sub_nc_u32_e32 v5, v6, v5
	global_store_b8 v[1:2], v5, off
.LBB22_1971:
	s_mov_b32 s3, -1
.LBB22_1972:
	s_delay_alu instid0(SALU_CYCLE_1)
	s_and_not1_b32 vcc_lo, exec_lo, s3
	s_cbranch_vccnz .LBB22_2168
; %bb.1973:
	v_add_nc_u32_e32 v3, s1, v3
	v_cmp_gt_i16_e32 vcc_lo, 11, v4
	s_delay_alu instid0(VALU_DEP_2) | instskip(SKIP_1) | instid1(VALU_DEP_1)
	v_ashrrev_i32_e32 v2, 31, v3
	v_add_co_u32 v1, s0, s36, v3
	v_add_co_ci_u32_e64 v2, s0, s37, v2, s0
	s_cbranch_vccnz .LBB22_2051
; %bb.1974:
	v_cmp_lt_i16_e32 vcc_lo, 25, v4
	s_mov_b32 s4, -1
	s_mov_b32 s2, 0
	s_mov_b32 s3, 0
	;; [unrolled: 1-line block ×3, first 2 shown]
	s_cbranch_vccz .LBB22_2007
; %bb.1975:
	v_cmp_lt_i16_e32 vcc_lo, 28, v4
	s_cbranch_vccz .LBB22_1990
; %bb.1976:
	v_cmp_lt_i16_e32 vcc_lo, 43, v4
	s_cbranch_vccz .LBB22_1986
; %bb.1977:
	v_cmp_lt_i16_e32 vcc_lo, 45, v4
	s_cbranch_vccz .LBB22_1980
; %bb.1978:
	v_cmp_eq_u16_e32 vcc_lo, 46, v4
	s_mov_b32 s0, -1
	s_mov_b32 s4, 0
	s_cbranch_vccz .LBB22_1980
; %bb.1979:
	v_bfe_u32 v5, v46, 16, 1
	v_cmp_o_f32_e32 vcc_lo, v46, v46
	s_mov_b32 s0, 0
	s_mov_b32 s3, -1
	s_delay_alu instid0(VALU_DEP_2) | instskip(NEXT) | instid1(VALU_DEP_1)
	v_add3_u32 v5, v46, v5, 0x7fff
	v_lshrrev_b32_e32 v5, 16, v5
	s_delay_alu instid0(VALU_DEP_1)
	v_cndmask_b32_e32 v5, 0x7fc0, v5, vcc_lo
	global_store_b32 v[1:2], v5, off
.LBB22_1980:
	s_and_b32 vcc_lo, exec_lo, s4
	s_cbranch_vccz .LBB22_1985
; %bb.1981:
	v_cmp_eq_u16_e32 vcc_lo, 44, v4
	s_mov_b32 s0, -1
	s_cbranch_vccz .LBB22_1985
; %bb.1982:
	v_bfe_u32 v6, v46, 23, 8
	v_mov_b32_e32 v5, 0xff
	s_mov_b32 s3, exec_lo
	s_delay_alu instid0(VALU_DEP_2)
	v_cmpx_ne_u32_e32 0xff, v6
; %bb.1983:
	v_and_b32_e32 v5, 0x400000, v46
	v_and_or_b32 v6, 0x3fffff, v46, v6
	s_delay_alu instid0(VALU_DEP_2) | instskip(NEXT) | instid1(VALU_DEP_2)
	v_cmp_ne_u32_e32 vcc_lo, 0, v5
	v_cmp_ne_u32_e64 s0, 0, v6
	v_lshrrev_b32_e32 v5, 23, v46
	s_delay_alu instid0(VALU_DEP_2) | instskip(NEXT) | instid1(SALU_CYCLE_1)
	s_and_b32 s0, vcc_lo, s0
	v_cndmask_b32_e64 v6, 0, 1, s0
	s_delay_alu instid0(VALU_DEP_1)
	v_add_nc_u32_e32 v5, v5, v6
; %bb.1984:
	s_or_b32 exec_lo, exec_lo, s3
	s_mov_b32 s0, 0
	s_mov_b32 s3, -1
	global_store_b8 v[1:2], v5, off
.LBB22_1985:
	s_mov_b32 s4, 0
.LBB22_1986:
	s_delay_alu instid0(SALU_CYCLE_1)
	s_and_b32 vcc_lo, exec_lo, s4
	s_cbranch_vccz .LBB22_1989
; %bb.1987:
	v_cmp_eq_u16_e32 vcc_lo, 29, v4
	s_mov_b32 s0, -1
	s_cbranch_vccz .LBB22_1989
; %bb.1988:
	v_trunc_f32_e32 v5, v46
	s_mov_b32 s0, 0
	s_mov_b32 s3, -1
	s_delay_alu instid0(VALU_DEP_1) | instskip(NEXT) | instid1(VALU_DEP_1)
	v_mul_f32_e32 v6, 0x2f800000, v5
	v_floor_f32_e32 v6, v6
	s_delay_alu instid0(VALU_DEP_1) | instskip(SKIP_1) | instid1(VALU_DEP_2)
	v_fmamk_f32 v5, v6, 0xcf800000, v5
	v_cvt_u32_f32_e32 v6, v6
	v_cvt_u32_f32_e32 v5, v5
	global_store_b64 v[1:2], v[5:6], off
.LBB22_1989:
	s_mov_b32 s4, 0
.LBB22_1990:
	s_delay_alu instid0(SALU_CYCLE_1)
	s_and_b32 vcc_lo, exec_lo, s4
	s_cbranch_vccz .LBB22_2006
; %bb.1991:
	v_cmp_gt_i16_e32 vcc_lo, 27, v4
	s_mov_b32 s3, -1
	s_cbranch_vccnz .LBB22_1997
; %bb.1992:
	v_cmp_lt_i16_e32 vcc_lo, 27, v4
	v_cvt_u32_f32_e32 v5, v46
	s_cbranch_vccz .LBB22_1994
; %bb.1993:
	s_mov_b32 s3, 0
	global_store_b32 v[1:2], v5, off
.LBB22_1994:
	s_and_not1_b32 vcc_lo, exec_lo, s3
	s_cbranch_vccnz .LBB22_1996
; %bb.1995:
	global_store_b16 v[1:2], v5, off
.LBB22_1996:
	s_mov_b32 s3, 0
.LBB22_1997:
	s_delay_alu instid0(SALU_CYCLE_1)
	s_and_not1_b32 vcc_lo, exec_lo, s3
	s_cbranch_vccnz .LBB22_2005
; %bb.1998:
	v_and_b32_e32 v5, 0x7fffffff, v46
	v_mov_b32_e32 v6, 0x80
	s_mov_b32 s3, exec_lo
	s_delay_alu instid0(VALU_DEP_2)
	v_cmpx_gt_u32_e32 0x43800000, v5
	s_cbranch_execz .LBB22_2004
; %bb.1999:
	v_cmp_lt_u32_e32 vcc_lo, 0x3bffffff, v5
	s_mov_b32 s4, 0
                                        ; implicit-def: $vgpr5
	s_and_saveexec_b32 s5, vcc_lo
	s_delay_alu instid0(SALU_CYCLE_1)
	s_xor_b32 s5, exec_lo, s5
	s_cbranch_execz .LBB22_2188
; %bb.2000:
	v_bfe_u32 v5, v46, 20, 1
	s_mov_b32 s4, exec_lo
	s_delay_alu instid0(VALU_DEP_1) | instskip(NEXT) | instid1(VALU_DEP_1)
	v_add3_u32 v5, v46, v5, 0x487ffff
	v_lshrrev_b32_e32 v5, 20, v5
	s_or_saveexec_b32 s5, s5
                                        ; implicit-def: $sgpr6
	s_delay_alu instid0(SALU_CYCLE_1)
	s_xor_b32 exec_lo, exec_lo, s5
	s_cbranch_execnz .LBB22_2189
.LBB22_2001:
	s_or_b32 exec_lo, exec_lo, s5
	v_mov_b32_e32 v6, s6
	s_and_saveexec_b32 s5, s4
.LBB22_2002:
	v_lshrrev_b32_e32 v6, 24, v46
	s_delay_alu instid0(VALU_DEP_1)
	v_and_or_b32 v6, 0x80, v6, v5
.LBB22_2003:
	s_or_b32 exec_lo, exec_lo, s5
.LBB22_2004:
	s_delay_alu instid0(SALU_CYCLE_1)
	s_or_b32 exec_lo, exec_lo, s3
	global_store_b8 v[1:2], v6, off
.LBB22_2005:
	s_mov_b32 s3, -1
.LBB22_2006:
	s_mov_b32 s4, 0
.LBB22_2007:
	s_delay_alu instid0(SALU_CYCLE_1)
	s_and_b32 vcc_lo, exec_lo, s4
	s_cbranch_vccz .LBB22_2047
; %bb.2008:
	v_cmp_lt_i16_e32 vcc_lo, 22, v4
	s_mov_b32 s2, -1
	s_cbranch_vccz .LBB22_2040
; %bb.2009:
	v_cmp_gt_i16_e32 vcc_lo, 24, v4
	s_cbranch_vccnz .LBB22_2029
; %bb.2010:
	v_cmp_lt_i16_e32 vcc_lo, 24, v4
	s_cbranch_vccz .LBB22_2018
; %bb.2011:
	v_and_b32_e32 v5, 0x7fffffff, v46
	v_mov_b32_e32 v6, 0x80
	s_mov_b32 s2, exec_lo
	s_delay_alu instid0(VALU_DEP_2)
	v_cmpx_gt_u32_e32 0x47800000, v5
	s_cbranch_execz .LBB22_2017
; %bb.2012:
	v_cmp_lt_u32_e32 vcc_lo, 0x37ffffff, v5
	s_mov_b32 s3, 0
                                        ; implicit-def: $vgpr5
	s_and_saveexec_b32 s4, vcc_lo
	s_delay_alu instid0(SALU_CYCLE_1)
	s_xor_b32 s4, exec_lo, s4
	s_cbranch_execz .LBB22_2194
; %bb.2013:
	v_bfe_u32 v5, v46, 21, 1
	s_mov_b32 s3, exec_lo
	s_delay_alu instid0(VALU_DEP_1) | instskip(NEXT) | instid1(VALU_DEP_1)
	v_add3_u32 v5, v46, v5, 0x88fffff
	v_lshrrev_b32_e32 v5, 21, v5
	s_or_saveexec_b32 s4, s4
                                        ; implicit-def: $sgpr5
	s_delay_alu instid0(SALU_CYCLE_1)
	s_xor_b32 exec_lo, exec_lo, s4
	s_cbranch_execnz .LBB22_2195
.LBB22_2014:
	s_or_b32 exec_lo, exec_lo, s4
	v_mov_b32_e32 v6, s5
	s_and_saveexec_b32 s4, s3
.LBB22_2015:
	v_lshrrev_b32_e32 v6, 24, v46
	s_delay_alu instid0(VALU_DEP_1)
	v_and_or_b32 v6, 0x80, v6, v5
.LBB22_2016:
	s_or_b32 exec_lo, exec_lo, s4
.LBB22_2017:
	s_delay_alu instid0(SALU_CYCLE_1)
	s_or_b32 exec_lo, exec_lo, s2
	s_mov_b32 s2, 0
	global_store_b8 v[1:2], v6, off
.LBB22_2018:
	s_and_b32 vcc_lo, exec_lo, s2
	s_cbranch_vccz .LBB22_2028
; %bb.2019:
	v_and_b32_e32 v6, 0x7fffffff, v46
	s_mov_b32 s2, exec_lo
                                        ; implicit-def: $vgpr5
	s_delay_alu instid0(VALU_DEP_1)
	v_cmpx_gt_u32_e32 0x43f00000, v6
	s_xor_b32 s2, exec_lo, s2
	s_cbranch_execz .LBB22_2025
; %bb.2020:
	s_mov_b32 s3, exec_lo
                                        ; implicit-def: $vgpr5
	v_cmpx_lt_u32_e32 0x3c7fffff, v6
	s_xor_b32 s3, exec_lo, s3
; %bb.2021:
	v_bfe_u32 v5, v46, 20, 1
	s_delay_alu instid0(VALU_DEP_1) | instskip(NEXT) | instid1(VALU_DEP_1)
	v_add3_u32 v5, v46, v5, 0x407ffff
	v_and_b32_e32 v6, 0xff00000, v5
	v_lshrrev_b32_e32 v5, 20, v5
	s_delay_alu instid0(VALU_DEP_2) | instskip(NEXT) | instid1(VALU_DEP_2)
	v_cmp_ne_u32_e32 vcc_lo, 0x7f00000, v6
	v_cndmask_b32_e32 v5, 0x7e, v5, vcc_lo
; %bb.2022:
	s_and_not1_saveexec_b32 s3, s3
; %bb.2023:
	v_add_f32_e64 v5, 0x46800000, |v46|
; %bb.2024:
	s_or_b32 exec_lo, exec_lo, s3
                                        ; implicit-def: $vgpr6
.LBB22_2025:
	s_and_not1_saveexec_b32 s2, s2
; %bb.2026:
	v_mov_b32_e32 v5, 0x7f
	v_cmp_lt_u32_e32 vcc_lo, 0x7f800000, v6
	s_delay_alu instid0(VALU_DEP_2)
	v_cndmask_b32_e32 v5, 0x7e, v5, vcc_lo
; %bb.2027:
	s_or_b32 exec_lo, exec_lo, s2
	v_lshrrev_b32_e32 v6, 24, v46
	s_delay_alu instid0(VALU_DEP_1)
	v_and_or_b32 v5, 0x80, v6, v5
	global_store_b8 v[1:2], v5, off
.LBB22_2028:
	s_mov_b32 s2, 0
.LBB22_2029:
	s_delay_alu instid0(SALU_CYCLE_1)
	s_and_not1_b32 vcc_lo, exec_lo, s2
	s_cbranch_vccnz .LBB22_2039
; %bb.2030:
	v_and_b32_e32 v6, 0x7fffffff, v46
	s_mov_b32 s2, exec_lo
                                        ; implicit-def: $vgpr5
	s_delay_alu instid0(VALU_DEP_1)
	v_cmpx_gt_u32_e32 0x47800000, v6
	s_xor_b32 s2, exec_lo, s2
	s_cbranch_execz .LBB22_2036
; %bb.2031:
	s_mov_b32 s3, exec_lo
                                        ; implicit-def: $vgpr5
	v_cmpx_lt_u32_e32 0x387fffff, v6
	s_xor_b32 s3, exec_lo, s3
; %bb.2032:
	v_bfe_u32 v5, v46, 21, 1
	s_delay_alu instid0(VALU_DEP_1) | instskip(NEXT) | instid1(VALU_DEP_1)
	v_add3_u32 v5, v46, v5, 0x80fffff
	v_lshrrev_b32_e32 v5, 21, v5
; %bb.2033:
	s_and_not1_saveexec_b32 s3, s3
; %bb.2034:
	v_add_f32_e64 v5, 0x43000000, |v46|
; %bb.2035:
	s_or_b32 exec_lo, exec_lo, s3
                                        ; implicit-def: $vgpr6
.LBB22_2036:
	s_and_not1_saveexec_b32 s2, s2
; %bb.2037:
	v_mov_b32_e32 v5, 0x7f
	v_cmp_lt_u32_e32 vcc_lo, 0x7f800000, v6
	s_delay_alu instid0(VALU_DEP_2)
	v_cndmask_b32_e32 v5, 0x7c, v5, vcc_lo
; %bb.2038:
	s_or_b32 exec_lo, exec_lo, s2
	v_lshrrev_b32_e32 v6, 24, v46
	s_delay_alu instid0(VALU_DEP_1)
	v_and_or_b32 v5, 0x80, v6, v5
	global_store_b8 v[1:2], v5, off
.LBB22_2039:
	s_mov_b32 s2, 0
	s_mov_b32 s3, -1
.LBB22_2040:
	s_and_not1_b32 vcc_lo, exec_lo, s2
	s_mov_b32 s2, 0
	s_cbranch_vccnz .LBB22_2047
; %bb.2041:
	v_cmp_lt_i16_e32 vcc_lo, 14, v4
	s_mov_b32 s2, -1
	s_cbranch_vccz .LBB22_2045
; %bb.2042:
	v_cmp_eq_u16_e32 vcc_lo, 15, v4
	s_mov_b32 s0, -1
	s_cbranch_vccz .LBB22_2044
; %bb.2043:
	v_bfe_u32 v5, v46, 16, 1
	v_cmp_o_f32_e32 vcc_lo, v46, v46
	s_mov_b32 s0, 0
	s_mov_b32 s3, -1
	s_delay_alu instid0(VALU_DEP_2) | instskip(NEXT) | instid1(VALU_DEP_1)
	v_add3_u32 v5, v46, v5, 0x7fff
	v_lshrrev_b32_e32 v5, 16, v5
	s_delay_alu instid0(VALU_DEP_1)
	v_cndmask_b32_e32 v5, 0x7fc0, v5, vcc_lo
	global_store_b16 v[1:2], v5, off
.LBB22_2044:
	s_mov_b32 s2, 0
.LBB22_2045:
	s_delay_alu instid0(SALU_CYCLE_1)
	s_and_b32 vcc_lo, exec_lo, s2
	s_mov_b32 s2, 0
	s_cbranch_vccz .LBB22_2047
; %bb.2046:
	v_cmp_ne_u16_e64 s0, 11, v4
	s_mov_b32 s2, -1
.LBB22_2047:
	s_delay_alu instid0(VALU_DEP_1)
	s_and_b32 vcc_lo, exec_lo, s0
	s_cbranch_vccnz .LBB22_2192
; %bb.2048:
	s_and_not1_b32 vcc_lo, exec_lo, s2
	s_cbranch_vccnz .LBB22_2050
.LBB22_2049:
	v_cmp_neq_f32_e32 vcc_lo, 0, v46
	s_mov_b32 s3, -1
	v_cndmask_b32_e64 v5, 0, 1, vcc_lo
	global_store_b8 v[1:2], v5, off
.LBB22_2050:
	s_mov_b32 s0, 0
	s_branch .LBB22_2052
.LBB22_2051:
	s_mov_b32 s0, -1
	s_mov_b32 s3, 0
.LBB22_2052:
	s_and_b32 vcc_lo, exec_lo, s0
	s_cbranch_vccz .LBB22_2091
; %bb.2053:
	v_cmp_gt_i16_e32 vcc_lo, 5, v4
	s_mov_b32 s0, -1
	s_cbranch_vccnz .LBB22_2074
; %bb.2054:
	v_cmp_gt_i16_e32 vcc_lo, 8, v4
	s_cbranch_vccnz .LBB22_2064
; %bb.2055:
	v_cmp_gt_i16_e32 vcc_lo, 9, v4
	s_cbranch_vccnz .LBB22_2061
; %bb.2056:
	v_cmp_lt_i16_e32 vcc_lo, 9, v4
	s_cbranch_vccz .LBB22_2058
; %bb.2057:
	v_cvt_f64_f32_e32 v[5:6], v46
	v_mov_b32_e32 v7, 0
	s_mov_b32 s0, 0
	s_delay_alu instid0(VALU_DEP_1)
	v_mov_b32_e32 v8, v7
	global_store_b128 v[1:2], v[5:8], off
.LBB22_2058:
	s_and_not1_b32 vcc_lo, exec_lo, s0
	s_cbranch_vccnz .LBB22_2060
; %bb.2059:
	v_mov_b32_e32 v47, 0
	global_store_b64 v[1:2], v[46:47], off
.LBB22_2060:
	s_mov_b32 s0, 0
.LBB22_2061:
	s_delay_alu instid0(SALU_CYCLE_1)
	s_and_not1_b32 vcc_lo, exec_lo, s0
	s_cbranch_vccnz .LBB22_2063
; %bb.2062:
	v_cvt_f16_f32_e32 v5, v46
	s_delay_alu instid0(VALU_DEP_1)
	v_and_b32_e32 v5, 0xffff, v5
	global_store_b32 v[1:2], v5, off
.LBB22_2063:
	s_mov_b32 s0, 0
.LBB22_2064:
	s_delay_alu instid0(SALU_CYCLE_1)
	s_and_not1_b32 vcc_lo, exec_lo, s0
	s_cbranch_vccnz .LBB22_2073
; %bb.2065:
	v_cmp_gt_i16_e32 vcc_lo, 6, v4
	s_mov_b32 s0, -1
	s_cbranch_vccnz .LBB22_2071
; %bb.2066:
	v_cmp_lt_i16_e32 vcc_lo, 6, v4
	s_cbranch_vccz .LBB22_2068
; %bb.2067:
	v_cvt_f64_f32_e32 v[5:6], v46
	s_mov_b32 s0, 0
	global_store_b64 v[1:2], v[5:6], off
.LBB22_2068:
	s_and_not1_b32 vcc_lo, exec_lo, s0
	s_cbranch_vccnz .LBB22_2070
; %bb.2069:
	global_store_b32 v[1:2], v46, off
.LBB22_2070:
	s_mov_b32 s0, 0
.LBB22_2071:
	s_delay_alu instid0(SALU_CYCLE_1)
	s_and_not1_b32 vcc_lo, exec_lo, s0
	s_cbranch_vccnz .LBB22_2073
; %bb.2072:
	v_cvt_f16_f32_e32 v5, v46
	global_store_b16 v[1:2], v5, off
.LBB22_2073:
	s_mov_b32 s0, 0
.LBB22_2074:
	s_delay_alu instid0(SALU_CYCLE_1)
	s_and_not1_b32 vcc_lo, exec_lo, s0
	s_cbranch_vccnz .LBB22_2090
; %bb.2075:
	v_cmp_gt_i16_e32 vcc_lo, 2, v4
	s_mov_b32 s0, -1
	s_cbranch_vccnz .LBB22_2085
; %bb.2076:
	v_cmp_gt_i16_e32 vcc_lo, 3, v4
	s_cbranch_vccnz .LBB22_2082
; %bb.2077:
	v_cmp_lt_i16_e32 vcc_lo, 3, v4
	s_cbranch_vccz .LBB22_2079
; %bb.2078:
	v_trunc_f32_e32 v5, v46
	s_mov_b32 s0, 0
	s_delay_alu instid0(VALU_DEP_1) | instskip(SKIP_1) | instid1(VALU_DEP_2)
	v_mul_f32_e64 v6, 0x2f800000, |v5|
	v_ashrrev_i32_e32 v8, 31, v5
	v_floor_f32_e32 v6, v6
	s_delay_alu instid0(VALU_DEP_1) | instskip(SKIP_1) | instid1(VALU_DEP_2)
	v_fma_f32 v7, 0xcf800000, v6, |v5|
	v_cvt_u32_f32_e32 v6, v6
	v_cvt_u32_f32_e32 v5, v7
	s_delay_alu instid0(VALU_DEP_2) | instskip(NEXT) | instid1(VALU_DEP_2)
	v_xor_b32_e32 v6, v6, v8
	v_xor_b32_e32 v5, v5, v8
	s_delay_alu instid0(VALU_DEP_1) | instskip(NEXT) | instid1(VALU_DEP_3)
	v_sub_co_u32 v5, vcc_lo, v5, v8
	v_sub_co_ci_u32_e32 v6, vcc_lo, v6, v8, vcc_lo
	global_store_b64 v[1:2], v[5:6], off
.LBB22_2079:
	s_and_not1_b32 vcc_lo, exec_lo, s0
	s_cbranch_vccnz .LBB22_2081
; %bb.2080:
	v_cvt_i32_f32_e32 v5, v46
	global_store_b32 v[1:2], v5, off
.LBB22_2081:
	s_mov_b32 s0, 0
.LBB22_2082:
	s_delay_alu instid0(SALU_CYCLE_1)
	s_and_not1_b32 vcc_lo, exec_lo, s0
	s_cbranch_vccnz .LBB22_2084
; %bb.2083:
	v_cvt_i32_f32_e32 v5, v46
	global_store_b16 v[1:2], v5, off
.LBB22_2084:
	s_mov_b32 s0, 0
.LBB22_2085:
	s_delay_alu instid0(SALU_CYCLE_1)
	s_and_not1_b32 vcc_lo, exec_lo, s0
	s_cbranch_vccnz .LBB22_2090
; %bb.2086:
	v_cmp_lt_i16_e32 vcc_lo, 0, v4
	s_mov_b32 s0, -1
	s_cbranch_vccz .LBB22_2088
; %bb.2087:
	v_cvt_i32_f32_e32 v5, v46
	s_mov_b32 s0, 0
	global_store_b8 v[1:2], v5, off
.LBB22_2088:
	s_and_not1_b32 vcc_lo, exec_lo, s0
	s_cbranch_vccnz .LBB22_2090
; %bb.2089:
	v_trunc_f32_e32 v5, v46
	s_delay_alu instid0(VALU_DEP_1) | instskip(NEXT) | instid1(VALU_DEP_1)
	v_mul_f32_e64 v6, 0x2f800000, |v5|
	v_floor_f32_e32 v6, v6
	s_delay_alu instid0(VALU_DEP_1) | instskip(SKIP_1) | instid1(VALU_DEP_2)
	v_fma_f32 v6, 0xcf800000, v6, |v5|
	v_ashrrev_i32_e32 v5, 31, v5
	v_cvt_u32_f32_e32 v6, v6
	s_delay_alu instid0(VALU_DEP_1) | instskip(NEXT) | instid1(VALU_DEP_1)
	v_xor_b32_e32 v6, v6, v5
	v_sub_nc_u32_e32 v5, v6, v5
	global_store_b8 v[1:2], v5, off
.LBB22_2090:
	s_mov_b32 s3, -1
.LBB22_2091:
	s_delay_alu instid0(SALU_CYCLE_1)
	s_and_not1_b32 vcc_lo, exec_lo, s3
	s_cbranch_vccnz .LBB22_2168
; %bb.2092:
	v_add_nc_u32_e32 v1, s1, v3
	v_cmp_gt_i16_e32 vcc_lo, 11, v4
	s_delay_alu instid0(VALU_DEP_2) | instskip(SKIP_1) | instid1(VALU_DEP_1)
	v_ashrrev_i32_e32 v3, 31, v1
	v_add_co_u32 v2, s0, s36, v1
	v_add_co_ci_u32_e64 v3, s0, s37, v3, s0
	s_cbranch_vccnz .LBB22_2169
; %bb.2093:
	v_cmp_lt_i16_e32 vcc_lo, 25, v4
	s_mov_b32 s2, -1
	s_mov_b32 s1, 0
	s_mov_b32 s0, 0
	s_cbranch_vccz .LBB22_2126
; %bb.2094:
	v_cmp_lt_i16_e32 vcc_lo, 28, v4
	s_cbranch_vccz .LBB22_2110
; %bb.2095:
	v_cmp_lt_i16_e32 vcc_lo, 43, v4
	;; [unrolled: 3-line block ×3, first 2 shown]
	s_cbranch_vccz .LBB22_2100
; %bb.2097:
	v_cmp_eq_u16_e32 vcc_lo, 46, v4
	s_mov_b32 s0, -1
	s_cbranch_vccz .LBB22_2099
; %bb.2098:
	v_bfe_u32 v1, v0, 16, 1
	v_cmp_o_f32_e32 vcc_lo, v0, v0
	s_mov_b32 s0, 0
	s_delay_alu instid0(VALU_DEP_2) | instskip(NEXT) | instid1(VALU_DEP_1)
	v_add3_u32 v1, v0, v1, 0x7fff
	v_lshrrev_b32_e32 v1, 16, v1
	s_delay_alu instid0(VALU_DEP_1)
	v_cndmask_b32_e32 v1, 0x7fc0, v1, vcc_lo
	global_store_b32 v[2:3], v1, off
.LBB22_2099:
	s_mov_b32 s2, 0
.LBB22_2100:
	s_delay_alu instid0(SALU_CYCLE_1)
	s_and_b32 vcc_lo, exec_lo, s2
	s_cbranch_vccz .LBB22_2105
; %bb.2101:
	v_cmp_eq_u16_e32 vcc_lo, 44, v4
	s_mov_b32 s0, -1
	s_cbranch_vccz .LBB22_2105
; %bb.2102:
	v_bfe_u32 v5, v0, 23, 8
	v_mov_b32_e32 v1, 0xff
	s_mov_b32 s2, exec_lo
	s_delay_alu instid0(VALU_DEP_2)
	v_cmpx_ne_u32_e32 0xff, v5
; %bb.2103:
	v_and_b32_e32 v1, 0x400000, v0
	v_and_or_b32 v5, 0x3fffff, v0, v5
	s_delay_alu instid0(VALU_DEP_2) | instskip(NEXT) | instid1(VALU_DEP_2)
	v_cmp_ne_u32_e32 vcc_lo, 0, v1
	v_cmp_ne_u32_e64 s0, 0, v5
	v_lshrrev_b32_e32 v1, 23, v0
	s_delay_alu instid0(VALU_DEP_2) | instskip(NEXT) | instid1(SALU_CYCLE_1)
	s_and_b32 s0, vcc_lo, s0
	v_cndmask_b32_e64 v5, 0, 1, s0
	s_delay_alu instid0(VALU_DEP_1)
	v_add_nc_u32_e32 v1, v1, v5
; %bb.2104:
	s_or_b32 exec_lo, exec_lo, s2
	s_mov_b32 s0, 0
	global_store_b8 v[2:3], v1, off
.LBB22_2105:
	s_mov_b32 s2, 0
.LBB22_2106:
	s_delay_alu instid0(SALU_CYCLE_1)
	s_and_b32 vcc_lo, exec_lo, s2
	s_cbranch_vccz .LBB22_2109
; %bb.2107:
	v_cmp_eq_u16_e32 vcc_lo, 29, v4
	s_mov_b32 s0, -1
	s_cbranch_vccz .LBB22_2109
; %bb.2108:
	v_trunc_f32_e32 v1, v0
	s_mov_b32 s0, 0
	s_delay_alu instid0(VALU_DEP_1) | instskip(NEXT) | instid1(VALU_DEP_1)
	v_mul_f32_e32 v5, 0x2f800000, v1
	v_floor_f32_e32 v5, v5
	s_delay_alu instid0(VALU_DEP_1) | instskip(SKIP_1) | instid1(VALU_DEP_2)
	v_fmamk_f32 v1, v5, 0xcf800000, v1
	v_cvt_u32_f32_e32 v6, v5
	v_cvt_u32_f32_e32 v5, v1
	global_store_b64 v[2:3], v[5:6], off
.LBB22_2109:
	s_mov_b32 s2, 0
.LBB22_2110:
	s_delay_alu instid0(SALU_CYCLE_1)
	s_and_b32 vcc_lo, exec_lo, s2
	s_cbranch_vccz .LBB22_2125
; %bb.2111:
	v_cmp_gt_i16_e32 vcc_lo, 27, v4
	s_mov_b32 s2, -1
	s_cbranch_vccnz .LBB22_2117
; %bb.2112:
	v_cmp_lt_i16_e32 vcc_lo, 27, v4
	v_cvt_u32_f32_e32 v1, v0
	s_cbranch_vccz .LBB22_2114
; %bb.2113:
	s_mov_b32 s2, 0
	global_store_b32 v[2:3], v1, off
.LBB22_2114:
	s_and_not1_b32 vcc_lo, exec_lo, s2
	s_cbranch_vccnz .LBB22_2116
; %bb.2115:
	global_store_b16 v[2:3], v1, off
.LBB22_2116:
	s_mov_b32 s2, 0
.LBB22_2117:
	s_delay_alu instid0(SALU_CYCLE_1)
	s_and_not1_b32 vcc_lo, exec_lo, s2
	s_cbranch_vccnz .LBB22_2125
; %bb.2118:
	v_and_b32_e32 v1, 0x7fffffff, v0
	v_mov_b32_e32 v5, 0x80
	s_mov_b32 s2, exec_lo
	s_delay_alu instid0(VALU_DEP_2)
	v_cmpx_gt_u32_e32 0x43800000, v1
	s_cbranch_execz .LBB22_2124
; %bb.2119:
	v_cmp_lt_u32_e32 vcc_lo, 0x3bffffff, v1
	s_mov_b32 s3, 0
                                        ; implicit-def: $vgpr1
	s_and_saveexec_b32 s4, vcc_lo
	s_delay_alu instid0(SALU_CYCLE_1)
	s_xor_b32 s4, exec_lo, s4
	s_cbranch_execz .LBB22_2196
; %bb.2120:
	v_bfe_u32 v1, v0, 20, 1
	s_mov_b32 s3, exec_lo
	s_delay_alu instid0(VALU_DEP_1) | instskip(NEXT) | instid1(VALU_DEP_1)
	v_add3_u32 v1, v0, v1, 0x487ffff
	v_lshrrev_b32_e32 v1, 20, v1
	s_or_saveexec_b32 s4, s4
                                        ; implicit-def: $sgpr5
	s_delay_alu instid0(SALU_CYCLE_1)
	s_xor_b32 exec_lo, exec_lo, s4
	s_cbranch_execnz .LBB22_2197
.LBB22_2121:
	s_or_b32 exec_lo, exec_lo, s4
	v_mov_b32_e32 v5, s5
	s_and_saveexec_b32 s4, s3
.LBB22_2122:
	v_lshrrev_b32_e32 v5, 24, v0
	s_delay_alu instid0(VALU_DEP_1)
	v_and_or_b32 v5, 0x80, v5, v1
.LBB22_2123:
	s_or_b32 exec_lo, exec_lo, s4
.LBB22_2124:
	s_delay_alu instid0(SALU_CYCLE_1)
	s_or_b32 exec_lo, exec_lo, s2
	global_store_b8 v[2:3], v5, off
.LBB22_2125:
	s_mov_b32 s2, 0
.LBB22_2126:
	s_delay_alu instid0(SALU_CYCLE_1)
	s_and_b32 vcc_lo, exec_lo, s2
	s_cbranch_vccz .LBB22_2166
; %bb.2127:
	v_cmp_lt_i16_e32 vcc_lo, 22, v4
	s_mov_b32 s1, -1
	s_cbranch_vccz .LBB22_2159
; %bb.2128:
	v_cmp_gt_i16_e32 vcc_lo, 24, v4
	s_cbranch_vccnz .LBB22_2148
; %bb.2129:
	v_cmp_lt_i16_e32 vcc_lo, 24, v4
	s_cbranch_vccz .LBB22_2137
; %bb.2130:
	v_and_b32_e32 v1, 0x7fffffff, v0
	v_mov_b32_e32 v5, 0x80
	s_mov_b32 s1, exec_lo
	s_delay_alu instid0(VALU_DEP_2)
	v_cmpx_gt_u32_e32 0x47800000, v1
	s_cbranch_execz .LBB22_2136
; %bb.2131:
	v_cmp_lt_u32_e32 vcc_lo, 0x37ffffff, v1
	s_mov_b32 s2, 0
                                        ; implicit-def: $vgpr1
	s_and_saveexec_b32 s3, vcc_lo
	s_delay_alu instid0(SALU_CYCLE_1)
	s_xor_b32 s3, exec_lo, s3
	s_cbranch_execz .LBB22_2202
; %bb.2132:
	v_bfe_u32 v1, v0, 21, 1
	s_mov_b32 s2, exec_lo
	s_delay_alu instid0(VALU_DEP_1) | instskip(NEXT) | instid1(VALU_DEP_1)
	v_add3_u32 v1, v0, v1, 0x88fffff
	v_lshrrev_b32_e32 v1, 21, v1
	s_or_saveexec_b32 s3, s3
                                        ; implicit-def: $sgpr4
	s_delay_alu instid0(SALU_CYCLE_1)
	s_xor_b32 exec_lo, exec_lo, s3
	s_cbranch_execnz .LBB22_2203
.LBB22_2133:
	s_or_b32 exec_lo, exec_lo, s3
	v_mov_b32_e32 v5, s4
	s_and_saveexec_b32 s3, s2
.LBB22_2134:
	v_lshrrev_b32_e32 v5, 24, v0
	s_delay_alu instid0(VALU_DEP_1)
	v_and_or_b32 v5, 0x80, v5, v1
.LBB22_2135:
	s_or_b32 exec_lo, exec_lo, s3
.LBB22_2136:
	s_delay_alu instid0(SALU_CYCLE_1)
	s_or_b32 exec_lo, exec_lo, s1
	s_mov_b32 s1, 0
	global_store_b8 v[2:3], v5, off
.LBB22_2137:
	s_and_b32 vcc_lo, exec_lo, s1
	s_cbranch_vccz .LBB22_2147
; %bb.2138:
	v_and_b32_e32 v5, 0x7fffffff, v0
	s_mov_b32 s1, exec_lo
                                        ; implicit-def: $vgpr1
	s_delay_alu instid0(VALU_DEP_1)
	v_cmpx_gt_u32_e32 0x43f00000, v5
	s_xor_b32 s1, exec_lo, s1
	s_cbranch_execz .LBB22_2144
; %bb.2139:
	s_mov_b32 s2, exec_lo
                                        ; implicit-def: $vgpr1
	v_cmpx_lt_u32_e32 0x3c7fffff, v5
	s_xor_b32 s2, exec_lo, s2
; %bb.2140:
	v_bfe_u32 v1, v0, 20, 1
	s_delay_alu instid0(VALU_DEP_1) | instskip(NEXT) | instid1(VALU_DEP_1)
	v_add3_u32 v1, v0, v1, 0x407ffff
	v_and_b32_e32 v5, 0xff00000, v1
	v_lshrrev_b32_e32 v1, 20, v1
	s_delay_alu instid0(VALU_DEP_2) | instskip(NEXT) | instid1(VALU_DEP_2)
	v_cmp_ne_u32_e32 vcc_lo, 0x7f00000, v5
	v_cndmask_b32_e32 v1, 0x7e, v1, vcc_lo
; %bb.2141:
	s_and_not1_saveexec_b32 s2, s2
; %bb.2142:
	v_add_f32_e64 v1, 0x46800000, |v0|
; %bb.2143:
	s_or_b32 exec_lo, exec_lo, s2
                                        ; implicit-def: $vgpr5
.LBB22_2144:
	s_and_not1_saveexec_b32 s1, s1
; %bb.2145:
	v_mov_b32_e32 v1, 0x7f
	v_cmp_lt_u32_e32 vcc_lo, 0x7f800000, v5
	s_delay_alu instid0(VALU_DEP_2)
	v_cndmask_b32_e32 v1, 0x7e, v1, vcc_lo
; %bb.2146:
	s_or_b32 exec_lo, exec_lo, s1
	v_lshrrev_b32_e32 v5, 24, v0
	s_delay_alu instid0(VALU_DEP_1)
	v_and_or_b32 v1, 0x80, v5, v1
	global_store_b8 v[2:3], v1, off
.LBB22_2147:
	s_mov_b32 s1, 0
.LBB22_2148:
	s_delay_alu instid0(SALU_CYCLE_1)
	s_and_not1_b32 vcc_lo, exec_lo, s1
	s_cbranch_vccnz .LBB22_2158
; %bb.2149:
	v_and_b32_e32 v5, 0x7fffffff, v0
	s_mov_b32 s1, exec_lo
                                        ; implicit-def: $vgpr1
	s_delay_alu instid0(VALU_DEP_1)
	v_cmpx_gt_u32_e32 0x47800000, v5
	s_xor_b32 s1, exec_lo, s1
	s_cbranch_execz .LBB22_2155
; %bb.2150:
	s_mov_b32 s2, exec_lo
                                        ; implicit-def: $vgpr1
	v_cmpx_lt_u32_e32 0x387fffff, v5
	s_xor_b32 s2, exec_lo, s2
; %bb.2151:
	v_bfe_u32 v1, v0, 21, 1
	s_delay_alu instid0(VALU_DEP_1) | instskip(NEXT) | instid1(VALU_DEP_1)
	v_add3_u32 v1, v0, v1, 0x80fffff
	v_lshrrev_b32_e32 v1, 21, v1
; %bb.2152:
	s_and_not1_saveexec_b32 s2, s2
; %bb.2153:
	v_add_f32_e64 v1, 0x43000000, |v0|
; %bb.2154:
	s_or_b32 exec_lo, exec_lo, s2
                                        ; implicit-def: $vgpr5
.LBB22_2155:
	s_and_not1_saveexec_b32 s1, s1
; %bb.2156:
	v_mov_b32_e32 v1, 0x7f
	v_cmp_lt_u32_e32 vcc_lo, 0x7f800000, v5
	s_delay_alu instid0(VALU_DEP_2)
	v_cndmask_b32_e32 v1, 0x7c, v1, vcc_lo
; %bb.2157:
	s_or_b32 exec_lo, exec_lo, s1
	v_lshrrev_b32_e32 v5, 24, v0
	s_delay_alu instid0(VALU_DEP_1)
	v_and_or_b32 v1, 0x80, v5, v1
	global_store_b8 v[2:3], v1, off
.LBB22_2158:
	s_mov_b32 s1, 0
.LBB22_2159:
	s_delay_alu instid0(SALU_CYCLE_1)
	s_and_not1_b32 vcc_lo, exec_lo, s1
	s_mov_b32 s1, 0
	s_cbranch_vccnz .LBB22_2166
; %bb.2160:
	v_cmp_lt_i16_e32 vcc_lo, 14, v4
	s_mov_b32 s1, -1
	s_cbranch_vccz .LBB22_2164
; %bb.2161:
	v_cmp_eq_u16_e32 vcc_lo, 15, v4
	s_mov_b32 s0, -1
	s_cbranch_vccz .LBB22_2163
; %bb.2162:
	v_bfe_u32 v1, v0, 16, 1
	v_cmp_o_f32_e32 vcc_lo, v0, v0
	s_mov_b32 s0, 0
	s_delay_alu instid0(VALU_DEP_2) | instskip(NEXT) | instid1(VALU_DEP_1)
	v_add3_u32 v1, v0, v1, 0x7fff
	v_lshrrev_b32_e32 v1, 16, v1
	s_delay_alu instid0(VALU_DEP_1)
	v_cndmask_b32_e32 v1, 0x7fc0, v1, vcc_lo
	global_store_b16 v[2:3], v1, off
.LBB22_2163:
	s_mov_b32 s1, 0
.LBB22_2164:
	s_delay_alu instid0(SALU_CYCLE_1)
	s_and_b32 vcc_lo, exec_lo, s1
	s_mov_b32 s1, 0
	s_cbranch_vccz .LBB22_2166
; %bb.2165:
	v_cmp_ne_u16_e64 s0, 11, v4
	s_mov_b32 s1, -1
.LBB22_2166:
	s_delay_alu instid0(VALU_DEP_1)
	s_and_b32 vcc_lo, exec_lo, s0
	s_cbranch_vccnz .LBB22_2200
.LBB22_2167:
	s_mov_b32 s0, 0
	s_branch .LBB22_1684
.LBB22_2168:
	s_mov_b32 s0, 0
	s_mov_b32 s1, 0
                                        ; implicit-def: $vgpr4
                                        ; implicit-def: $vgpr2_vgpr3
	s_branch .LBB22_1684
.LBB22_2169:
	s_mov_b32 s1, 0
	s_mov_b32 s0, -1
	s_branch .LBB22_1684
.LBB22_2170:
	s_cbranch_execnz .LBB22_2174
; %bb.2171:
	s_or_b32 s35, s35, exec_lo
                                        ; implicit-def: $vgpr41
	s_cbranch_execz .LBB22_1622
	s_branch .LBB22_1623
.LBB22_2172:
	s_or_saveexec_b32 s4, s4
                                        ; implicit-def: $sgpr5
	s_delay_alu instid0(SALU_CYCLE_1)
	s_xor_b32 exec_lo, exec_lo, s4
	s_cbranch_execz .LBB22_1763
.LBB22_2173:
	v_add_f32_e64 v5, 0x46000000, |v42|
	s_and_not1_b32 s3, s3, exec_lo
	s_mov_b32 s5, 0
	s_delay_alu instid0(VALU_DEP_1) | instskip(NEXT) | instid1(VALU_DEP_1)
	v_and_b32_e32 v5, 0xff, v5
	v_cmp_ne_u32_e32 vcc_lo, 0, v5
	s_and_b32 s6, vcc_lo, exec_lo
	s_delay_alu instid0(SALU_CYCLE_1)
	s_or_b32 s3, s3, s6
	s_or_b32 exec_lo, exec_lo, s4
	v_mov_b32_e32 v6, s5
	s_and_saveexec_b32 s4, s3
	s_cbranch_execnz .LBB22_1764
	s_branch .LBB22_1765
.LBB22_2174:
	s_trap 2
	s_sendmsg_rtn_b32 s0, sendmsg(MSG_RTN_GET_DOORBELL)
	s_mov_b32 ttmp2, m0
	s_waitcnt lgkmcnt(0)
	s_and_b32 s0, s0, 0x3ff
	s_delay_alu instid0(SALU_CYCLE_1) | instskip(NEXT) | instid1(SALU_CYCLE_1)
	s_bitset1_b32 s0, 10
	s_mov_b32 m0, s0
	s_sendmsg sendmsg(MSG_INTERRUPT)
	s_mov_b32 m0, ttmp2
.LBB22_2175:                            ; =>This Inner Loop Header: Depth=1
	s_sethalt 5
	s_branch .LBB22_2175
.LBB22_2176:
	s_cbranch_execnz .LBB22_2182
; %bb.2177:
	s_or_b32 s35, s35, exec_lo
	s_cbranch_execz .LBB22_1811
	s_branch .LBB22_1812
.LBB22_2178:
	s_or_saveexec_b32 s3, s3
                                        ; implicit-def: $sgpr4
	s_delay_alu instid0(SALU_CYCLE_1)
	s_xor_b32 exec_lo, exec_lo, s3
	s_cbranch_execz .LBB22_1776
.LBB22_2179:
	v_add_f32_e64 v5, 0x42800000, |v42|
	s_and_not1_b32 s2, s2, exec_lo
	s_mov_b32 s4, 0
	s_delay_alu instid0(VALU_DEP_1) | instskip(NEXT) | instid1(VALU_DEP_1)
	v_and_b32_e32 v5, 0xff, v5
	v_cmp_ne_u32_e32 vcc_lo, 0, v5
	s_and_b32 s5, vcc_lo, exec_lo
	s_delay_alu instid0(SALU_CYCLE_1)
	s_or_b32 s2, s2, s5
	s_or_b32 exec_lo, exec_lo, s3
	v_mov_b32_e32 v6, s4
	s_and_saveexec_b32 s3, s2
	s_cbranch_execnz .LBB22_1777
	s_branch .LBB22_1778
.LBB22_2180:
	s_or_saveexec_b32 s5, s5
                                        ; implicit-def: $sgpr6
	s_delay_alu instid0(SALU_CYCLE_1)
	s_xor_b32 exec_lo, exec_lo, s5
	s_cbranch_execz .LBB22_1882
.LBB22_2181:
	v_add_f32_e64 v5, 0x46000000, |v44|
	s_and_not1_b32 s4, s4, exec_lo
	s_mov_b32 s6, 0
	s_delay_alu instid0(VALU_DEP_1) | instskip(NEXT) | instid1(VALU_DEP_1)
	v_and_b32_e32 v5, 0xff, v5
	v_cmp_ne_u32_e32 vcc_lo, 0, v5
	s_and_b32 s7, vcc_lo, exec_lo
	s_delay_alu instid0(SALU_CYCLE_1)
	s_or_b32 s4, s4, s7
	s_or_b32 exec_lo, exec_lo, s5
	v_mov_b32_e32 v6, s6
	s_and_saveexec_b32 s5, s4
	s_cbranch_execnz .LBB22_1883
	s_branch .LBB22_1884
.LBB22_2182:
	s_trap 2
	s_sendmsg_rtn_b32 s0, sendmsg(MSG_RTN_GET_DOORBELL)
	s_mov_b32 ttmp2, m0
	s_waitcnt lgkmcnt(0)
	s_and_b32 s0, s0, 0x3ff
	s_delay_alu instid0(SALU_CYCLE_1) | instskip(NEXT) | instid1(SALU_CYCLE_1)
	s_bitset1_b32 s0, 10
	s_mov_b32 m0, s0
	s_sendmsg sendmsg(MSG_INTERRUPT)
	s_mov_b32 m0, ttmp2
.LBB22_2183:                            ; =>This Inner Loop Header: Depth=1
	s_sethalt 5
	s_branch .LBB22_2183
.LBB22_2184:
	s_cbranch_execnz .LBB22_2190
; %bb.2185:
	s_or_b32 s35, s35, exec_lo
	s_cbranch_execz .LBB22_1930
	s_branch .LBB22_1931
.LBB22_2186:
	s_or_saveexec_b32 s4, s4
                                        ; implicit-def: $sgpr5
	s_delay_alu instid0(SALU_CYCLE_1)
	s_xor_b32 exec_lo, exec_lo, s4
	s_cbranch_execz .LBB22_1895
.LBB22_2187:
	v_add_f32_e64 v5, 0x42800000, |v44|
	s_and_not1_b32 s3, s3, exec_lo
	s_mov_b32 s5, 0
	s_delay_alu instid0(VALU_DEP_1) | instskip(NEXT) | instid1(VALU_DEP_1)
	v_and_b32_e32 v5, 0xff, v5
	v_cmp_ne_u32_e32 vcc_lo, 0, v5
	s_and_b32 s6, vcc_lo, exec_lo
	s_delay_alu instid0(SALU_CYCLE_1)
	s_or_b32 s3, s3, s6
	s_or_b32 exec_lo, exec_lo, s4
	v_mov_b32_e32 v6, s5
	s_and_saveexec_b32 s4, s3
	s_cbranch_execnz .LBB22_1896
	s_branch .LBB22_1897
.LBB22_2188:
	s_or_saveexec_b32 s5, s5
                                        ; implicit-def: $sgpr6
	s_delay_alu instid0(SALU_CYCLE_1)
	s_xor_b32 exec_lo, exec_lo, s5
	s_cbranch_execz .LBB22_2001
.LBB22_2189:
	v_add_f32_e64 v5, 0x46000000, |v46|
	s_and_not1_b32 s4, s4, exec_lo
	s_mov_b32 s6, 0
	s_delay_alu instid0(VALU_DEP_1) | instskip(NEXT) | instid1(VALU_DEP_1)
	v_and_b32_e32 v5, 0xff, v5
	v_cmp_ne_u32_e32 vcc_lo, 0, v5
	s_and_b32 s7, vcc_lo, exec_lo
	s_delay_alu instid0(SALU_CYCLE_1)
	s_or_b32 s4, s4, s7
	s_or_b32 exec_lo, exec_lo, s5
	v_mov_b32_e32 v6, s6
	s_and_saveexec_b32 s5, s4
	s_cbranch_execnz .LBB22_2002
	s_branch .LBB22_2003
.LBB22_2190:
	s_trap 2
	s_sendmsg_rtn_b32 s0, sendmsg(MSG_RTN_GET_DOORBELL)
	s_mov_b32 ttmp2, m0
	s_waitcnt lgkmcnt(0)
	s_and_b32 s0, s0, 0x3ff
	s_delay_alu instid0(SALU_CYCLE_1) | instskip(NEXT) | instid1(SALU_CYCLE_1)
	s_bitset1_b32 s0, 10
	s_mov_b32 m0, s0
	s_sendmsg sendmsg(MSG_INTERRUPT)
	s_mov_b32 m0, ttmp2
.LBB22_2191:                            ; =>This Inner Loop Header: Depth=1
	s_sethalt 5
	s_branch .LBB22_2191
.LBB22_2192:
	s_cbranch_execnz .LBB22_2198
; %bb.2193:
	s_or_b32 s35, s35, exec_lo
	s_cbranch_execz .LBB22_2049
	s_branch .LBB22_2050
.LBB22_2194:
	s_or_saveexec_b32 s4, s4
                                        ; implicit-def: $sgpr5
	s_delay_alu instid0(SALU_CYCLE_1)
	s_xor_b32 exec_lo, exec_lo, s4
	s_cbranch_execz .LBB22_2014
.LBB22_2195:
	v_add_f32_e64 v5, 0x42800000, |v46|
	s_and_not1_b32 s3, s3, exec_lo
	s_mov_b32 s5, 0
	s_delay_alu instid0(VALU_DEP_1) | instskip(NEXT) | instid1(VALU_DEP_1)
	v_and_b32_e32 v5, 0xff, v5
	v_cmp_ne_u32_e32 vcc_lo, 0, v5
	s_and_b32 s6, vcc_lo, exec_lo
	s_delay_alu instid0(SALU_CYCLE_1)
	s_or_b32 s3, s3, s6
	s_or_b32 exec_lo, exec_lo, s4
	v_mov_b32_e32 v6, s5
	s_and_saveexec_b32 s4, s3
	s_cbranch_execnz .LBB22_2015
	s_branch .LBB22_2016
.LBB22_2196:
	s_or_saveexec_b32 s4, s4
                                        ; implicit-def: $sgpr5
	s_delay_alu instid0(SALU_CYCLE_1)
	s_xor_b32 exec_lo, exec_lo, s4
	s_cbranch_execz .LBB22_2121
.LBB22_2197:
	v_add_f32_e64 v1, 0x46000000, |v0|
	s_and_not1_b32 s3, s3, exec_lo
	s_mov_b32 s5, 0
	s_delay_alu instid0(VALU_DEP_1) | instskip(NEXT) | instid1(VALU_DEP_1)
	v_and_b32_e32 v1, 0xff, v1
	v_cmp_ne_u32_e32 vcc_lo, 0, v1
	s_and_b32 s6, vcc_lo, exec_lo
	s_delay_alu instid0(SALU_CYCLE_1)
	s_or_b32 s3, s3, s6
	s_or_b32 exec_lo, exec_lo, s4
	v_mov_b32_e32 v5, s5
	s_and_saveexec_b32 s4, s3
	s_cbranch_execnz .LBB22_2122
	s_branch .LBB22_2123
.LBB22_2198:
	s_trap 2
	s_sendmsg_rtn_b32 s0, sendmsg(MSG_RTN_GET_DOORBELL)
	s_mov_b32 ttmp2, m0
	s_waitcnt lgkmcnt(0)
	s_and_b32 s0, s0, 0x3ff
	s_delay_alu instid0(SALU_CYCLE_1) | instskip(NEXT) | instid1(SALU_CYCLE_1)
	s_bitset1_b32 s0, 10
	s_mov_b32 m0, s0
	s_sendmsg sendmsg(MSG_INTERRUPT)
	s_mov_b32 m0, ttmp2
.LBB22_2199:                            ; =>This Inner Loop Header: Depth=1
	s_sethalt 5
	s_branch .LBB22_2199
.LBB22_2200:
	s_cbranch_execnz .LBB22_2204
; %bb.2201:
	s_mov_b32 s1, 0
	s_or_b32 s35, s35, exec_lo
	s_branch .LBB22_2167
.LBB22_2202:
	s_or_saveexec_b32 s3, s3
                                        ; implicit-def: $sgpr4
	s_delay_alu instid0(SALU_CYCLE_1)
	s_xor_b32 exec_lo, exec_lo, s3
	s_cbranch_execz .LBB22_2133
.LBB22_2203:
	v_add_f32_e64 v1, 0x42800000, |v0|
	s_and_not1_b32 s2, s2, exec_lo
	s_mov_b32 s4, 0
	s_delay_alu instid0(VALU_DEP_1) | instskip(NEXT) | instid1(VALU_DEP_1)
	v_and_b32_e32 v1, 0xff, v1
	v_cmp_ne_u32_e32 vcc_lo, 0, v1
	s_and_b32 s5, vcc_lo, exec_lo
	s_delay_alu instid0(SALU_CYCLE_1)
	s_or_b32 s2, s2, s5
	s_or_b32 exec_lo, exec_lo, s3
	v_mov_b32_e32 v5, s4
	s_and_saveexec_b32 s3, s2
	s_cbranch_execnz .LBB22_2134
	s_branch .LBB22_2135
.LBB22_2204:
	s_trap 2
	s_sendmsg_rtn_b32 s0, sendmsg(MSG_RTN_GET_DOORBELL)
	s_mov_b32 ttmp2, m0
	s_waitcnt lgkmcnt(0)
	s_and_b32 s0, s0, 0x3ff
	s_delay_alu instid0(SALU_CYCLE_1) | instskip(NEXT) | instid1(SALU_CYCLE_1)
	s_bitset1_b32 s0, 10
	s_mov_b32 m0, s0
	s_sendmsg sendmsg(MSG_INTERRUPT)
	s_mov_b32 m0, ttmp2
.LBB22_2205:                            ; =>This Inner Loop Header: Depth=1
	s_sethalt 5
	s_branch .LBB22_2205
	.section	.rodata,"a",@progbits
	.p2align	6, 0x0
	.amdhsa_kernel _ZN2at6native32elementwise_kernel_manual_unrollILi128ELi4EZNS0_15gpu_kernel_implIZZZNS0_12_GLOBAL__N_121bessel_y1_kernel_cudaERNS_18TensorIteratorBaseEENKUlvE_clEvENKUlvE0_clEvEUlfE_EEvS5_RKT_EUlibE_EEviT1_
		.amdhsa_group_segment_fixed_size 0
		.amdhsa_private_segment_fixed_size 16
		.amdhsa_kernarg_size 40
		.amdhsa_user_sgpr_count 15
		.amdhsa_user_sgpr_dispatch_ptr 0
		.amdhsa_user_sgpr_queue_ptr 0
		.amdhsa_user_sgpr_kernarg_segment_ptr 1
		.amdhsa_user_sgpr_dispatch_id 0
		.amdhsa_user_sgpr_private_segment_size 0
		.amdhsa_wavefront_size32 1
		.amdhsa_uses_dynamic_stack 1
		.amdhsa_enable_private_segment 1
		.amdhsa_system_sgpr_workgroup_id_x 1
		.amdhsa_system_sgpr_workgroup_id_y 0
		.amdhsa_system_sgpr_workgroup_id_z 0
		.amdhsa_system_sgpr_workgroup_info 0
		.amdhsa_system_vgpr_workitem_id 0
		.amdhsa_next_free_vgpr 58
		.amdhsa_next_free_sgpr 55
		.amdhsa_reserve_vcc 1
		.amdhsa_float_round_mode_32 0
		.amdhsa_float_round_mode_16_64 0
		.amdhsa_float_denorm_mode_32 3
		.amdhsa_float_denorm_mode_16_64 3
		.amdhsa_dx10_clamp 1
		.amdhsa_ieee_mode 1
		.amdhsa_fp16_overflow 0
		.amdhsa_workgroup_processor_mode 1
		.amdhsa_memory_ordered 1
		.amdhsa_forward_progress 0
		.amdhsa_shared_vgpr_count 0
		.amdhsa_exception_fp_ieee_invalid_op 0
		.amdhsa_exception_fp_denorm_src 0
		.amdhsa_exception_fp_ieee_div_zero 0
		.amdhsa_exception_fp_ieee_overflow 0
		.amdhsa_exception_fp_ieee_underflow 0
		.amdhsa_exception_fp_ieee_inexact 0
		.amdhsa_exception_int_div_zero 0
	.end_amdhsa_kernel
	.section	.text._ZN2at6native32elementwise_kernel_manual_unrollILi128ELi4EZNS0_15gpu_kernel_implIZZZNS0_12_GLOBAL__N_121bessel_y1_kernel_cudaERNS_18TensorIteratorBaseEENKUlvE_clEvENKUlvE0_clEvEUlfE_EEvS5_RKT_EUlibE_EEviT1_,"axG",@progbits,_ZN2at6native32elementwise_kernel_manual_unrollILi128ELi4EZNS0_15gpu_kernel_implIZZZNS0_12_GLOBAL__N_121bessel_y1_kernel_cudaERNS_18TensorIteratorBaseEENKUlvE_clEvENKUlvE0_clEvEUlfE_EEvS5_RKT_EUlibE_EEviT1_,comdat
.Lfunc_end22:
	.size	_ZN2at6native32elementwise_kernel_manual_unrollILi128ELi4EZNS0_15gpu_kernel_implIZZZNS0_12_GLOBAL__N_121bessel_y1_kernel_cudaERNS_18TensorIteratorBaseEENKUlvE_clEvENKUlvE0_clEvEUlfE_EEvS5_RKT_EUlibE_EEviT1_, .Lfunc_end22-_ZN2at6native32elementwise_kernel_manual_unrollILi128ELi4EZNS0_15gpu_kernel_implIZZZNS0_12_GLOBAL__N_121bessel_y1_kernel_cudaERNS_18TensorIteratorBaseEENKUlvE_clEvENKUlvE0_clEvEUlfE_EEvS5_RKT_EUlibE_EEviT1_
                                        ; -- End function
	.section	.AMDGPU.csdata,"",@progbits
; Kernel info:
; codeLenInByte = 61284
; NumSgprs: 57
; NumVgprs: 58
; ScratchSize: 16
; MemoryBound: 1
; FloatMode: 240
; IeeeMode: 1
; LDSByteSize: 0 bytes/workgroup (compile time only)
; SGPRBlocks: 7
; VGPRBlocks: 7
; NumSGPRsForWavesPerEU: 57
; NumVGPRsForWavesPerEU: 58
; Occupancy: 16
; WaveLimiterHint : 0
; COMPUTE_PGM_RSRC2:SCRATCH_EN: 1
; COMPUTE_PGM_RSRC2:USER_SGPR: 15
; COMPUTE_PGM_RSRC2:TRAP_HANDLER: 0
; COMPUTE_PGM_RSRC2:TGID_X_EN: 1
; COMPUTE_PGM_RSRC2:TGID_Y_EN: 0
; COMPUTE_PGM_RSRC2:TGID_Z_EN: 0
; COMPUTE_PGM_RSRC2:TIDIG_COMP_CNT: 0
	.section	.text._ZN2at6native32elementwise_kernel_manual_unrollILi128ELi4EZNS0_15gpu_kernel_implIZZZNS0_12_GLOBAL__N_121bessel_y1_kernel_cudaERNS_18TensorIteratorBaseEENKUlvE_clEvENKUlvE0_clEvEUlfE_EEvS5_RKT_EUlibE0_EEviT1_,"axG",@progbits,_ZN2at6native32elementwise_kernel_manual_unrollILi128ELi4EZNS0_15gpu_kernel_implIZZZNS0_12_GLOBAL__N_121bessel_y1_kernel_cudaERNS_18TensorIteratorBaseEENKUlvE_clEvENKUlvE0_clEvEUlfE_EEvS5_RKT_EUlibE0_EEviT1_,comdat
	.globl	_ZN2at6native32elementwise_kernel_manual_unrollILi128ELi4EZNS0_15gpu_kernel_implIZZZNS0_12_GLOBAL__N_121bessel_y1_kernel_cudaERNS_18TensorIteratorBaseEENKUlvE_clEvENKUlvE0_clEvEUlfE_EEvS5_RKT_EUlibE0_EEviT1_ ; -- Begin function _ZN2at6native32elementwise_kernel_manual_unrollILi128ELi4EZNS0_15gpu_kernel_implIZZZNS0_12_GLOBAL__N_121bessel_y1_kernel_cudaERNS_18TensorIteratorBaseEENKUlvE_clEvENKUlvE0_clEvEUlfE_EEvS5_RKT_EUlibE0_EEviT1_
	.p2align	8
	.type	_ZN2at6native32elementwise_kernel_manual_unrollILi128ELi4EZNS0_15gpu_kernel_implIZZZNS0_12_GLOBAL__N_121bessel_y1_kernel_cudaERNS_18TensorIteratorBaseEENKUlvE_clEvENKUlvE0_clEvEUlfE_EEvS5_RKT_EUlibE0_EEviT1_,@function
_ZN2at6native32elementwise_kernel_manual_unrollILi128ELi4EZNS0_15gpu_kernel_implIZZZNS0_12_GLOBAL__N_121bessel_y1_kernel_cudaERNS_18TensorIteratorBaseEENKUlvE_clEvENKUlvE0_clEvEUlfE_EEvS5_RKT_EUlibE0_EEviT1_: ; @_ZN2at6native32elementwise_kernel_manual_unrollILi128ELi4EZNS0_15gpu_kernel_implIZZZNS0_12_GLOBAL__N_121bessel_y1_kernel_cudaERNS_18TensorIteratorBaseEENKUlvE_clEvENKUlvE0_clEvEUlfE_EEvS5_RKT_EUlibE0_EEviT1_
; %bb.0:
	s_clause 0x1
	s_load_b32 s35, s[0:1], 0x8
	s_load_b32 s61, s[0:1], 0x0
	v_lshl_or_b32 v46, s15, 9, v0
	s_or_b32 s48, s0, 8
	s_mov_b32 s3, -1
	s_mov_b32 s57, 0
	s_mov_b32 s49, s1
	v_or_b32_e32 v1, 0x180, v46
	s_mov_b32 s40, 0
	s_mov_b32 s32, 0
	s_mov_b32 s2, exec_lo
	s_waitcnt lgkmcnt(0)
	s_add_i32 s56, s35, -1
	s_delay_alu instid0(SALU_CYCLE_1)
	s_cmp_gt_u32 s56, 1
	s_cselect_b32 s58, -1, 0
	v_cmpx_le_i32_e64 s61, v1
	s_xor_b32 s59, exec_lo, s2
	s_cbranch_execz .LBB23_1140
; %bb.1:
	v_mov_b32_e32 v0, 0
	s_clause 0x3
	s_load_b128 s[44:47], s[48:49], 0x4
	s_load_b64 s[50:51], s[48:49], 0x14
	s_load_b128 s[40:43], s[48:49], 0xc4
	s_load_b128 s[36:39], s[48:49], 0x148
	s_cmp_lg_u32 s35, 0
	s_mov_b32 s67, 0
	s_cselect_b32 s63, -1, 0
	global_load_u16 v43, v0, s[48:49] offset:345
	s_add_u32 s52, s48, 0xc4
	s_addc_u32 s53, s49, 0
	s_min_u32 s62, s56, 15
	s_cmp_gt_u32 s35, 1
	s_mov_b32 s65, 0
	s_cselect_b32 s60, -1, 0
	s_mov_b32 s64, 0
	s_mov_b32 s66, exec_lo
	s_waitcnt vmcnt(0)
	v_lshrrev_b16 v44, 8, v43
	v_cmpx_gt_i32_e64 s61, v46
	s_cbranch_execz .LBB23_279
; %bb.2:
	s_and_not1_b32 vcc_lo, exec_lo, s58
	s_cbranch_vccnz .LBB23_7
; %bb.3:
	v_mov_b32_e32 v42, 0
	v_mov_b32_e32 v0, 0
	s_and_not1_b32 vcc_lo, exec_lo, s63
	s_mov_b32 s6, 0
	s_cbranch_vccnz .LBB23_12
; %bb.4:
	v_mov_b32_e32 v42, 0
	s_add_i32 s8, s62, 1
	s_cmp_eq_u32 s56, 2
	s_mov_b32 s7, 0
	s_cbranch_scc1 .LBB23_8
; %bb.5:
	v_dual_mov_b32 v0, 0 :: v_dual_mov_b32 v1, v46
	v_mov_b32_e32 v42, 0
	s_and_b32 s7, s8, 28
	s_mov_b32 s9, 0
	s_mov_b64 s[2:3], s[52:53]
	s_mov_b64 s[4:5], s[48:49]
.LBB23_6:                               ; =>This Inner Loop Header: Depth=1
	s_clause 0x1
	s_load_b256 s[12:19], s[4:5], 0x4
	s_load_b128 s[28:31], s[4:5], 0x24
	s_load_b256 s[20:27], s[2:3], 0x0
	s_add_u32 s4, s4, 48
	s_addc_u32 s5, s5, 0
	s_add_i32 s9, s9, 4
	s_add_u32 s2, s2, 32
	s_addc_u32 s3, s3, 0
	s_cmp_lg_u32 s7, s9
	s_waitcnt lgkmcnt(0)
	v_mul_hi_u32 v2, s13, v1
	s_delay_alu instid0(VALU_DEP_1) | instskip(NEXT) | instid1(VALU_DEP_1)
	v_add_nc_u32_e32 v2, v1, v2
	v_lshrrev_b32_e32 v2, s14, v2
	s_delay_alu instid0(VALU_DEP_1) | instskip(SKIP_1) | instid1(VALU_DEP_2)
	v_mul_hi_u32 v3, s16, v2
	v_mul_lo_u32 v5, v2, s12
	v_add_nc_u32_e32 v3, v2, v3
	s_delay_alu instid0(VALU_DEP_2) | instskip(NEXT) | instid1(VALU_DEP_2)
	v_sub_nc_u32_e32 v1, v1, v5
	v_lshrrev_b32_e32 v3, s17, v3
	s_delay_alu instid0(VALU_DEP_2) | instskip(SKIP_1) | instid1(VALU_DEP_3)
	v_mul_lo_u32 v5, v1, s20
	v_mul_lo_u32 v7, v1, s21
	v_mul_hi_u32 v4, s19, v3
	s_delay_alu instid0(VALU_DEP_1) | instskip(NEXT) | instid1(VALU_DEP_1)
	v_add_nc_u32_e32 v4, v3, v4
	v_lshrrev_b32_e32 v4, s28, v4
	s_delay_alu instid0(VALU_DEP_1) | instskip(SKIP_1) | instid1(VALU_DEP_2)
	v_mul_hi_u32 v6, s30, v4
	v_mul_lo_u32 v8, v4, s18
	v_add_nc_u32_e32 v1, v4, v6
	v_mul_lo_u32 v6, v3, s15
	s_delay_alu instid0(VALU_DEP_3) | instskip(NEXT) | instid1(VALU_DEP_3)
	v_sub_nc_u32_e32 v3, v3, v8
	v_lshrrev_b32_e32 v1, s31, v1
	s_delay_alu instid0(VALU_DEP_2) | instskip(SKIP_2) | instid1(VALU_DEP_4)
	v_mul_lo_u32 v8, v3, s24
	v_mul_lo_u32 v3, v3, s25
	v_sub_nc_u32_e32 v2, v2, v6
	v_mul_lo_u32 v9, v1, s29
	s_delay_alu instid0(VALU_DEP_2) | instskip(SKIP_1) | instid1(VALU_DEP_3)
	v_mul_lo_u32 v6, v2, s22
	v_mul_lo_u32 v2, v2, s23
	v_sub_nc_u32_e32 v4, v4, v9
	s_delay_alu instid0(VALU_DEP_3) | instskip(NEXT) | instid1(VALU_DEP_2)
	v_add3_u32 v5, v5, v42, v6
	v_mul_lo_u32 v9, v4, s26
	v_mul_lo_u32 v4, v4, s27
	v_add3_u32 v0, v7, v0, v2
	s_delay_alu instid0(VALU_DEP_3) | instskip(NEXT) | instid1(VALU_DEP_2)
	v_add3_u32 v42, v8, v5, v9
	v_add3_u32 v0, v3, v0, v4
	s_cbranch_scc1 .LBB23_6
	s_branch .LBB23_9
.LBB23_7:
	s_mov_b32 s6, -1
                                        ; implicit-def: $vgpr42
                                        ; implicit-def: $vgpr0
	s_branch .LBB23_12
.LBB23_8:
	v_dual_mov_b32 v1, v46 :: v_dual_mov_b32 v0, 0
.LBB23_9:
	s_and_b32 s8, s8, 3
	s_delay_alu instid0(SALU_CYCLE_1)
	s_cmp_eq_u32 s8, 0
	s_cbranch_scc1 .LBB23_12
; %bb.10:
	s_lshl_b32 s2, s7, 3
	s_mul_i32 s4, s7, 12
	s_add_u32 s2, s2, s48
	s_addc_u32 s3, s49, 0
	s_add_u32 s2, s2, 0xc4
	s_addc_u32 s3, s3, 0
	;; [unrolled: 2-line block ×3, first 2 shown]
	.p2align	6
.LBB23_11:                              ; =>This Inner Loop Header: Depth=1
	s_clause 0x1
	s_load_b64 s[10:11], s[4:5], 0x4
	s_load_b32 s7, s[4:5], 0xc
	s_load_b64 s[12:13], s[2:3], 0x0
	s_add_u32 s4, s4, 12
	s_addc_u32 s5, s5, 0
	s_add_u32 s2, s2, 8
	s_addc_u32 s3, s3, 0
	s_add_i32 s8, s8, -1
	s_delay_alu instid0(SALU_CYCLE_1) | instskip(SKIP_2) | instid1(VALU_DEP_1)
	s_cmp_lg_u32 s8, 0
	s_waitcnt lgkmcnt(0)
	v_mul_hi_u32 v2, s11, v1
	v_add_nc_u32_e32 v2, v1, v2
	s_delay_alu instid0(VALU_DEP_1) | instskip(NEXT) | instid1(VALU_DEP_1)
	v_lshrrev_b32_e32 v5, s7, v2
	v_mul_lo_u32 v2, v5, s10
	s_delay_alu instid0(VALU_DEP_1) | instskip(NEXT) | instid1(VALU_DEP_1)
	v_sub_nc_u32_e32 v1, v1, v2
	v_mad_u64_u32 v[2:3], null, v1, s12, v[42:43]
	v_mad_u64_u32 v[3:4], null, v1, s13, v[0:1]
	s_delay_alu instid0(VALU_DEP_2) | instskip(NEXT) | instid1(VALU_DEP_2)
	v_dual_mov_b32 v1, v5 :: v_dual_mov_b32 v42, v2
	v_mov_b32_e32 v0, v3
	s_cbranch_scc1 .LBB23_11
.LBB23_12:
	s_and_not1_b32 vcc_lo, exec_lo, s6
	s_cbranch_vccnz .LBB23_15
; %bb.13:
	s_waitcnt lgkmcnt(0)
	v_mul_hi_u32 v0, s45, v46
	s_and_not1_b32 vcc_lo, exec_lo, s60
	s_delay_alu instid0(VALU_DEP_1) | instskip(NEXT) | instid1(VALU_DEP_1)
	v_add_nc_u32_e32 v0, v46, v0
	v_lshrrev_b32_e32 v1, s46, v0
	s_delay_alu instid0(VALU_DEP_1) | instskip(NEXT) | instid1(VALU_DEP_1)
	v_mul_lo_u32 v0, v1, s44
	v_sub_nc_u32_e32 v0, v46, v0
	s_delay_alu instid0(VALU_DEP_1)
	v_mul_lo_u32 v42, v0, s40
	v_mul_lo_u32 v0, v0, s41
	s_cbranch_vccnz .LBB23_15
; %bb.14:
	v_mul_hi_u32 v2, s50, v1
	s_delay_alu instid0(VALU_DEP_1) | instskip(NEXT) | instid1(VALU_DEP_1)
	v_add_nc_u32_e32 v2, v1, v2
	v_lshrrev_b32_e32 v2, s51, v2
	s_delay_alu instid0(VALU_DEP_1) | instskip(NEXT) | instid1(VALU_DEP_1)
	v_mul_lo_u32 v2, v2, s47
	v_sub_nc_u32_e32 v4, v1, v2
	s_delay_alu instid0(VALU_DEP_1) | instskip(NEXT) | instid1(VALU_DEP_1)
	v_mad_u64_u32 v[1:2], null, v4, s42, v[42:43]
	v_mad_u64_u32 v[2:3], null, v4, s43, v[0:1]
	v_mov_b32_e32 v42, v1
	s_delay_alu instid0(VALU_DEP_2)
	v_mov_b32_e32 v0, v2
.LBB23_15:
	v_cmp_gt_i16_e32 vcc_lo, 11, v44
	s_waitcnt lgkmcnt(0)
	s_delay_alu instid0(VALU_DEP_2) | instskip(NEXT) | instid1(VALU_DEP_1)
	v_add_co_u32 v0, s2, s38, v0
	v_add_co_ci_u32_e64 v1, null, s39, 0, s2
	s_mov_b32 s65, 0
	s_cbranch_vccnz .LBB23_22
; %bb.16:
	v_cmp_lt_i16_e32 vcc_lo, 25, v44
	s_cbranch_vccz .LBB23_33
; %bb.17:
	v_cmp_lt_i16_e32 vcc_lo, 28, v44
	s_cbranch_vccz .LBB23_158
	;; [unrolled: 3-line block ×4, first 2 shown]
; %bb.20:
	v_cmp_eq_u16_e32 vcc_lo, 46, v44
	s_mov_b32 s3, 0
	s_cbranch_vccz .LBB23_161
; %bb.21:
	global_load_b32 v2, v[0:1], off
	s_mov_b32 s2, -1
	s_waitcnt vmcnt(0)
	v_lshlrev_b32_e32 v41, 16, v2
	s_branch .LBB23_163
.LBB23_22:
	s_mov_b32 s2, 0
                                        ; implicit-def: $vgpr41
	s_cbranch_execnz .LBB23_229
.LBB23_23:
	s_and_not1_b32 vcc_lo, exec_lo, s2
	s_cbranch_vccnz .LBB23_276
.LBB23_24:
                                        ; implicit-def: $vgpr0
	s_mov_b32 s2, exec_lo
	s_waitcnt vmcnt(0)
	s_delay_alu instid0(VALU_DEP_1)
	v_cmpx_ge_f32_e32 0x40a00000, v41
	s_xor_b32 s64, exec_lo, s2
	s_cbranch_execz .LBB23_30
; %bb.25:
	v_mov_b32_e32 v0, 0xff800000
	s_mov_b32 s68, exec_lo
	v_cmpx_neq_f32_e32 0, v41
	s_cbranch_execz .LBB23_29
; %bb.26:
	v_mov_b32_e32 v0, 0x7fc00000
	s_mov_b32 s69, exec_lo
	v_cmpx_nge_f32_e32 0, v41
	s_cbranch_execz .LBB23_28
; %bb.27:
	v_mul_f32_e32 v0, v41, v41
	s_getpc_b64 s[2:3]
	s_add_u32 s2, s2, _Z17bessel_j1_forwardIfET_S0_@rel32@lo+4
	s_addc_u32 s3, s3, _Z17bessel_j1_forwardIfET_S0_@rel32@hi+12
	s_mov_b64 s[54:55], s[0:1]
	v_fmaak_f32 v1, 0, v0, 0x4414934d
	v_fmaak_f32 v2, 0, v0, 0x4e9695f3
	s_delay_alu instid0(VALU_DEP_2) | instskip(NEXT) | instid1(VALU_DEP_2)
	v_fmaak_f32 v1, v0, v1, 0x48660b06
	v_fmaak_f32 v2, v0, v2, 0xd316b96b
	s_delay_alu instid0(VALU_DEP_2) | instskip(NEXT) | instid1(VALU_DEP_2)
	;; [unrolled: 3-line block ×5, first 2 shown]
	v_fmaak_f32 v1, v0, v1, 0x580d1937
	v_fmaak_f32 v2, v0, v2, 0xdd2cf20b
	s_delay_alu instid0(VALU_DEP_2) | instskip(NEXT) | instid1(VALU_DEP_1)
	v_fmaak_f32 v1, v0, v1, 0x5b741f1e
	v_fmaak_f32 v0, v0, v1, 0x5e5c878d
	s_delay_alu instid0(VALU_DEP_1) | instskip(SKIP_1) | instid1(VALU_DEP_2)
	v_div_scale_f32 v1, null, v0, v0, v2
	v_div_scale_f32 v5, vcc_lo, v2, v0, v2
	v_rcp_f32_e32 v3, v1
	s_waitcnt_depctr 0xfff
	v_fma_f32 v4, -v1, v3, 1.0
	s_delay_alu instid0(VALU_DEP_1) | instskip(NEXT) | instid1(VALU_DEP_1)
	v_fmac_f32_e32 v3, v4, v3
	v_mul_f32_e32 v4, v5, v3
	s_delay_alu instid0(VALU_DEP_1) | instskip(NEXT) | instid1(VALU_DEP_1)
	v_fma_f32 v6, -v1, v4, v5
	v_fmac_f32_e32 v4, v6, v3
	s_delay_alu instid0(VALU_DEP_1) | instskip(NEXT) | instid1(VALU_DEP_1)
	v_fma_f32 v1, -v1, v4, v5
	v_div_fmas_f32 v1, v1, v3, v4
	s_delay_alu instid0(VALU_DEP_1)
	v_div_fixup_f32 v45, v1, v0, v2
	v_mov_b32_e32 v0, v41
	s_swappc_b64 s[30:31], s[2:3]
	v_div_scale_f32 v1, null, v41, v41, -1.0
	v_cmp_gt_f32_e32 vcc_lo, 0x800000, v41
	v_div_scale_f32 v5, s2, -1.0, v41, -1.0
	s_delay_alu instid0(VALU_DEP_3) | instskip(SKIP_4) | instid1(VALU_DEP_1)
	v_rcp_f32_e32 v3, v1
	s_mov_b64 s[0:1], s[54:55]
	v_cndmask_b32_e64 v2, 1.0, 0x4f800000, vcc_lo
	s_waitcnt_depctr 0xfff
	v_fma_f32 v4, -v1, v3, 1.0
	v_dual_mul_f32 v2, v41, v2 :: v_dual_fmac_f32 v3, v4, v3
	s_delay_alu instid0(VALU_DEP_1) | instskip(SKIP_3) | instid1(VALU_DEP_2)
	v_log_f32_e32 v2, v2
	s_waitcnt_depctr 0xfff
	v_mul_f32_e32 v4, 0x3f317217, v2
	v_cmp_gt_f32_e64 s3, 0x7f800000, |v2|
	v_fma_f32 v7, 0x3f317217, v2, -v4
	s_delay_alu instid0(VALU_DEP_1) | instskip(NEXT) | instid1(VALU_DEP_1)
	v_dual_mul_f32 v6, v5, v3 :: v_dual_fmamk_f32 v7, v2, 0x3377d1cf, v7
	v_fma_f32 v8, -v1, v6, v5
	s_delay_alu instid0(VALU_DEP_2) | instskip(NEXT) | instid1(VALU_DEP_2)
	v_add_f32_e32 v4, v4, v7
	v_fmac_f32_e32 v6, v8, v3
	s_delay_alu instid0(VALU_DEP_2) | instskip(NEXT) | instid1(VALU_DEP_2)
	v_cndmask_b32_e64 v2, v2, v4, s3
	v_fma_f32 v1, -v1, v6, v5
	v_cndmask_b32_e64 v4, 0, 0x41b17218, vcc_lo
	s_mov_b32 vcc_lo, s2
	s_delay_alu instid0(VALU_DEP_2) | instskip(NEXT) | instid1(VALU_DEP_2)
	v_div_fmas_f32 v1, v1, v3, v6
	v_sub_f32_e32 v2, v2, v4
	s_delay_alu instid0(VALU_DEP_2) | instskip(NEXT) | instid1(VALU_DEP_1)
	v_div_fixup_f32 v1, v1, v41, -1.0
	v_fmac_f32_e32 v1, v2, v0
	s_delay_alu instid0(VALU_DEP_1) | instskip(NEXT) | instid1(VALU_DEP_1)
	v_mul_f32_e32 v0, 0x3f22f983, v1
	v_fmac_f32_e32 v0, v41, v45
.LBB23_28:
	s_or_b32 exec_lo, exec_lo, s69
.LBB23_29:
	s_delay_alu instid0(SALU_CYCLE_1)
	s_or_b32 exec_lo, exec_lo, s68
                                        ; implicit-def: $vgpr41
.LBB23_30:
	s_and_not1_saveexec_b32 s5, s64
	s_cbranch_execz .LBB23_41
; %bb.31:
	v_add_f32_e32 v0, 0xc016cbe4, v41
                                        ; implicit-def: $vgpr3
                                        ; implicit-def: $vgpr2
	s_delay_alu instid0(VALU_DEP_1) | instskip(SKIP_1) | instid1(VALU_DEP_1)
	v_and_b32_e32 v1, 0x7fffffff, v0
	v_cmp_ngt_f32_e64 s6, 0x48000000, |v0|
	s_and_saveexec_b32 s2, s6
	s_delay_alu instid0(SALU_CYCLE_1)
	s_xor_b32 s7, exec_lo, s2
	s_cbranch_execz .LBB23_34
; %bb.32:
	s_mov_b32 s2, 0x7fffff
	v_mov_b32_e32 v4, 0
	v_and_or_b32 v12, v1, s2, 0x800000
	v_lshrrev_b32_e32 v9, 23, v1
	s_delay_alu instid0(VALU_DEP_2) | instskip(NEXT) | instid1(VALU_DEP_2)
	v_mad_u64_u32 v[2:3], null, 0xfe5163ab, v12, 0
	v_add_nc_u32_e32 v10, 0xffffff88, v9
	s_delay_alu instid0(VALU_DEP_1) | instskip(NEXT) | instid1(VALU_DEP_3)
	v_cmp_lt_u32_e32 vcc_lo, 63, v10
	v_mad_u64_u32 v[5:6], null, 0x3c439041, v12, v[3:4]
	v_cndmask_b32_e64 v11, 0, 0xffffffc0, vcc_lo
	s_delay_alu instid0(VALU_DEP_2) | instskip(NEXT) | instid1(VALU_DEP_2)
	v_mov_b32_e32 v3, v6
	v_add_nc_u32_e32 v11, v11, v10
	s_delay_alu instid0(VALU_DEP_2) | instskip(NEXT) | instid1(VALU_DEP_2)
	v_mad_u64_u32 v[6:7], null, 0xdb629599, v12, v[3:4]
	v_cmp_lt_u32_e64 s2, 31, v11
	s_delay_alu instid0(VALU_DEP_1) | instskip(NEXT) | instid1(VALU_DEP_3)
	v_cndmask_b32_e64 v13, 0, 0xffffffe0, s2
	v_dual_mov_b32 v3, v7 :: v_dual_cndmask_b32 v2, v6, v2
	s_delay_alu instid0(VALU_DEP_2) | instskip(NEXT) | instid1(VALU_DEP_2)
	v_add_nc_u32_e32 v13, v13, v11
	v_mad_u64_u32 v[7:8], null, 0xf534ddc0, v12, v[3:4]
	s_delay_alu instid0(VALU_DEP_2) | instskip(NEXT) | instid1(VALU_DEP_2)
	v_cmp_lt_u32_e64 s3, 31, v13
	v_mov_b32_e32 v3, v8
	s_delay_alu instid0(VALU_DEP_3) | instskip(NEXT) | instid1(VALU_DEP_2)
	v_cndmask_b32_e32 v5, v7, v5, vcc_lo
	v_mad_u64_u32 v[8:9], null, 0xfc2757d1, v12, v[3:4]
	s_delay_alu instid0(VALU_DEP_2) | instskip(NEXT) | instid1(VALU_DEP_2)
	v_cndmask_b32_e64 v2, v5, v2, s2
	v_mov_b32_e32 v3, v9
	s_delay_alu instid0(VALU_DEP_1) | instskip(NEXT) | instid1(VALU_DEP_1)
	v_mad_u64_u32 v[9:10], null, 0x4e441529, v12, v[3:4]
	v_mov_b32_e32 v3, v10
	s_delay_alu instid0(VALU_DEP_1) | instskip(SKIP_1) | instid1(VALU_DEP_1)
	v_mad_u64_u32 v[10:11], null, 0xa2f9836e, v12, v[3:4]
	v_cndmask_b32_e64 v3, 0, 0xffffffe0, s3
	v_dual_cndmask_b32 v4, v9, v7 :: v_dual_add_nc_u32 v3, v3, v13
	s_delay_alu instid0(VALU_DEP_3) | instskip(NEXT) | instid1(VALU_DEP_4)
	v_cndmask_b32_e32 v10, v10, v8, vcc_lo
	v_dual_cndmask_b32 v8, v8, v6 :: v_dual_cndmask_b32 v9, v11, v9
	s_delay_alu instid0(VALU_DEP_3) | instskip(NEXT) | instid1(VALU_DEP_3)
	v_cmp_eq_u32_e64 s4, 0, v3
	v_cndmask_b32_e64 v7, v10, v4, s2
	s_delay_alu instid0(VALU_DEP_3) | instskip(NEXT) | instid1(VALU_DEP_4)
	v_cndmask_b32_e64 v4, v4, v8, s2
	v_cndmask_b32_e64 v9, v9, v10, s2
	v_sub_nc_u32_e32 v10, 32, v3
	v_cndmask_b32_e64 v8, v8, v5, s2
	s_delay_alu instid0(VALU_DEP_3) | instskip(SKIP_1) | instid1(VALU_DEP_3)
	v_cndmask_b32_e64 v9, v9, v7, s3
	v_cndmask_b32_e64 v7, v7, v4, s3
	v_cndmask_b32_e64 v4, v4, v8, s3
	v_cndmask_b32_e64 v2, v8, v2, s3
	s_delay_alu instid0(VALU_DEP_3) | instskip(NEXT) | instid1(VALU_DEP_3)
	v_alignbit_b32 v11, v9, v7, v10
	v_alignbit_b32 v12, v7, v4, v10
	s_delay_alu instid0(VALU_DEP_3) | instskip(NEXT) | instid1(VALU_DEP_3)
	v_alignbit_b32 v10, v4, v2, v10
	v_cndmask_b32_e64 v3, v11, v9, s4
	s_delay_alu instid0(VALU_DEP_3) | instskip(NEXT) | instid1(VALU_DEP_3)
	v_cndmask_b32_e64 v6, v12, v7, s4
	v_cndmask_b32_e64 v4, v10, v4, s4
	s_delay_alu instid0(VALU_DEP_3) | instskip(NEXT) | instid1(VALU_DEP_3)
	v_bfe_u32 v7, v3, 29, 1
	v_alignbit_b32 v5, v3, v6, 30
	s_delay_alu instid0(VALU_DEP_3) | instskip(SKIP_1) | instid1(VALU_DEP_4)
	v_alignbit_b32 v6, v6, v4, 30
	v_alignbit_b32 v2, v4, v2, 30
	v_sub_nc_u32_e32 v9, 0, v7
	s_delay_alu instid0(VALU_DEP_1) | instskip(SKIP_3) | instid1(VALU_DEP_4)
	v_xor_b32_e32 v8, v5, v9
	v_cmp_ne_u32_e32 vcc_lo, v5, v9
	v_xor_b32_e32 v4, v6, v9
	v_xor_b32_e32 v2, v2, v9
	v_clz_i32_u32_e32 v11, v8
	s_delay_alu instid0(VALU_DEP_1) | instskip(NEXT) | instid1(VALU_DEP_1)
	v_add_nc_u32_e32 v10, 1, v11
	v_cndmask_b32_e32 v5, 33, v10, vcc_lo
	s_delay_alu instid0(VALU_DEP_1) | instskip(NEXT) | instid1(VALU_DEP_1)
	v_sub_nc_u32_e32 v6, 32, v5
	v_alignbit_b32 v8, v8, v4, v6
	v_alignbit_b32 v2, v4, v2, v6
	v_lshrrev_b32_e32 v4, 29, v3
	v_lshrrev_b32_e32 v3, 30, v3
	s_delay_alu instid0(VALU_DEP_3) | instskip(NEXT) | instid1(VALU_DEP_3)
	v_alignbit_b32 v6, v8, v2, 9
	v_lshlrev_b32_e32 v4, 31, v4
	v_alignbit_b32 v8, v5, v8, 9
	s_delay_alu instid0(VALU_DEP_4) | instskip(NEXT) | instid1(VALU_DEP_4)
	v_add_nc_u32_e32 v3, v7, v3
	v_clz_i32_u32_e32 v9, v6
	s_delay_alu instid0(VALU_DEP_3) | instskip(SKIP_1) | instid1(VALU_DEP_3)
	v_or_b32_e32 v8, v8, v4
	v_or_b32_e32 v4, 0x33800000, v4
	v_min_u32_e32 v9, 32, v9
	s_delay_alu instid0(VALU_DEP_3) | instskip(NEXT) | instid1(VALU_DEP_2)
	v_xor_b32_e32 v8, 1.0, v8
	v_sub_nc_u32_e32 v10, 31, v9
	v_add_lshl_u32 v5, v9, v5, 23
	s_delay_alu instid0(VALU_DEP_3) | instskip(NEXT) | instid1(VALU_DEP_3)
	v_mul_f32_e32 v9, 0x3fc90fda, v8
	v_alignbit_b32 v2, v6, v2, v10
	s_delay_alu instid0(VALU_DEP_3) | instskip(NEXT) | instid1(VALU_DEP_3)
	v_sub_nc_u32_e32 v4, v4, v5
	v_fma_f32 v5, 0x3fc90fda, v8, -v9
	s_delay_alu instid0(VALU_DEP_3) | instskip(NEXT) | instid1(VALU_DEP_2)
	v_lshrrev_b32_e32 v2, 9, v2
	v_fmamk_f32 v5, v8, 0x33a22168, v5
	s_delay_alu instid0(VALU_DEP_2) | instskip(NEXT) | instid1(VALU_DEP_1)
	v_or_b32_e32 v2, v4, v2
	v_fmac_f32_e32 v5, 0x3fc90fda, v2
	s_delay_alu instid0(VALU_DEP_1)
	v_add_f32_e32 v2, v9, v5
	s_and_not1_saveexec_b32 s2, s7
	s_branch .LBB23_35
.LBB23_33:
	s_mov_b32 s2, 0
                                        ; implicit-def: $vgpr41
	s_cbranch_execnz .LBB23_194
	s_branch .LBB23_228
.LBB23_34:
	s_and_not1_saveexec_b32 s2, s7
.LBB23_35:
	v_mul_f32_e64 v2, 0x3f22f983, |v0|
	s_delay_alu instid0(VALU_DEP_1) | instskip(NEXT) | instid1(VALU_DEP_1)
	v_rndne_f32_e32 v3, v2
	v_fma_f32 v2, 0xbfc90fda, v3, |v0|
	s_delay_alu instid0(VALU_DEP_1) | instskip(NEXT) | instid1(VALU_DEP_1)
	v_fmamk_f32 v2, v3, 0xb3a22168, v2
	v_fmamk_f32 v2, v3, 0xa7c234c4, v2
	v_cvt_i32_f32_e32 v3, v3
; %bb.36:
	s_or_b32 exec_lo, exec_lo, s2
                                        ; implicit-def: $vgpr5
                                        ; implicit-def: $vgpr4
	s_and_saveexec_b32 s2, s6
	s_delay_alu instid0(SALU_CYCLE_1)
	s_xor_b32 s6, exec_lo, s2
	s_cbranch_execz .LBB23_38
; %bb.37:
	s_mov_b32 s2, 0x7fffff
	v_mov_b32_e32 v6, 0
	v_and_or_b32 v14, v1, s2, 0x800000
	v_lshrrev_b32_e32 v11, 23, v1
	s_delay_alu instid0(VALU_DEP_2) | instskip(NEXT) | instid1(VALU_DEP_2)
	v_mad_u64_u32 v[4:5], null, 0xfe5163ab, v14, 0
	v_add_nc_u32_e32 v12, 0xffffff88, v11
	s_delay_alu instid0(VALU_DEP_1) | instskip(NEXT) | instid1(VALU_DEP_3)
	v_cmp_lt_u32_e32 vcc_lo, 63, v12
	v_mad_u64_u32 v[7:8], null, 0x3c439041, v14, v[5:6]
	v_cndmask_b32_e64 v13, 0, 0xffffffc0, vcc_lo
	s_delay_alu instid0(VALU_DEP_2) | instskip(NEXT) | instid1(VALU_DEP_2)
	v_mov_b32_e32 v5, v8
	v_add_nc_u32_e32 v13, v13, v12
	s_delay_alu instid0(VALU_DEP_2) | instskip(NEXT) | instid1(VALU_DEP_2)
	v_mad_u64_u32 v[8:9], null, 0xdb629599, v14, v[5:6]
	v_cmp_lt_u32_e64 s2, 31, v13
	s_delay_alu instid0(VALU_DEP_1) | instskip(NEXT) | instid1(VALU_DEP_3)
	v_cndmask_b32_e64 v15, 0, 0xffffffe0, s2
	v_dual_mov_b32 v5, v9 :: v_dual_cndmask_b32 v4, v8, v4
	s_delay_alu instid0(VALU_DEP_2) | instskip(NEXT) | instid1(VALU_DEP_2)
	v_add_nc_u32_e32 v15, v15, v13
	v_mad_u64_u32 v[9:10], null, 0xf534ddc0, v14, v[5:6]
	s_delay_alu instid0(VALU_DEP_2) | instskip(NEXT) | instid1(VALU_DEP_2)
	v_cmp_lt_u32_e64 s3, 31, v15
	v_mov_b32_e32 v5, v10
	s_delay_alu instid0(VALU_DEP_3) | instskip(NEXT) | instid1(VALU_DEP_2)
	v_cndmask_b32_e32 v7, v9, v7, vcc_lo
	v_mad_u64_u32 v[10:11], null, 0xfc2757d1, v14, v[5:6]
	s_delay_alu instid0(VALU_DEP_2) | instskip(NEXT) | instid1(VALU_DEP_2)
	v_cndmask_b32_e64 v4, v7, v4, s2
	v_mov_b32_e32 v5, v11
	s_delay_alu instid0(VALU_DEP_1) | instskip(NEXT) | instid1(VALU_DEP_1)
	v_mad_u64_u32 v[11:12], null, 0x4e441529, v14, v[5:6]
	v_mov_b32_e32 v5, v12
	s_delay_alu instid0(VALU_DEP_1) | instskip(SKIP_1) | instid1(VALU_DEP_1)
	v_mad_u64_u32 v[12:13], null, 0xa2f9836e, v14, v[5:6]
	v_cndmask_b32_e64 v5, 0, 0xffffffe0, s3
	v_dual_cndmask_b32 v6, v11, v9 :: v_dual_add_nc_u32 v5, v5, v15
	s_delay_alu instid0(VALU_DEP_3) | instskip(NEXT) | instid1(VALU_DEP_4)
	v_cndmask_b32_e32 v12, v12, v10, vcc_lo
	v_dual_cndmask_b32 v10, v10, v8 :: v_dual_cndmask_b32 v11, v13, v11
	s_delay_alu instid0(VALU_DEP_3) | instskip(NEXT) | instid1(VALU_DEP_3)
	v_cmp_eq_u32_e64 s4, 0, v5
	v_cndmask_b32_e64 v9, v12, v6, s2
	s_delay_alu instid0(VALU_DEP_3) | instskip(NEXT) | instid1(VALU_DEP_4)
	v_cndmask_b32_e64 v6, v6, v10, s2
	v_cndmask_b32_e64 v11, v11, v12, s2
	v_sub_nc_u32_e32 v12, 32, v5
	v_cndmask_b32_e64 v10, v10, v7, s2
	s_delay_alu instid0(VALU_DEP_3) | instskip(SKIP_1) | instid1(VALU_DEP_3)
	v_cndmask_b32_e64 v11, v11, v9, s3
	v_cndmask_b32_e64 v9, v9, v6, s3
	;; [unrolled: 1-line block ×4, first 2 shown]
	s_delay_alu instid0(VALU_DEP_3) | instskip(NEXT) | instid1(VALU_DEP_3)
	v_alignbit_b32 v13, v11, v9, v12
	v_alignbit_b32 v14, v9, v6, v12
	s_delay_alu instid0(VALU_DEP_3) | instskip(NEXT) | instid1(VALU_DEP_3)
	v_alignbit_b32 v12, v6, v4, v12
	v_cndmask_b32_e64 v5, v13, v11, s4
	s_delay_alu instid0(VALU_DEP_3) | instskip(NEXT) | instid1(VALU_DEP_3)
	v_cndmask_b32_e64 v8, v14, v9, s4
	v_cndmask_b32_e64 v6, v12, v6, s4
	s_delay_alu instid0(VALU_DEP_3) | instskip(NEXT) | instid1(VALU_DEP_3)
	v_bfe_u32 v9, v5, 29, 1
	v_alignbit_b32 v7, v5, v8, 30
	s_delay_alu instid0(VALU_DEP_3) | instskip(SKIP_1) | instid1(VALU_DEP_4)
	v_alignbit_b32 v8, v8, v6, 30
	v_alignbit_b32 v4, v6, v4, 30
	v_sub_nc_u32_e32 v11, 0, v9
	s_delay_alu instid0(VALU_DEP_1) | instskip(SKIP_3) | instid1(VALU_DEP_4)
	v_xor_b32_e32 v10, v7, v11
	v_cmp_ne_u32_e32 vcc_lo, v7, v11
	v_xor_b32_e32 v6, v8, v11
	v_xor_b32_e32 v4, v4, v11
	v_clz_i32_u32_e32 v13, v10
	s_delay_alu instid0(VALU_DEP_1) | instskip(NEXT) | instid1(VALU_DEP_1)
	v_add_nc_u32_e32 v12, 1, v13
	v_cndmask_b32_e32 v7, 33, v12, vcc_lo
	s_delay_alu instid0(VALU_DEP_1) | instskip(NEXT) | instid1(VALU_DEP_1)
	v_sub_nc_u32_e32 v8, 32, v7
	v_alignbit_b32 v10, v10, v6, v8
	v_alignbit_b32 v4, v6, v4, v8
	v_lshrrev_b32_e32 v6, 29, v5
	v_lshrrev_b32_e32 v5, 30, v5
	s_delay_alu instid0(VALU_DEP_3) | instskip(NEXT) | instid1(VALU_DEP_3)
	v_alignbit_b32 v8, v10, v4, 9
	v_lshlrev_b32_e32 v6, 31, v6
	v_alignbit_b32 v10, v7, v10, 9
	s_delay_alu instid0(VALU_DEP_4) | instskip(NEXT) | instid1(VALU_DEP_4)
	v_add_nc_u32_e32 v5, v9, v5
	v_clz_i32_u32_e32 v11, v8
	s_delay_alu instid0(VALU_DEP_3) | instskip(SKIP_1) | instid1(VALU_DEP_3)
	v_or_b32_e32 v10, v10, v6
	v_or_b32_e32 v6, 0x33800000, v6
	v_min_u32_e32 v11, 32, v11
	s_delay_alu instid0(VALU_DEP_3) | instskip(NEXT) | instid1(VALU_DEP_2)
	v_xor_b32_e32 v10, 1.0, v10
	v_sub_nc_u32_e32 v12, 31, v11
	v_add_lshl_u32 v7, v11, v7, 23
	s_delay_alu instid0(VALU_DEP_3) | instskip(NEXT) | instid1(VALU_DEP_3)
	v_mul_f32_e32 v11, 0x3fc90fda, v10
	v_alignbit_b32 v4, v8, v4, v12
	s_delay_alu instid0(VALU_DEP_3) | instskip(NEXT) | instid1(VALU_DEP_3)
	v_sub_nc_u32_e32 v6, v6, v7
	v_fma_f32 v7, 0x3fc90fda, v10, -v11
	s_delay_alu instid0(VALU_DEP_3) | instskip(NEXT) | instid1(VALU_DEP_2)
	v_lshrrev_b32_e32 v4, 9, v4
	v_fmamk_f32 v7, v10, 0x33a22168, v7
	s_delay_alu instid0(VALU_DEP_2) | instskip(NEXT) | instid1(VALU_DEP_1)
	v_or_b32_e32 v4, v6, v4
	v_fmac_f32_e32 v7, 0x3fc90fda, v4
	s_delay_alu instid0(VALU_DEP_1)
	v_add_f32_e32 v4, v11, v7
	s_and_not1_saveexec_b32 s2, s6
	s_cbranch_execnz .LBB23_39
	s_branch .LBB23_40
.LBB23_38:
	s_and_not1_saveexec_b32 s2, s6
.LBB23_39:
	v_mul_f32_e64 v4, 0x3f22f983, |v0|
	s_delay_alu instid0(VALU_DEP_1) | instskip(NEXT) | instid1(VALU_DEP_1)
	v_rndne_f32_e32 v5, v4
	v_fma_f32 v4, 0xbfc90fda, v5, |v0|
	s_delay_alu instid0(VALU_DEP_1) | instskip(NEXT) | instid1(VALU_DEP_1)
	v_fmamk_f32 v4, v5, 0xb3a22168, v4
	v_fmamk_f32 v4, v5, 0xa7c234c4, v4
	v_cvt_i32_f32_e32 v5, v5
.LBB23_40:
	s_or_b32 exec_lo, exec_lo, s2
	v_div_scale_f32 v6, null, v41, v41, 0x40a00000
	v_div_scale_f32 v9, vcc_lo, 0x40a00000, v41, 0x40a00000
	s_mov_b32 s2, 0xb94c1982
	s_delay_alu instid0(VALU_DEP_2)
	v_rcp_f32_e32 v7, v6
	s_mov_b32 s3, 0x37d75334
	v_xor_b32_e32 v1, v1, v0
	v_and_b32_e32 v11, 1, v5
	s_waitcnt_depctr 0xfff
	v_fma_f32 v8, -v6, v7, 1.0
	s_delay_alu instid0(VALU_DEP_1) | instskip(NEXT) | instid1(VALU_DEP_1)
	v_fmac_f32_e32 v7, v8, v7
	v_mul_f32_e32 v8, v9, v7
	s_delay_alu instid0(VALU_DEP_1) | instskip(NEXT) | instid1(VALU_DEP_1)
	v_fma_f32 v10, -v6, v8, v9
	v_fmac_f32_e32 v8, v10, v7
	v_mul_f32_e32 v10, v4, v4
	s_delay_alu instid0(VALU_DEP_2) | instskip(NEXT) | instid1(VALU_DEP_2)
	v_fma_f32 v6, -v6, v8, v9
	v_fmaak_f32 v19, s2, v10, 0x3c0881c4
	v_fmaak_f32 v20, s3, v10, 0xbab64f3b
	s_delay_alu instid0(VALU_DEP_3) | instskip(SKIP_1) | instid1(VALU_DEP_4)
	v_div_fmas_f32 v6, v6, v7, v8
	v_mul_f32_e32 v7, v2, v2
	v_fmaak_f32 v19, v10, v19, 0xbe2aaa9d
	s_delay_alu instid0(VALU_DEP_4) | instskip(NEXT) | instid1(VALU_DEP_4)
	v_fmaak_f32 v20, v10, v20, 0x3d2aabf7
	v_div_fixup_f32 v6, v6, v41, 0x40a00000
	v_and_b32_e32 v8, 1, v3
	v_lshlrev_b32_e32 v3, 30, v3
	v_fmaak_f32 v17, s2, v7, 0x3c0881c4
	s_delay_alu instid0(VALU_DEP_4) | instskip(SKIP_2) | instid1(VALU_DEP_4)
	v_dual_fmaak_f32 v18, s3, v7, 0xbab64f3b :: v_dual_mul_f32 v9, v6, v6
	v_cmp_gt_f32_e64 s2, 0xf800000, v41
	v_cmp_eq_u32_e64 s4, 0, v8
	v_fmaak_f32 v17, v7, v17, 0xbe2aaa9d
	s_delay_alu instid0(VALU_DEP_4) | instskip(SKIP_2) | instid1(VALU_DEP_4)
	v_fmaak_f32 v18, v7, v18, 0x3d2aabf7
	v_fmaak_f32 v13, 0, v9, 0x3a15c4d9
	v_dual_fmaak_f32 v14, 0, v9, 0x3a47c962 :: v_dual_mul_f32 v19, v10, v19
	v_mul_f32_e32 v17, v7, v17
	v_fmaak_f32 v12, 0, v9, 0x3d513fd3
	s_delay_alu instid0(VALU_DEP_4) | instskip(NEXT) | instid1(VALU_DEP_4)
	v_fmaak_f32 v13, v9, v13, 0x3d8cfeeb
	v_dual_fmaak_f32 v14, v9, v14, 0x3d95ca45 :: v_dual_lshlrev_b32 v5, 30, v5
	v_dual_fmaak_f32 v15, 0, v9, 0x42947983 :: v_dual_fmac_f32 v4, v4, v19
	s_delay_alu instid0(VALU_DEP_3) | instskip(NEXT) | instid1(VALU_DEP_3)
	v_fmaak_f32 v13, v9, v13, 0x3f8d754e
	v_fmaak_f32 v14, v9, v14, 0x3f9047f6
	;; [unrolled: 1-line block ×3, first 2 shown]
	s_delay_alu instid0(VALU_DEP_4) | instskip(NEXT) | instid1(VALU_DEP_4)
	v_dual_fmaak_f32 v15, v9, v15, 0x44840e5d :: v_dual_fmac_f32 v2, v2, v17
	v_fmaak_f32 v13, v9, v13, 0x40a25d18
	s_delay_alu instid0(VALU_DEP_4) | instskip(SKIP_1) | instid1(VALU_DEP_4)
	v_fmaak_f32 v14, v9, v14, 0x40a39628
	v_fmaak_f32 v18, v7, v18, 0xbf000004
	;; [unrolled: 1-line block ×6, first 2 shown]
	v_fma_f32 v7, v7, v18, 1.0
	v_fmaak_f32 v15, v9, v15, 0x46156947
	v_fma_f32 v10, v10, v20, 1.0
	v_fmaak_f32 v13, v9, v13, 0x40a6b6ea
	v_fmaak_f32 v14, v9, v14, 0x40a6dd51
	v_cndmask_b32_e64 v2, v7, v2, s4
	v_fmaak_f32 v15, v9, v15, 0x45f9e855
	v_cmp_eq_u32_e64 s4, 0, v11
	v_fma_f32 v13, v9, v13, 1.0
	v_fma_f32 v14, v9, v14, 1.0
	v_and_b32_e32 v3, 0x80000000, v3
	v_fmaak_f32 v15, v9, v15, 0x4530a316
	v_cndmask_b32_e64 v4, -v4, v10, s4
	v_and_b32_e32 v5, 0x80000000, v5
	v_div_scale_f32 v27, vcc_lo, v14, v13, v14
	v_fmaak_f32 v12, v9, v12, 0x4297a5cd
	v_fmaak_f32 v15, v9, v15, 0x43a80bfb
	v_xor3_b32 v1, v1, v3, v2
	v_xor_b32_e32 v4, v5, v4
	s_delay_alu instid0(VALU_DEP_4) | instskip(NEXT) | instid1(VALU_DEP_1)
	v_fmaak_f32 v12, v9, v12, 0x43b763ca
	v_fmaak_f32 v12, v9, v12, 0x4431b6ce
	s_delay_alu instid0(VALU_DEP_1) | instskip(NEXT) | instid1(VALU_DEP_1)
	v_fmaak_f32 v12, v9, v12, 0x44155f56
	v_fmaak_f32 v12, v9, v12, 0x4353b052
	s_delay_alu instid0(VALU_DEP_1) | instskip(SKIP_1) | instid1(VALU_DEP_2)
	v_fmaak_f32 v9, v9, v12, 0x41c9a7fa
	v_div_scale_f32 v12, null, v13, v13, v14
	v_div_scale_f32 v21, null, v15, v15, v9
	s_delay_alu instid0(VALU_DEP_2) | instskip(NEXT) | instid1(VALU_DEP_1)
	v_rcp_f32_e32 v22, v12
	v_rcp_f32_e32 v23, v21
	s_waitcnt_depctr 0xfff
	v_fma_f32 v25, -v12, v22, 1.0
	v_fma_f32 v26, -v21, v23, 1.0
	v_mul_f32_e32 v16, 0x4f800000, v41
	s_delay_alu instid0(VALU_DEP_3) | instskip(SKIP_1) | instid1(VALU_DEP_4)
	v_fmac_f32_e32 v22, v25, v22
	v_div_scale_f32 v25, s3, v9, v15, v9
	v_fmac_f32_e32 v23, v26, v23
	s_delay_alu instid0(VALU_DEP_4) | instskip(NEXT) | instid1(VALU_DEP_2)
	v_cndmask_b32_e64 v16, v41, v16, s2
	v_dual_mul_f32 v17, v27, v22 :: v_dual_mul_f32 v18, v25, v23
	s_delay_alu instid0(VALU_DEP_2) | instskip(NEXT) | instid1(VALU_DEP_1)
	v_sqrt_f32_e32 v24, v16
	v_fma_f32 v20, -v12, v17, v27
	s_delay_alu instid0(VALU_DEP_2) | instskip(NEXT) | instid1(VALU_DEP_2)
	v_fma_f32 v28, -v21, v18, v25
	v_fmac_f32_e32 v17, v20, v22
	s_waitcnt_depctr 0xfff
	v_dual_fmac_f32 v18, v28, v23 :: v_dual_add_nc_u32 v19, -1, v24
	v_fma_f32 v10, -v12, v17, v27
	v_add_nc_u32_e32 v26, 1, v24
	s_delay_alu instid0(VALU_DEP_3) | instskip(NEXT) | instid1(VALU_DEP_4)
	v_fma_f32 v2, -v21, v18, v25
	v_fma_f32 v7, -v19, v24, v16
	s_delay_alu instid0(VALU_DEP_4)
	v_div_fmas_f32 v3, v10, v22, v17
	s_mov_b32 vcc_lo, s3
	v_fma_f32 v8, -v26, v24, v16
	v_div_fmas_f32 v2, v2, v23, v18
	v_cmp_ge_f32_e32 vcc_lo, 0, v7
	v_div_fixup_f32 v3, v3, v13, v14
	s_delay_alu instid0(VALU_DEP_4) | instskip(SKIP_3) | instid1(VALU_DEP_3)
	v_cmp_lt_f32_e64 s3, 0, v8
	v_cndmask_b32_e32 v5, v24, v19, vcc_lo
	v_cmp_class_f32_e64 vcc_lo, v0, 0x1f8
	v_div_fixup_f32 v0, v2, v15, v9
	v_cndmask_b32_e64 v2, v5, v26, s3
	v_cndmask_b32_e32 v4, 0x7fc00000, v4, vcc_lo
	s_delay_alu instid0(VALU_DEP_3) | instskip(SKIP_1) | instid1(VALU_DEP_2)
	v_dual_mul_f32 v0, v6, v0 :: v_dual_cndmask_b32 v1, 0x7fc00000, v1
	v_cmp_class_f32_e64 vcc_lo, v16, 0x260
	v_dual_mul_f32 v5, 0x37800000, v2 :: v_dual_mul_f32 v0, v0, v4
	s_delay_alu instid0(VALU_DEP_1) | instskip(NEXT) | instid1(VALU_DEP_1)
	v_cndmask_b32_e64 v2, v2, v5, s2
	v_dual_fmac_f32 v0, v3, v1 :: v_dual_cndmask_b32 v1, v2, v16
	s_delay_alu instid0(VALU_DEP_1) | instskip(NEXT) | instid1(VALU_DEP_1)
	v_mul_f32_e32 v0, 0x3f4c422a, v0
	v_div_scale_f32 v2, null, v1, v1, v0
	s_delay_alu instid0(VALU_DEP_1) | instskip(SKIP_2) | instid1(VALU_DEP_1)
	v_rcp_f32_e32 v3, v2
	s_waitcnt_depctr 0xfff
	v_fma_f32 v4, -v2, v3, 1.0
	v_fmac_f32_e32 v3, v4, v3
	v_div_scale_f32 v4, vcc_lo, v0, v1, v0
	s_delay_alu instid0(VALU_DEP_1) | instskip(NEXT) | instid1(VALU_DEP_1)
	v_mul_f32_e32 v5, v4, v3
	v_fma_f32 v6, -v2, v5, v4
	s_delay_alu instid0(VALU_DEP_1) | instskip(NEXT) | instid1(VALU_DEP_1)
	v_fmac_f32_e32 v5, v6, v3
	v_fma_f32 v2, -v2, v5, v4
	s_delay_alu instid0(VALU_DEP_1) | instskip(NEXT) | instid1(VALU_DEP_1)
	v_div_fmas_f32 v2, v2, v3, v5
	v_div_fixup_f32 v0, v2, v1, v0
.LBB23_41:
	s_or_b32 exec_lo, exec_lo, s5
	v_and_b32_e32 v4, 0xff, v43
	v_add_co_u32 v2, s3, s36, v42
	s_delay_alu instid0(VALU_DEP_1) | instskip(NEXT) | instid1(VALU_DEP_3)
	v_add_co_ci_u32_e64 v3, null, s37, 0, s3
	v_cmp_gt_i16_e32 vcc_lo, 11, v4
	s_mov_b32 s2, 0
	s_mov_b32 s4, -1
	s_mov_b32 s3, 0
	s_cbranch_vccnz .LBB23_118
; %bb.42:
	v_cmp_lt_i16_e32 vcc_lo, 25, v4
	s_cbranch_vccz .LBB23_75
; %bb.43:
	v_cmp_lt_i16_e32 vcc_lo, 28, v4
	s_cbranch_vccz .LBB23_58
	;; [unrolled: 3-line block ×4, first 2 shown]
; %bb.46:
	v_cmp_eq_u16_e32 vcc_lo, 46, v4
	s_mov_b32 s4, 0
	s_mov_b32 s2, -1
	s_cbranch_vccz .LBB23_48
; %bb.47:
	v_bfe_u32 v1, v0, 16, 1
	v_cmp_o_f32_e32 vcc_lo, v0, v0
	s_mov_b32 s3, -1
	s_mov_b32 s2, 0
	s_delay_alu instid0(VALU_DEP_2) | instskip(NEXT) | instid1(VALU_DEP_1)
	v_add3_u32 v1, v0, v1, 0x7fff
	v_lshrrev_b32_e32 v1, 16, v1
	s_delay_alu instid0(VALU_DEP_1)
	v_cndmask_b32_e32 v1, 0x7fc0, v1, vcc_lo
	global_store_b32 v[2:3], v1, off
.LBB23_48:
	s_and_b32 vcc_lo, exec_lo, s4
	s_cbranch_vccz .LBB23_53
; %bb.49:
	v_cmp_eq_u16_e32 vcc_lo, 44, v4
	s_mov_b32 s2, -1
	s_cbranch_vccz .LBB23_53
; %bb.50:
	v_bfe_u32 v5, v0, 23, 8
	v_mov_b32_e32 v1, 0xff
	s_mov_b32 s3, exec_lo
	s_delay_alu instid0(VALU_DEP_2)
	v_cmpx_ne_u32_e32 0xff, v5
; %bb.51:
	v_and_b32_e32 v1, 0x400000, v0
	v_and_or_b32 v5, 0x3fffff, v0, v5
	s_delay_alu instid0(VALU_DEP_2) | instskip(NEXT) | instid1(VALU_DEP_2)
	v_cmp_ne_u32_e32 vcc_lo, 0, v1
	v_cmp_ne_u32_e64 s2, 0, v5
	v_lshrrev_b32_e32 v1, 23, v0
	s_delay_alu instid0(VALU_DEP_2) | instskip(NEXT) | instid1(SALU_CYCLE_1)
	s_and_b32 s2, vcc_lo, s2
	v_cndmask_b32_e64 v5, 0, 1, s2
	s_delay_alu instid0(VALU_DEP_1)
	v_add_nc_u32_e32 v1, v1, v5
; %bb.52:
	s_or_b32 exec_lo, exec_lo, s3
	s_mov_b32 s3, -1
	s_mov_b32 s2, 0
	global_store_b8 v[2:3], v1, off
.LBB23_53:
	s_mov_b32 s4, 0
.LBB23_54:
	s_delay_alu instid0(SALU_CYCLE_1)
	s_and_b32 vcc_lo, exec_lo, s4
	s_cbranch_vccz .LBB23_57
; %bb.55:
	v_cmp_eq_u16_e32 vcc_lo, 29, v4
	s_mov_b32 s2, -1
	s_cbranch_vccz .LBB23_57
; %bb.56:
	v_trunc_f32_e32 v1, v0
	s_mov_b32 s3, -1
	s_mov_b32 s2, 0
	s_delay_alu instid0(VALU_DEP_1) | instskip(NEXT) | instid1(VALU_DEP_1)
	v_mul_f32_e32 v5, 0x2f800000, v1
	v_floor_f32_e32 v5, v5
	s_delay_alu instid0(VALU_DEP_1) | instskip(SKIP_1) | instid1(VALU_DEP_2)
	v_fmamk_f32 v1, v5, 0xcf800000, v1
	v_cvt_u32_f32_e32 v6, v5
	v_cvt_u32_f32_e32 v5, v1
	global_store_b64 v[2:3], v[5:6], off
.LBB23_57:
	s_mov_b32 s4, 0
.LBB23_58:
	s_delay_alu instid0(SALU_CYCLE_1)
	s_and_b32 vcc_lo, exec_lo, s4
	s_cbranch_vccz .LBB23_74
; %bb.59:
	v_cmp_gt_i16_e32 vcc_lo, 27, v4
	s_mov_b32 s3, -1
	s_cbranch_vccnz .LBB23_65
; %bb.60:
	v_cmp_lt_i16_e32 vcc_lo, 27, v4
	s_cbranch_vccz .LBB23_62
; %bb.61:
	v_cvt_u32_f32_e32 v1, v0
	s_mov_b32 s3, 0
	global_store_b32 v[2:3], v1, off
.LBB23_62:
	s_and_not1_b32 vcc_lo, exec_lo, s3
	s_cbranch_vccnz .LBB23_64
; %bb.63:
	v_cvt_u32_f32_e32 v1, v0
	global_store_b16 v[2:3], v1, off
.LBB23_64:
	s_mov_b32 s3, 0
.LBB23_65:
	s_delay_alu instid0(SALU_CYCLE_1)
	s_and_not1_b32 vcc_lo, exec_lo, s3
	s_cbranch_vccnz .LBB23_73
; %bb.66:
	v_and_b32_e32 v1, 0x7fffffff, v0
	v_mov_b32_e32 v5, 0x80
	s_mov_b32 s3, exec_lo
	s_delay_alu instid0(VALU_DEP_2)
	v_cmpx_gt_u32_e32 0x43800000, v1
	s_cbranch_execz .LBB23_72
; %bb.67:
	v_cmp_lt_u32_e32 vcc_lo, 0x3bffffff, v1
	s_mov_b32 s4, 0
                                        ; implicit-def: $vgpr1
	s_and_saveexec_b32 s5, vcc_lo
	s_delay_alu instid0(SALU_CYCLE_1)
	s_xor_b32 s5, exec_lo, s5
	s_cbranch_execz .LBB23_166
; %bb.68:
	v_bfe_u32 v1, v0, 20, 1
	s_mov_b32 s4, exec_lo
	s_delay_alu instid0(VALU_DEP_1) | instskip(NEXT) | instid1(VALU_DEP_1)
	v_add3_u32 v1, v0, v1, 0x487ffff
	v_lshrrev_b32_e32 v1, 20, v1
	s_or_saveexec_b32 s5, s5
                                        ; implicit-def: $sgpr6
	s_delay_alu instid0(SALU_CYCLE_1)
	s_xor_b32 exec_lo, exec_lo, s5
	s_cbranch_execnz .LBB23_167
.LBB23_69:
	s_or_b32 exec_lo, exec_lo, s5
	v_mov_b32_e32 v5, s6
	s_and_saveexec_b32 s5, s4
.LBB23_70:
	v_lshrrev_b32_e32 v5, 24, v0
	s_delay_alu instid0(VALU_DEP_1)
	v_and_or_b32 v5, 0x80, v5, v1
.LBB23_71:
	s_or_b32 exec_lo, exec_lo, s5
.LBB23_72:
	s_delay_alu instid0(SALU_CYCLE_1)
	s_or_b32 exec_lo, exec_lo, s3
	global_store_b8 v[2:3], v5, off
.LBB23_73:
	s_mov_b32 s3, -1
.LBB23_74:
	s_mov_b32 s4, 0
.LBB23_75:
	s_delay_alu instid0(SALU_CYCLE_1)
	s_and_b32 vcc_lo, exec_lo, s4
	s_cbranch_vccz .LBB23_116
; %bb.76:
	v_cmp_lt_i16_e32 vcc_lo, 22, v4
	s_mov_b32 s4, -1
	s_cbranch_vccz .LBB23_108
; %bb.77:
	v_cmp_gt_i16_e32 vcc_lo, 24, v4
	s_mov_b32 s3, -1
	s_cbranch_vccnz .LBB23_97
; %bb.78:
	v_cmp_lt_i16_e32 vcc_lo, 24, v4
	s_cbranch_vccz .LBB23_86
; %bb.79:
	v_and_b32_e32 v1, 0x7fffffff, v0
	v_mov_b32_e32 v5, 0x80
	s_mov_b32 s3, exec_lo
	s_delay_alu instid0(VALU_DEP_2)
	v_cmpx_gt_u32_e32 0x47800000, v1
	s_cbranch_execz .LBB23_85
; %bb.80:
	v_cmp_lt_u32_e32 vcc_lo, 0x37ffffff, v1
	s_mov_b32 s4, 0
                                        ; implicit-def: $vgpr1
	s_and_saveexec_b32 s5, vcc_lo
	s_delay_alu instid0(SALU_CYCLE_1)
	s_xor_b32 s5, exec_lo, s5
	s_cbranch_execz .LBB23_373
; %bb.81:
	v_bfe_u32 v1, v0, 21, 1
	s_mov_b32 s4, exec_lo
	s_delay_alu instid0(VALU_DEP_1) | instskip(NEXT) | instid1(VALU_DEP_1)
	v_add3_u32 v1, v0, v1, 0x88fffff
	v_lshrrev_b32_e32 v1, 21, v1
	s_or_saveexec_b32 s5, s5
                                        ; implicit-def: $sgpr6
	s_delay_alu instid0(SALU_CYCLE_1)
	s_xor_b32 exec_lo, exec_lo, s5
	s_cbranch_execnz .LBB23_374
.LBB23_82:
	s_or_b32 exec_lo, exec_lo, s5
	v_mov_b32_e32 v5, s6
	s_and_saveexec_b32 s5, s4
.LBB23_83:
	v_lshrrev_b32_e32 v5, 24, v0
	s_delay_alu instid0(VALU_DEP_1)
	v_and_or_b32 v5, 0x80, v5, v1
.LBB23_84:
	s_or_b32 exec_lo, exec_lo, s5
.LBB23_85:
	s_delay_alu instid0(SALU_CYCLE_1)
	s_or_b32 exec_lo, exec_lo, s3
	s_mov_b32 s3, 0
	global_store_b8 v[2:3], v5, off
.LBB23_86:
	s_and_b32 vcc_lo, exec_lo, s3
	s_cbranch_vccz .LBB23_96
; %bb.87:
	v_and_b32_e32 v5, 0x7fffffff, v0
	s_mov_b32 s3, exec_lo
                                        ; implicit-def: $vgpr1
	s_delay_alu instid0(VALU_DEP_1)
	v_cmpx_gt_u32_e32 0x43f00000, v5
	s_xor_b32 s3, exec_lo, s3
	s_cbranch_execz .LBB23_93
; %bb.88:
	s_mov_b32 s4, exec_lo
                                        ; implicit-def: $vgpr1
	v_cmpx_lt_u32_e32 0x3c7fffff, v5
	s_xor_b32 s4, exec_lo, s4
; %bb.89:
	v_bfe_u32 v1, v0, 20, 1
	s_delay_alu instid0(VALU_DEP_1) | instskip(NEXT) | instid1(VALU_DEP_1)
	v_add3_u32 v1, v0, v1, 0x407ffff
	v_and_b32_e32 v5, 0xff00000, v1
	v_lshrrev_b32_e32 v1, 20, v1
	s_delay_alu instid0(VALU_DEP_2) | instskip(NEXT) | instid1(VALU_DEP_2)
	v_cmp_ne_u32_e32 vcc_lo, 0x7f00000, v5
	v_cndmask_b32_e32 v1, 0x7e, v1, vcc_lo
; %bb.90:
	s_and_not1_saveexec_b32 s4, s4
; %bb.91:
	v_add_f32_e64 v1, 0x46800000, |v0|
; %bb.92:
	s_or_b32 exec_lo, exec_lo, s4
                                        ; implicit-def: $vgpr5
.LBB23_93:
	s_and_not1_saveexec_b32 s3, s3
; %bb.94:
	v_mov_b32_e32 v1, 0x7f
	v_cmp_lt_u32_e32 vcc_lo, 0x7f800000, v5
	s_delay_alu instid0(VALU_DEP_2)
	v_cndmask_b32_e32 v1, 0x7e, v1, vcc_lo
; %bb.95:
	s_or_b32 exec_lo, exec_lo, s3
	v_lshrrev_b32_e32 v5, 24, v0
	s_delay_alu instid0(VALU_DEP_1)
	v_and_or_b32 v1, 0x80, v5, v1
	global_store_b8 v[2:3], v1, off
.LBB23_96:
	s_mov_b32 s3, 0
.LBB23_97:
	s_delay_alu instid0(SALU_CYCLE_1)
	s_and_not1_b32 vcc_lo, exec_lo, s3
	s_cbranch_vccnz .LBB23_107
; %bb.98:
	v_and_b32_e32 v5, 0x7fffffff, v0
	s_mov_b32 s3, exec_lo
                                        ; implicit-def: $vgpr1
	s_delay_alu instid0(VALU_DEP_1)
	v_cmpx_gt_u32_e32 0x47800000, v5
	s_xor_b32 s3, exec_lo, s3
	s_cbranch_execz .LBB23_104
; %bb.99:
	s_mov_b32 s4, exec_lo
                                        ; implicit-def: $vgpr1
	v_cmpx_lt_u32_e32 0x387fffff, v5
	s_xor_b32 s4, exec_lo, s4
; %bb.100:
	v_bfe_u32 v1, v0, 21, 1
	s_delay_alu instid0(VALU_DEP_1) | instskip(NEXT) | instid1(VALU_DEP_1)
	v_add3_u32 v1, v0, v1, 0x80fffff
	v_lshrrev_b32_e32 v1, 21, v1
; %bb.101:
	s_and_not1_saveexec_b32 s4, s4
; %bb.102:
	v_add_f32_e64 v1, 0x43000000, |v0|
; %bb.103:
	s_or_b32 exec_lo, exec_lo, s4
                                        ; implicit-def: $vgpr5
.LBB23_104:
	s_and_not1_saveexec_b32 s3, s3
; %bb.105:
	v_mov_b32_e32 v1, 0x7f
	v_cmp_lt_u32_e32 vcc_lo, 0x7f800000, v5
	s_delay_alu instid0(VALU_DEP_2)
	v_cndmask_b32_e32 v1, 0x7c, v1, vcc_lo
; %bb.106:
	s_or_b32 exec_lo, exec_lo, s3
	v_lshrrev_b32_e32 v5, 24, v0
	s_delay_alu instid0(VALU_DEP_1)
	v_and_or_b32 v1, 0x80, v5, v1
	global_store_b8 v[2:3], v1, off
.LBB23_107:
	s_mov_b32 s4, 0
	s_mov_b32 s3, -1
.LBB23_108:
	s_and_not1_b32 vcc_lo, exec_lo, s4
	s_cbranch_vccnz .LBB23_116
; %bb.109:
	v_cmp_lt_i16_e32 vcc_lo, 14, v4
	s_mov_b32 s4, -1
	s_cbranch_vccz .LBB23_113
; %bb.110:
	v_cmp_eq_u16_e32 vcc_lo, 15, v4
	s_mov_b32 s2, -1
	s_cbranch_vccz .LBB23_112
; %bb.111:
	v_bfe_u32 v1, v0, 16, 1
	v_cmp_o_f32_e32 vcc_lo, v0, v0
	s_mov_b32 s3, -1
	s_mov_b32 s2, 0
	s_delay_alu instid0(VALU_DEP_2) | instskip(NEXT) | instid1(VALU_DEP_1)
	v_add3_u32 v1, v0, v1, 0x7fff
	v_lshrrev_b32_e32 v1, 16, v1
	s_delay_alu instid0(VALU_DEP_1)
	v_cndmask_b32_e32 v1, 0x7fc0, v1, vcc_lo
	global_store_b16 v[2:3], v1, off
.LBB23_112:
	s_mov_b32 s4, 0
.LBB23_113:
	s_delay_alu instid0(SALU_CYCLE_1)
	s_and_b32 vcc_lo, exec_lo, s4
	s_cbranch_vccz .LBB23_116
; %bb.114:
	v_cmp_eq_u16_e32 vcc_lo, 11, v4
	s_mov_b32 s2, -1
	s_cbranch_vccz .LBB23_116
; %bb.115:
	v_cmp_neq_f32_e32 vcc_lo, 0, v0
	s_mov_b32 s2, 0
	s_mov_b32 s3, -1
	v_cndmask_b32_e64 v1, 0, 1, vcc_lo
	global_store_b8 v[2:3], v1, off
.LBB23_116:
.LBB23_117:
	s_and_not1_b32 vcc_lo, exec_lo, s3
	s_cbranch_vccz .LBB23_157
	s_branch .LBB23_277
.LBB23_118:
	s_and_b32 vcc_lo, exec_lo, s4
	s_cbranch_vccz .LBB23_117
; %bb.119:
	v_cmp_gt_i16_e32 vcc_lo, 5, v4
	s_mov_b32 s3, -1
	s_cbranch_vccnz .LBB23_140
; %bb.120:
	v_cmp_gt_i16_e32 vcc_lo, 8, v4
	s_cbranch_vccnz .LBB23_130
; %bb.121:
	v_cmp_gt_i16_e32 vcc_lo, 9, v4
	s_cbranch_vccnz .LBB23_127
; %bb.122:
	v_cmp_lt_i16_e32 vcc_lo, 9, v4
	s_cbranch_vccz .LBB23_124
; %bb.123:
	v_cvt_f64_f32_e32 v[5:6], v0
	v_mov_b32_e32 v7, 0
	s_mov_b32 s3, 0
	s_delay_alu instid0(VALU_DEP_1)
	v_mov_b32_e32 v8, v7
	global_store_b128 v[2:3], v[5:8], off
.LBB23_124:
	s_and_not1_b32 vcc_lo, exec_lo, s3
	s_cbranch_vccnz .LBB23_126
; %bb.125:
	v_mov_b32_e32 v1, 0
	global_store_b64 v[2:3], v[0:1], off
.LBB23_126:
	s_mov_b32 s3, 0
.LBB23_127:
	s_delay_alu instid0(SALU_CYCLE_1)
	s_and_not1_b32 vcc_lo, exec_lo, s3
	s_cbranch_vccnz .LBB23_129
; %bb.128:
	v_cvt_f16_f32_e32 v1, v0
	s_delay_alu instid0(VALU_DEP_1)
	v_and_b32_e32 v1, 0xffff, v1
	global_store_b32 v[2:3], v1, off
.LBB23_129:
	s_mov_b32 s3, 0
.LBB23_130:
	s_delay_alu instid0(SALU_CYCLE_1)
	s_and_not1_b32 vcc_lo, exec_lo, s3
	s_cbranch_vccnz .LBB23_139
; %bb.131:
	v_cmp_gt_i16_e32 vcc_lo, 6, v4
	s_mov_b32 s3, -1
	s_cbranch_vccnz .LBB23_137
; %bb.132:
	v_cmp_lt_i16_e32 vcc_lo, 6, v4
	s_cbranch_vccz .LBB23_134
; %bb.133:
	v_cvt_f64_f32_e32 v[5:6], v0
	s_mov_b32 s3, 0
	global_store_b64 v[2:3], v[5:6], off
.LBB23_134:
	s_and_not1_b32 vcc_lo, exec_lo, s3
	s_cbranch_vccnz .LBB23_136
; %bb.135:
	global_store_b32 v[2:3], v0, off
.LBB23_136:
	s_mov_b32 s3, 0
.LBB23_137:
	s_delay_alu instid0(SALU_CYCLE_1)
	s_and_not1_b32 vcc_lo, exec_lo, s3
	s_cbranch_vccnz .LBB23_139
; %bb.138:
	v_cvt_f16_f32_e32 v1, v0
	global_store_b16 v[2:3], v1, off
.LBB23_139:
	s_mov_b32 s3, 0
.LBB23_140:
	s_delay_alu instid0(SALU_CYCLE_1)
	s_and_not1_b32 vcc_lo, exec_lo, s3
	s_cbranch_vccnz .LBB23_156
; %bb.141:
	v_cmp_gt_i16_e32 vcc_lo, 2, v4
	s_mov_b32 s3, -1
	s_cbranch_vccnz .LBB23_151
; %bb.142:
	v_cmp_gt_i16_e32 vcc_lo, 3, v4
	s_cbranch_vccnz .LBB23_148
; %bb.143:
	v_cmp_lt_i16_e32 vcc_lo, 3, v4
	s_cbranch_vccz .LBB23_145
; %bb.144:
	v_trunc_f32_e32 v1, v0
	s_mov_b32 s3, 0
	s_delay_alu instid0(VALU_DEP_1) | instskip(NEXT) | instid1(VALU_DEP_1)
	v_mul_f32_e64 v5, 0x2f800000, |v1|
	v_floor_f32_e32 v5, v5
	s_delay_alu instid0(VALU_DEP_1) | instskip(SKIP_2) | instid1(VALU_DEP_3)
	v_fma_f32 v6, 0xcf800000, v5, |v1|
	v_ashrrev_i32_e32 v1, 31, v1
	v_cvt_u32_f32_e32 v5, v5
	v_cvt_u32_f32_e32 v6, v6
	s_delay_alu instid0(VALU_DEP_2) | instskip(NEXT) | instid1(VALU_DEP_2)
	v_xor_b32_e32 v7, v5, v1
	v_xor_b32_e32 v6, v6, v1
	s_delay_alu instid0(VALU_DEP_1) | instskip(NEXT) | instid1(VALU_DEP_3)
	v_sub_co_u32 v5, vcc_lo, v6, v1
	v_sub_co_ci_u32_e32 v6, vcc_lo, v7, v1, vcc_lo
	global_store_b64 v[2:3], v[5:6], off
.LBB23_145:
	s_and_not1_b32 vcc_lo, exec_lo, s3
	s_cbranch_vccnz .LBB23_147
; %bb.146:
	v_cvt_i32_f32_e32 v1, v0
	global_store_b32 v[2:3], v1, off
.LBB23_147:
	s_mov_b32 s3, 0
.LBB23_148:
	s_delay_alu instid0(SALU_CYCLE_1)
	s_and_not1_b32 vcc_lo, exec_lo, s3
	s_cbranch_vccnz .LBB23_150
; %bb.149:
	v_cvt_i32_f32_e32 v1, v0
	global_store_b16 v[2:3], v1, off
.LBB23_150:
	s_mov_b32 s3, 0
.LBB23_151:
	s_delay_alu instid0(SALU_CYCLE_1)
	s_and_not1_b32 vcc_lo, exec_lo, s3
	s_cbranch_vccnz .LBB23_156
; %bb.152:
	v_cmp_lt_i16_e32 vcc_lo, 0, v4
	s_mov_b32 s3, -1
	s_cbranch_vccz .LBB23_154
; %bb.153:
	v_cvt_i32_f32_e32 v1, v0
	s_mov_b32 s3, 0
	global_store_b8 v[2:3], v1, off
.LBB23_154:
	s_and_not1_b32 vcc_lo, exec_lo, s3
	s_cbranch_vccnz .LBB23_156
; %bb.155:
	v_trunc_f32_e32 v0, v0
	s_delay_alu instid0(VALU_DEP_1) | instskip(NEXT) | instid1(VALU_DEP_1)
	v_mul_f32_e64 v1, 0x2f800000, |v0|
	v_floor_f32_e32 v1, v1
	s_delay_alu instid0(VALU_DEP_1) | instskip(SKIP_1) | instid1(VALU_DEP_2)
	v_fma_f32 v1, 0xcf800000, v1, |v0|
	v_ashrrev_i32_e32 v0, 31, v0
	v_cvt_u32_f32_e32 v1, v1
	s_delay_alu instid0(VALU_DEP_1) | instskip(NEXT) | instid1(VALU_DEP_1)
	v_xor_b32_e32 v1, v1, v0
	v_sub_nc_u32_e32 v0, v1, v0
	global_store_b8 v[2:3], v0, off
.LBB23_156:
.LBB23_157:
	v_add_nc_u32_e32 v46, 0x80, v46
	s_mov_b32 s3, -1
	s_branch .LBB23_278
.LBB23_158:
	s_mov_b32 s3, -1
	s_mov_b32 s2, 0
                                        ; implicit-def: $vgpr41
	s_branch .LBB23_175
.LBB23_159:
	s_mov_b32 s3, -1
	s_mov_b32 s2, 0
                                        ; implicit-def: $vgpr41
	s_branch .LBB23_170
.LBB23_160:
	s_mov_b32 s3, -1
	s_branch .LBB23_162
.LBB23_161:
	s_mov_b32 s65, -1
.LBB23_162:
	s_mov_b32 s2, 0
                                        ; implicit-def: $vgpr41
.LBB23_163:
	s_and_b32 vcc_lo, exec_lo, s3
	s_cbranch_vccz .LBB23_169
; %bb.164:
	v_cmp_eq_u16_e32 vcc_lo, 44, v44
	s_cbranch_vccz .LBB23_168
; %bb.165:
	global_load_u8 v2, v[0:1], off
	s_mov_b32 s65, 0
	s_mov_b32 s2, -1
	s_waitcnt vmcnt(0)
	v_lshlrev_b32_e32 v3, 23, v2
	v_cmp_ne_u32_e32 vcc_lo, 0xff, v2
	s_delay_alu instid0(VALU_DEP_2) | instskip(SKIP_1) | instid1(VALU_DEP_2)
	v_cndmask_b32_e32 v3, 0x7f800001, v3, vcc_lo
	v_cmp_ne_u32_e32 vcc_lo, 0, v2
	v_cndmask_b32_e32 v41, 0x400000, v3, vcc_lo
	s_branch .LBB23_169
.LBB23_166:
	s_or_saveexec_b32 s5, s5
                                        ; implicit-def: $sgpr6
	s_delay_alu instid0(SALU_CYCLE_1)
	s_xor_b32 exec_lo, exec_lo, s5
	s_cbranch_execz .LBB23_69
.LBB23_167:
	v_add_f32_e64 v1, 0x46000000, |v0|
	s_and_not1_b32 s4, s4, exec_lo
	s_mov_b32 s6, 0
	s_delay_alu instid0(VALU_DEP_1) | instskip(NEXT) | instid1(VALU_DEP_1)
	v_and_b32_e32 v1, 0xff, v1
	v_cmp_ne_u32_e32 vcc_lo, 0, v1
	s_and_b32 s7, vcc_lo, exec_lo
	s_delay_alu instid0(SALU_CYCLE_1)
	s_or_b32 s4, s4, s7
	s_or_b32 exec_lo, exec_lo, s5
	v_mov_b32_e32 v5, s6
	s_and_saveexec_b32 s5, s4
	s_cbranch_execnz .LBB23_70
	s_branch .LBB23_71
.LBB23_168:
	s_mov_b32 s65, -1
                                        ; implicit-def: $vgpr41
.LBB23_169:
	s_mov_b32 s3, 0
.LBB23_170:
	s_delay_alu instid0(SALU_CYCLE_1)
	s_and_b32 vcc_lo, exec_lo, s3
	s_cbranch_vccz .LBB23_174
; %bb.171:
	v_cmp_eq_u16_e32 vcc_lo, 29, v44
	s_cbranch_vccz .LBB23_173
; %bb.172:
	global_load_b64 v[2:3], v[0:1], off
	s_mov_b32 s2, -1
	s_mov_b32 s65, 0
	s_mov_b32 s3, 0
	s_waitcnt vmcnt(0)
	v_clz_i32_u32_e32 v4, v3
	s_delay_alu instid0(VALU_DEP_1) | instskip(NEXT) | instid1(VALU_DEP_1)
	v_min_u32_e32 v4, 32, v4
	v_lshlrev_b64 v[2:3], v4, v[2:3]
	s_delay_alu instid0(VALU_DEP_1) | instskip(NEXT) | instid1(VALU_DEP_1)
	v_min_u32_e32 v2, 1, v2
	v_or_b32_e32 v2, v3, v2
	v_sub_nc_u32_e32 v3, 32, v4
	s_delay_alu instid0(VALU_DEP_2) | instskip(NEXT) | instid1(VALU_DEP_1)
	v_cvt_f32_u32_e32 v2, v2
	v_ldexp_f32 v41, v2, v3
	s_branch .LBB23_175
.LBB23_173:
	s_mov_b32 s65, -1
                                        ; implicit-def: $vgpr41
.LBB23_174:
	s_mov_b32 s3, 0
.LBB23_175:
	s_delay_alu instid0(SALU_CYCLE_1)
	s_and_b32 vcc_lo, exec_lo, s3
	s_cbranch_vccz .LBB23_193
; %bb.176:
	v_cmp_gt_i16_e32 vcc_lo, 27, v44
	s_cbranch_vccnz .LBB23_179
; %bb.177:
	v_cmp_lt_i16_e32 vcc_lo, 27, v44
	s_cbranch_vccz .LBB23_180
; %bb.178:
	global_load_b32 v2, v[0:1], off
	s_mov_b32 s2, 0
	s_waitcnt vmcnt(0)
	v_cvt_f32_u32_e32 v41, v2
	s_branch .LBB23_181
.LBB23_179:
	s_mov_b32 s2, -1
                                        ; implicit-def: $vgpr41
	s_branch .LBB23_184
.LBB23_180:
	s_mov_b32 s2, -1
                                        ; implicit-def: $vgpr41
.LBB23_181:
	s_delay_alu instid0(SALU_CYCLE_1)
	s_and_not1_b32 vcc_lo, exec_lo, s2
	s_cbranch_vccnz .LBB23_183
; %bb.182:
	global_load_u16 v2, v[0:1], off
	s_waitcnt vmcnt(0)
	v_cvt_f32_u32_e32 v41, v2
.LBB23_183:
	s_mov_b32 s2, 0
.LBB23_184:
	s_delay_alu instid0(SALU_CYCLE_1)
	s_and_not1_b32 vcc_lo, exec_lo, s2
	s_cbranch_vccnz .LBB23_192
; %bb.185:
	global_load_u8 v2, v[0:1], off
	s_mov_b32 s2, 0
	s_mov_b32 s4, exec_lo
                                        ; implicit-def: $sgpr3
	s_waitcnt vmcnt(0)
	v_cmpx_lt_i16_e32 0x7f, v2
	s_xor_b32 s4, exec_lo, s4
	s_cbranch_execz .LBB23_205
; %bb.186:
	s_mov_b32 s2, -1
	s_mov_b32 s5, exec_lo
                                        ; implicit-def: $sgpr3
	v_cmpx_eq_u16_e32 0x80, v2
; %bb.187:
	s_mov_b32 s3, 0x7f800001
	s_xor_b32 s2, exec_lo, -1
; %bb.188:
	s_or_b32 exec_lo, exec_lo, s5
	s_delay_alu instid0(SALU_CYCLE_1)
	s_and_b32 s2, s2, exec_lo
	s_or_saveexec_b32 s4, s4
	v_mov_b32_e32 v41, s3
	s_xor_b32 exec_lo, exec_lo, s4
	s_cbranch_execnz .LBB23_206
.LBB23_189:
	s_or_b32 exec_lo, exec_lo, s4
	s_and_saveexec_b32 s3, s2
	s_cbranch_execz .LBB23_191
.LBB23_190:
	v_and_b32_e32 v3, 0xffff, v2
	v_lshlrev_b32_e32 v2, 24, v2
	s_delay_alu instid0(VALU_DEP_2) | instskip(NEXT) | instid1(VALU_DEP_2)
	v_and_b32_e32 v4, 7, v3
	v_and_b32_e32 v2, 0x80000000, v2
	s_delay_alu instid0(VALU_DEP_2) | instskip(NEXT) | instid1(VALU_DEP_1)
	v_clz_i32_u32_e32 v5, v4
	v_min_u32_e32 v5, 32, v5
	s_delay_alu instid0(VALU_DEP_1) | instskip(SKIP_1) | instid1(VALU_DEP_2)
	v_subrev_nc_u32_e32 v6, 28, v5
	v_sub_nc_u32_e32 v5, 29, v5
	v_lshlrev_b32_e32 v6, v6, v3
	v_bfe_u32 v3, v3, 3, 4
	s_delay_alu instid0(VALU_DEP_2) | instskip(NEXT) | instid1(VALU_DEP_2)
	v_and_b32_e32 v6, 7, v6
	v_cmp_eq_u32_e32 vcc_lo, 0, v3
	s_delay_alu instid0(VALU_DEP_2) | instskip(NEXT) | instid1(VALU_DEP_1)
	v_dual_cndmask_b32 v3, v3, v5 :: v_dual_cndmask_b32 v4, v4, v6
	v_lshl_add_u32 v3, v3, 23, 0x3b800000
	s_delay_alu instid0(VALU_DEP_2) | instskip(NEXT) | instid1(VALU_DEP_1)
	v_lshlrev_b32_e32 v4, 20, v4
	v_or3_b32 v41, v2, v3, v4
.LBB23_191:
	s_or_b32 exec_lo, exec_lo, s3
.LBB23_192:
	s_mov_b32 s2, -1
.LBB23_193:
	s_branch .LBB23_228
.LBB23_194:
	v_cmp_lt_i16_e32 vcc_lo, 22, v44
	s_cbranch_vccz .LBB23_204
; %bb.195:
	v_cmp_gt_i16_e32 vcc_lo, 24, v44
	s_cbranch_vccnz .LBB23_207
; %bb.196:
	v_cmp_lt_i16_e32 vcc_lo, 24, v44
	s_cbranch_vccz .LBB23_208
; %bb.197:
	global_load_u8 v2, v[0:1], off
	s_mov_b32 s2, 0
	s_mov_b32 s4, exec_lo
                                        ; implicit-def: $sgpr3
	s_waitcnt vmcnt(0)
	v_cmpx_lt_i16_e32 0x7f, v2
	s_xor_b32 s4, exec_lo, s4
	s_cbranch_execz .LBB23_220
; %bb.198:
	s_mov_b32 s2, -1
	s_mov_b32 s5, exec_lo
                                        ; implicit-def: $sgpr3
	v_cmpx_eq_u16_e32 0x80, v2
; %bb.199:
	s_mov_b32 s3, 0x7f800001
	s_xor_b32 s2, exec_lo, -1
; %bb.200:
	s_or_b32 exec_lo, exec_lo, s5
	s_delay_alu instid0(SALU_CYCLE_1)
	s_and_b32 s2, s2, exec_lo
	s_or_saveexec_b32 s4, s4
	v_mov_b32_e32 v41, s3
	s_xor_b32 exec_lo, exec_lo, s4
	s_cbranch_execnz .LBB23_221
.LBB23_201:
	s_or_b32 exec_lo, exec_lo, s4
	s_and_saveexec_b32 s3, s2
	s_cbranch_execz .LBB23_203
.LBB23_202:
	v_and_b32_e32 v3, 0xffff, v2
	v_lshlrev_b32_e32 v2, 24, v2
	s_delay_alu instid0(VALU_DEP_2) | instskip(NEXT) | instid1(VALU_DEP_2)
	v_and_b32_e32 v4, 3, v3
	v_and_b32_e32 v2, 0x80000000, v2
	s_delay_alu instid0(VALU_DEP_2) | instskip(NEXT) | instid1(VALU_DEP_1)
	v_clz_i32_u32_e32 v5, v4
	v_min_u32_e32 v5, 32, v5
	s_delay_alu instid0(VALU_DEP_1) | instskip(SKIP_1) | instid1(VALU_DEP_2)
	v_subrev_nc_u32_e32 v6, 29, v5
	v_sub_nc_u32_e32 v5, 30, v5
	v_lshlrev_b32_e32 v6, v6, v3
	v_bfe_u32 v3, v3, 2, 5
	s_delay_alu instid0(VALU_DEP_2) | instskip(NEXT) | instid1(VALU_DEP_2)
	v_and_b32_e32 v6, 3, v6
	v_cmp_eq_u32_e32 vcc_lo, 0, v3
	s_delay_alu instid0(VALU_DEP_2) | instskip(NEXT) | instid1(VALU_DEP_1)
	v_dual_cndmask_b32 v3, v3, v5 :: v_dual_cndmask_b32 v4, v4, v6
	v_lshl_add_u32 v3, v3, 23, 0x37800000
	s_delay_alu instid0(VALU_DEP_2) | instskip(NEXT) | instid1(VALU_DEP_1)
	v_lshlrev_b32_e32 v4, 21, v4
	v_or3_b32 v41, v2, v3, v4
.LBB23_203:
	s_or_b32 exec_lo, exec_lo, s3
	s_mov_b32 s2, 0
	s_branch .LBB23_209
.LBB23_204:
	s_mov_b32 s3, -1
                                        ; implicit-def: $vgpr41
	s_branch .LBB23_215
.LBB23_205:
	s_or_saveexec_b32 s4, s4
	v_mov_b32_e32 v41, s3
	s_xor_b32 exec_lo, exec_lo, s4
	s_cbranch_execz .LBB23_189
.LBB23_206:
	v_cmp_ne_u16_e32 vcc_lo, 0, v2
	v_mov_b32_e32 v41, 0
	s_and_not1_b32 s2, s2, exec_lo
	s_and_b32 s3, vcc_lo, exec_lo
	s_delay_alu instid0(SALU_CYCLE_1)
	s_or_b32 s2, s2, s3
	s_or_b32 exec_lo, exec_lo, s4
	s_and_saveexec_b32 s3, s2
	s_cbranch_execnz .LBB23_190
	s_branch .LBB23_191
.LBB23_207:
	s_mov_b32 s2, -1
                                        ; implicit-def: $vgpr41
	s_branch .LBB23_212
.LBB23_208:
	s_mov_b32 s2, -1
                                        ; implicit-def: $vgpr41
.LBB23_209:
	s_delay_alu instid0(SALU_CYCLE_1)
	s_and_b32 vcc_lo, exec_lo, s2
	s_cbranch_vccz .LBB23_211
; %bb.210:
	global_load_u8 v2, v[0:1], off
	s_waitcnt vmcnt(0)
	v_lshlrev_b32_e32 v2, 24, v2
	s_delay_alu instid0(VALU_DEP_1) | instskip(NEXT) | instid1(VALU_DEP_1)
	v_and_b32_e32 v3, 0x7f000000, v2
	v_clz_i32_u32_e32 v4, v3
	v_add_nc_u32_e32 v6, 0x1000000, v3
	v_cmp_ne_u32_e32 vcc_lo, 0, v3
	s_delay_alu instid0(VALU_DEP_3) | instskip(NEXT) | instid1(VALU_DEP_1)
	v_min_u32_e32 v4, 32, v4
	v_sub_nc_u32_e64 v4, v4, 4 clamp
	s_delay_alu instid0(VALU_DEP_1) | instskip(SKIP_1) | instid1(VALU_DEP_2)
	v_lshlrev_b32_e32 v5, v4, v3
	v_lshlrev_b32_e32 v4, 23, v4
	v_lshrrev_b32_e32 v5, 4, v5
	s_delay_alu instid0(VALU_DEP_1) | instskip(SKIP_1) | instid1(VALU_DEP_2)
	v_sub_nc_u32_e32 v4, v5, v4
	v_ashrrev_i32_e32 v5, 8, v6
	v_add_nc_u32_e32 v4, 0x3c000000, v4
	s_delay_alu instid0(VALU_DEP_1) | instskip(NEXT) | instid1(VALU_DEP_1)
	v_and_or_b32 v4, 0x7f800000, v5, v4
	v_cndmask_b32_e32 v3, 0, v4, vcc_lo
	s_delay_alu instid0(VALU_DEP_1)
	v_and_or_b32 v41, 0x80000000, v2, v3
.LBB23_211:
	s_mov_b32 s2, 0
.LBB23_212:
	s_delay_alu instid0(SALU_CYCLE_1)
	s_and_not1_b32 vcc_lo, exec_lo, s2
	s_cbranch_vccnz .LBB23_214
; %bb.213:
	global_load_u8 v2, v[0:1], off
	s_waitcnt vmcnt(0)
	v_lshlrev_b32_e32 v3, 25, v2
	v_lshlrev_b16 v2, 8, v2
	s_delay_alu instid0(VALU_DEP_2) | instskip(NEXT) | instid1(VALU_DEP_2)
	v_lshrrev_b32_e32 v4, 4, v3
	v_and_or_b32 v5, 0x7f00, v2, 0.5
	v_bfe_i32 v2, v2, 0, 16
	s_delay_alu instid0(VALU_DEP_3) | instskip(NEXT) | instid1(VALU_DEP_1)
	v_or_b32_e32 v4, 0x70000000, v4
	v_dual_add_f32 v5, -0.5, v5 :: v_dual_mul_f32 v4, 0x7800000, v4
	v_cmp_gt_u32_e32 vcc_lo, 0x8000000, v3
	s_delay_alu instid0(VALU_DEP_2) | instskip(NEXT) | instid1(VALU_DEP_1)
	v_cndmask_b32_e32 v3, v4, v5, vcc_lo
	v_and_or_b32 v41, 0x80000000, v2, v3
.LBB23_214:
	s_mov_b32 s3, 0
	s_mov_b32 s2, -1
.LBB23_215:
	s_and_not1_b32 vcc_lo, exec_lo, s3
	s_cbranch_vccnz .LBB23_228
; %bb.216:
	v_cmp_lt_i16_e32 vcc_lo, 14, v44
	s_cbranch_vccz .LBB23_219
; %bb.217:
	v_cmp_eq_u16_e32 vcc_lo, 15, v44
	s_cbranch_vccz .LBB23_222
; %bb.218:
	global_load_u16 v2, v[0:1], off
	s_mov_b32 s2, -1
	s_mov_b32 s65, 0
	s_waitcnt vmcnt(0)
	v_lshlrev_b32_e32 v41, 16, v2
	s_branch .LBB23_223
.LBB23_219:
	s_mov_b32 s3, -1
                                        ; implicit-def: $vgpr41
	s_branch .LBB23_224
.LBB23_220:
	s_or_saveexec_b32 s4, s4
	v_mov_b32_e32 v41, s3
	s_xor_b32 exec_lo, exec_lo, s4
	s_cbranch_execz .LBB23_201
.LBB23_221:
	v_cmp_ne_u16_e32 vcc_lo, 0, v2
	v_mov_b32_e32 v41, 0
	s_and_not1_b32 s2, s2, exec_lo
	s_and_b32 s3, vcc_lo, exec_lo
	s_delay_alu instid0(SALU_CYCLE_1)
	s_or_b32 s2, s2, s3
	s_or_b32 exec_lo, exec_lo, s4
	s_and_saveexec_b32 s3, s2
	s_cbranch_execnz .LBB23_202
	s_branch .LBB23_203
.LBB23_222:
	s_mov_b32 s65, -1
                                        ; implicit-def: $vgpr41
.LBB23_223:
	s_mov_b32 s3, 0
.LBB23_224:
	s_delay_alu instid0(SALU_CYCLE_1)
	s_and_b32 vcc_lo, exec_lo, s3
	s_cbranch_vccz .LBB23_228
; %bb.225:
	v_cmp_eq_u16_e32 vcc_lo, 11, v44
	s_cbranch_vccz .LBB23_227
; %bb.226:
	global_load_u8 v2, v[0:1], off
	s_mov_b32 s65, 0
	s_mov_b32 s2, -1
	s_waitcnt vmcnt(0)
	v_cmp_ne_u16_e32 vcc_lo, 0, v2
	v_cndmask_b32_e64 v41, 0, 1.0, vcc_lo
	s_branch .LBB23_228
.LBB23_227:
	s_mov_b32 s65, -1
                                        ; implicit-def: $vgpr41
.LBB23_228:
	s_branch .LBB23_23
.LBB23_229:
	v_cmp_gt_i16_e32 vcc_lo, 5, v44
	s_cbranch_vccnz .LBB23_234
; %bb.230:
	v_cmp_gt_i16_e32 vcc_lo, 8, v44
	s_cbranch_vccnz .LBB23_235
; %bb.231:
	;; [unrolled: 3-line block ×3, first 2 shown]
	v_cmp_lt_i16_e32 vcc_lo, 9, v44
	s_cbranch_vccz .LBB23_237
; %bb.233:
	global_load_b64 v[2:3], v[0:1], off
	s_mov_b32 s2, 0
	s_waitcnt vmcnt(0)
	v_cvt_f32_f64_e32 v41, v[2:3]
	s_branch .LBB23_238
.LBB23_234:
                                        ; implicit-def: $vgpr41
	s_branch .LBB23_256
.LBB23_235:
	s_mov_b32 s2, -1
                                        ; implicit-def: $vgpr41
	s_branch .LBB23_244
.LBB23_236:
	s_mov_b32 s2, -1
                                        ; implicit-def: $vgpr41
	s_branch .LBB23_241
.LBB23_237:
	s_mov_b32 s2, -1
                                        ; implicit-def: $vgpr41
.LBB23_238:
	s_delay_alu instid0(SALU_CYCLE_1)
	s_and_not1_b32 vcc_lo, exec_lo, s2
	s_cbranch_vccnz .LBB23_240
; %bb.239:
	global_load_b32 v41, v[0:1], off
.LBB23_240:
	s_mov_b32 s2, 0
.LBB23_241:
	s_delay_alu instid0(SALU_CYCLE_1)
	s_and_not1_b32 vcc_lo, exec_lo, s2
	s_cbranch_vccnz .LBB23_243
; %bb.242:
	global_load_b32 v2, v[0:1], off
	s_waitcnt vmcnt(0)
	v_cvt_f32_f16_e32 v41, v2
.LBB23_243:
	s_mov_b32 s2, 0
.LBB23_244:
	s_delay_alu instid0(SALU_CYCLE_1)
	s_and_not1_b32 vcc_lo, exec_lo, s2
	s_cbranch_vccnz .LBB23_255
; %bb.245:
	v_cmp_gt_i16_e32 vcc_lo, 6, v44
	s_cbranch_vccnz .LBB23_248
; %bb.246:
	v_cmp_lt_i16_e32 vcc_lo, 6, v44
	s_cbranch_vccz .LBB23_249
; %bb.247:
	global_load_b64 v[2:3], v[0:1], off
	s_mov_b32 s2, 0
	s_waitcnt vmcnt(0)
	v_cvt_f32_f64_e32 v41, v[2:3]
	s_branch .LBB23_250
.LBB23_248:
	s_mov_b32 s2, -1
                                        ; implicit-def: $vgpr41
	s_branch .LBB23_253
.LBB23_249:
	s_mov_b32 s2, -1
                                        ; implicit-def: $vgpr41
.LBB23_250:
	s_delay_alu instid0(SALU_CYCLE_1)
	s_and_not1_b32 vcc_lo, exec_lo, s2
	s_cbranch_vccnz .LBB23_252
; %bb.251:
	global_load_b32 v41, v[0:1], off
.LBB23_252:
	s_mov_b32 s2, 0
.LBB23_253:
	s_delay_alu instid0(SALU_CYCLE_1)
	s_and_not1_b32 vcc_lo, exec_lo, s2
	s_cbranch_vccnz .LBB23_255
; %bb.254:
	global_load_u16 v2, v[0:1], off
	s_waitcnt vmcnt(0)
	v_cvt_f32_f16_e32 v41, v2
.LBB23_255:
	s_cbranch_execnz .LBB23_275
.LBB23_256:
	v_cmp_gt_i16_e32 vcc_lo, 2, v44
	s_cbranch_vccnz .LBB23_260
; %bb.257:
	v_cmp_gt_i16_e32 vcc_lo, 3, v44
	s_cbranch_vccnz .LBB23_261
; %bb.258:
	v_cmp_lt_i16_e32 vcc_lo, 3, v44
	s_cbranch_vccz .LBB23_262
; %bb.259:
	global_load_b64 v[2:3], v[0:1], off
	s_mov_b32 s2, 0
	s_waitcnt vmcnt(0)
	v_xor_b32_e32 v4, v2, v3
	v_cls_i32_e32 v5, v3
	s_delay_alu instid0(VALU_DEP_2) | instskip(NEXT) | instid1(VALU_DEP_2)
	v_ashrrev_i32_e32 v4, 31, v4
	v_add_nc_u32_e32 v5, -1, v5
	s_delay_alu instid0(VALU_DEP_2) | instskip(NEXT) | instid1(VALU_DEP_1)
	v_add_nc_u32_e32 v4, 32, v4
	v_min_u32_e32 v4, v5, v4
	s_delay_alu instid0(VALU_DEP_1) | instskip(NEXT) | instid1(VALU_DEP_1)
	v_lshlrev_b64 v[2:3], v4, v[2:3]
	v_min_u32_e32 v2, 1, v2
	s_delay_alu instid0(VALU_DEP_1) | instskip(SKIP_1) | instid1(VALU_DEP_2)
	v_or_b32_e32 v2, v3, v2
	v_sub_nc_u32_e32 v3, 32, v4
	v_cvt_f32_i32_e32 v2, v2
	s_delay_alu instid0(VALU_DEP_1)
	v_ldexp_f32 v41, v2, v3
	s_branch .LBB23_263
.LBB23_260:
	s_mov_b32 s2, -1
                                        ; implicit-def: $vgpr41
	s_branch .LBB23_269
.LBB23_261:
	s_mov_b32 s2, -1
                                        ; implicit-def: $vgpr41
	s_branch .LBB23_266
.LBB23_262:
	s_mov_b32 s2, -1
                                        ; implicit-def: $vgpr41
.LBB23_263:
	s_delay_alu instid0(SALU_CYCLE_1)
	s_and_not1_b32 vcc_lo, exec_lo, s2
	s_cbranch_vccnz .LBB23_265
; %bb.264:
	global_load_b32 v2, v[0:1], off
	s_waitcnt vmcnt(0)
	v_cvt_f32_i32_e32 v41, v2
.LBB23_265:
	s_mov_b32 s2, 0
.LBB23_266:
	s_delay_alu instid0(SALU_CYCLE_1)
	s_and_not1_b32 vcc_lo, exec_lo, s2
	s_cbranch_vccnz .LBB23_268
; %bb.267:
	global_load_i16 v2, v[0:1], off
	s_waitcnt vmcnt(0)
	v_cvt_f32_i32_e32 v41, v2
.LBB23_268:
	s_mov_b32 s2, 0
.LBB23_269:
	s_delay_alu instid0(SALU_CYCLE_1)
	s_and_not1_b32 vcc_lo, exec_lo, s2
	s_cbranch_vccnz .LBB23_275
; %bb.270:
	v_cmp_lt_i16_e32 vcc_lo, 0, v44
	s_mov_b32 s2, 0
	s_cbranch_vccz .LBB23_272
; %bb.271:
	global_load_i8 v2, v[0:1], off
	s_waitcnt vmcnt(0)
	v_cvt_f32_i32_e32 v41, v2
	s_branch .LBB23_273
.LBB23_272:
	s_mov_b32 s2, -1
                                        ; implicit-def: $vgpr41
.LBB23_273:
	s_delay_alu instid0(SALU_CYCLE_1)
	s_and_not1_b32 vcc_lo, exec_lo, s2
	s_cbranch_vccnz .LBB23_275
; %bb.274:
	global_load_u8 v0, v[0:1], off
	s_waitcnt vmcnt(0)
	v_cvt_f32_ubyte0_e32 v41, v0
.LBB23_275:
	s_branch .LBB23_24
.LBB23_276:
	s_mov_b32 s2, 0
.LBB23_277:
	s_mov_b32 s3, 0
                                        ; implicit-def: $vgpr46
.LBB23_278:
	s_and_b32 s64, s2, exec_lo
	s_and_b32 s65, s65, exec_lo
	s_or_not1_b32 s3, s3, exec_lo
.LBB23_279:
	s_or_b32 exec_lo, exec_lo, s66
	s_mov_b32 s4, 0
	s_mov_b32 s2, 0
                                        ; implicit-def: $vgpr0_vgpr1
                                        ; implicit-def: $vgpr42
                                        ; implicit-def: $vgpr41
	s_and_saveexec_b32 s66, s3
	s_cbranch_execz .LBB23_954
; %bb.280:
	s_mov_b32 s2, -1
	s_mov_b32 s67, s65
	s_mov_b32 s68, s64
	s_mov_b32 s69, exec_lo
	v_cmpx_gt_i32_e64 s61, v46
	s_cbranch_execz .LBB23_565
; %bb.281:
	s_and_not1_b32 vcc_lo, exec_lo, s58
	s_cbranch_vccnz .LBB23_286
; %bb.282:
	v_mov_b32_e32 v42, 0
	v_mov_b32_e32 v0, 0
	s_and_not1_b32 vcc_lo, exec_lo, s63
	s_mov_b32 s6, 0
	s_cbranch_vccnz .LBB23_291
; %bb.283:
	v_mov_b32_e32 v42, 0
	s_add_i32 s8, s62, 1
	s_cmp_eq_u32 s56, 2
	s_mov_b32 s7, 0
	s_cbranch_scc1 .LBB23_287
; %bb.284:
	v_dual_mov_b32 v0, 0 :: v_dual_mov_b32 v1, v46
	v_mov_b32_e32 v42, 0
	s_and_b32 s7, s8, 28
	s_mov_b32 s9, 0
	s_mov_b64 s[2:3], s[52:53]
	s_mov_b64 s[4:5], s[48:49]
.LBB23_285:                             ; =>This Inner Loop Header: Depth=1
	s_clause 0x1
	s_load_b256 s[12:19], s[4:5], 0x4
	s_load_b128 s[28:31], s[4:5], 0x24
	s_load_b256 s[20:27], s[2:3], 0x0
	s_add_u32 s4, s4, 48
	s_addc_u32 s5, s5, 0
	s_add_i32 s9, s9, 4
	s_add_u32 s2, s2, 32
	s_addc_u32 s3, s3, 0
	s_cmp_eq_u32 s7, s9
	s_waitcnt lgkmcnt(0)
	v_mul_hi_u32 v2, s13, v1
	s_delay_alu instid0(VALU_DEP_1) | instskip(NEXT) | instid1(VALU_DEP_1)
	v_add_nc_u32_e32 v2, v1, v2
	v_lshrrev_b32_e32 v2, s14, v2
	s_delay_alu instid0(VALU_DEP_1) | instskip(SKIP_1) | instid1(VALU_DEP_2)
	v_mul_hi_u32 v3, s16, v2
	v_mul_lo_u32 v5, v2, s12
	v_add_nc_u32_e32 v3, v2, v3
	s_delay_alu instid0(VALU_DEP_2) | instskip(NEXT) | instid1(VALU_DEP_2)
	v_sub_nc_u32_e32 v1, v1, v5
	v_lshrrev_b32_e32 v3, s17, v3
	s_delay_alu instid0(VALU_DEP_2) | instskip(SKIP_1) | instid1(VALU_DEP_3)
	v_mul_lo_u32 v5, v1, s20
	v_mul_lo_u32 v7, v1, s21
	v_mul_hi_u32 v4, s19, v3
	s_delay_alu instid0(VALU_DEP_1) | instskip(NEXT) | instid1(VALU_DEP_1)
	v_add_nc_u32_e32 v4, v3, v4
	v_lshrrev_b32_e32 v4, s28, v4
	s_delay_alu instid0(VALU_DEP_1) | instskip(SKIP_1) | instid1(VALU_DEP_2)
	v_mul_hi_u32 v6, s30, v4
	v_mul_lo_u32 v8, v4, s18
	v_add_nc_u32_e32 v1, v4, v6
	v_mul_lo_u32 v6, v3, s15
	s_delay_alu instid0(VALU_DEP_3) | instskip(NEXT) | instid1(VALU_DEP_3)
	v_sub_nc_u32_e32 v3, v3, v8
	v_lshrrev_b32_e32 v1, s31, v1
	s_delay_alu instid0(VALU_DEP_2) | instskip(SKIP_2) | instid1(VALU_DEP_4)
	v_mul_lo_u32 v8, v3, s24
	v_mul_lo_u32 v3, v3, s25
	v_sub_nc_u32_e32 v2, v2, v6
	v_mul_lo_u32 v9, v1, s29
	s_delay_alu instid0(VALU_DEP_2) | instskip(SKIP_1) | instid1(VALU_DEP_3)
	v_mul_lo_u32 v6, v2, s22
	v_mul_lo_u32 v2, v2, s23
	v_sub_nc_u32_e32 v4, v4, v9
	s_delay_alu instid0(VALU_DEP_3) | instskip(NEXT) | instid1(VALU_DEP_2)
	v_add3_u32 v5, v5, v42, v6
	v_mul_lo_u32 v9, v4, s26
	v_mul_lo_u32 v4, v4, s27
	v_add3_u32 v0, v7, v0, v2
	s_delay_alu instid0(VALU_DEP_3) | instskip(NEXT) | instid1(VALU_DEP_2)
	v_add3_u32 v42, v8, v5, v9
	v_add3_u32 v0, v3, v0, v4
	s_cbranch_scc0 .LBB23_285
	s_branch .LBB23_288
.LBB23_286:
	s_mov_b32 s6, -1
                                        ; implicit-def: $vgpr42
                                        ; implicit-def: $vgpr0
	s_branch .LBB23_291
.LBB23_287:
	v_dual_mov_b32 v1, v46 :: v_dual_mov_b32 v0, 0
.LBB23_288:
	s_and_b32 s8, s8, 3
	s_delay_alu instid0(SALU_CYCLE_1)
	s_cmp_eq_u32 s8, 0
	s_cbranch_scc1 .LBB23_291
; %bb.289:
	s_lshl_b32 s2, s7, 3
	s_mul_i32 s4, s7, 12
	s_add_u32 s2, s2, s48
	s_addc_u32 s3, s49, 0
	s_add_u32 s2, s2, 0xc4
	s_addc_u32 s3, s3, 0
	;; [unrolled: 2-line block ×3, first 2 shown]
	.p2align	6
.LBB23_290:                             ; =>This Inner Loop Header: Depth=1
	s_clause 0x1
	s_load_b64 s[10:11], s[4:5], 0x4
	s_load_b32 s7, s[4:5], 0xc
	s_load_b64 s[12:13], s[2:3], 0x0
	s_add_u32 s4, s4, 12
	s_addc_u32 s5, s5, 0
	s_add_u32 s2, s2, 8
	s_addc_u32 s3, s3, 0
	s_add_i32 s8, s8, -1
	s_delay_alu instid0(SALU_CYCLE_1) | instskip(SKIP_2) | instid1(VALU_DEP_1)
	s_cmp_lg_u32 s8, 0
	s_waitcnt lgkmcnt(0)
	v_mul_hi_u32 v2, s11, v1
	v_add_nc_u32_e32 v2, v1, v2
	s_delay_alu instid0(VALU_DEP_1) | instskip(NEXT) | instid1(VALU_DEP_1)
	v_lshrrev_b32_e32 v5, s7, v2
	v_mul_lo_u32 v2, v5, s10
	s_delay_alu instid0(VALU_DEP_1) | instskip(NEXT) | instid1(VALU_DEP_1)
	v_sub_nc_u32_e32 v1, v1, v2
	v_mad_u64_u32 v[2:3], null, v1, s12, v[42:43]
	v_mad_u64_u32 v[3:4], null, v1, s13, v[0:1]
	s_delay_alu instid0(VALU_DEP_2) | instskip(NEXT) | instid1(VALU_DEP_2)
	v_dual_mov_b32 v1, v5 :: v_dual_mov_b32 v42, v2
	v_mov_b32_e32 v0, v3
	s_cbranch_scc1 .LBB23_290
.LBB23_291:
	s_and_not1_b32 vcc_lo, exec_lo, s6
	s_cbranch_vccnz .LBB23_294
; %bb.292:
	s_waitcnt lgkmcnt(0)
	v_mul_hi_u32 v0, s45, v46
	s_and_not1_b32 vcc_lo, exec_lo, s60
	s_delay_alu instid0(VALU_DEP_1) | instskip(NEXT) | instid1(VALU_DEP_1)
	v_add_nc_u32_e32 v0, v46, v0
	v_lshrrev_b32_e32 v1, s46, v0
	s_delay_alu instid0(VALU_DEP_1) | instskip(NEXT) | instid1(VALU_DEP_1)
	v_mul_lo_u32 v0, v1, s44
	v_sub_nc_u32_e32 v0, v46, v0
	s_delay_alu instid0(VALU_DEP_1)
	v_mul_lo_u32 v42, v0, s40
	v_mul_lo_u32 v0, v0, s41
	s_cbranch_vccnz .LBB23_294
; %bb.293:
	v_mul_hi_u32 v2, s50, v1
	s_delay_alu instid0(VALU_DEP_1) | instskip(NEXT) | instid1(VALU_DEP_1)
	v_add_nc_u32_e32 v2, v1, v2
	v_lshrrev_b32_e32 v2, s51, v2
	s_delay_alu instid0(VALU_DEP_1) | instskip(NEXT) | instid1(VALU_DEP_1)
	v_mul_lo_u32 v2, v2, s47
	v_sub_nc_u32_e32 v4, v1, v2
	s_delay_alu instid0(VALU_DEP_1) | instskip(NEXT) | instid1(VALU_DEP_1)
	v_mad_u64_u32 v[1:2], null, v4, s42, v[42:43]
	v_mad_u64_u32 v[2:3], null, v4, s43, v[0:1]
	v_mov_b32_e32 v42, v1
	s_delay_alu instid0(VALU_DEP_2)
	v_mov_b32_e32 v0, v2
.LBB23_294:
	v_cmp_gt_i16_e32 vcc_lo, 11, v44
	s_waitcnt lgkmcnt(0)
	s_delay_alu instid0(VALU_DEP_2) | instskip(NEXT) | instid1(VALU_DEP_1)
	v_add_co_u32 v0, s2, s38, v0
	v_add_co_ci_u32_e64 v1, null, s39, 0, s2
	s_mov_b32 s2, 0
	s_cbranch_vccnz .LBB23_301
; %bb.295:
	v_cmp_lt_i16_e32 vcc_lo, 25, v44
	s_cbranch_vccz .LBB23_312
; %bb.296:
	v_cmp_lt_i16_e32 vcc_lo, 28, v44
	s_cbranch_vccz .LBB23_367
	;; [unrolled: 3-line block ×4, first 2 shown]
; %bb.299:
	v_cmp_eq_u16_e32 vcc_lo, 46, v44
	s_mov_b32 s3, 0
	s_cbranch_vccz .LBB23_375
; %bb.300:
	global_load_b32 v2, v[0:1], off
	s_mov_b32 s2, -1
	s_mov_b32 s67, 0
	s_waitcnt vmcnt(0)
	v_lshlrev_b32_e32 v41, 16, v2
	s_branch .LBB23_377
.LBB23_301:
	s_mov_b32 s67, s65
                                        ; implicit-def: $vgpr41
	s_cbranch_execnz .LBB23_514
.LBB23_302:
	s_and_not1_b32 vcc_lo, exec_lo, s2
	s_cbranch_vccnz .LBB23_562
.LBB23_303:
                                        ; implicit-def: $vgpr0
	s_mov_b32 s2, exec_lo
	s_waitcnt vmcnt(0)
	s_delay_alu instid0(VALU_DEP_1)
	v_cmpx_ge_f32_e32 0x40a00000, v41
	s_xor_b32 s68, exec_lo, s2
	s_cbranch_execz .LBB23_309
; %bb.304:
	v_mov_b32_e32 v0, 0xff800000
	s_mov_b32 s70, exec_lo
	v_cmpx_neq_f32_e32 0, v41
	s_cbranch_execz .LBB23_308
; %bb.305:
	v_mov_b32_e32 v0, 0x7fc00000
	s_mov_b32 s71, exec_lo
	v_cmpx_nge_f32_e32 0, v41
	s_cbranch_execz .LBB23_307
; %bb.306:
	v_mul_f32_e32 v0, v41, v41
	s_getpc_b64 s[2:3]
	s_add_u32 s2, s2, _Z17bessel_j1_forwardIfET_S0_@rel32@lo+4
	s_addc_u32 s3, s3, _Z17bessel_j1_forwardIfET_S0_@rel32@hi+12
	s_mov_b64 s[54:55], s[0:1]
	v_fmaak_f32 v1, 0, v0, 0x4414934d
	v_fmaak_f32 v2, 0, v0, 0x4e9695f3
	s_delay_alu instid0(VALU_DEP_2) | instskip(NEXT) | instid1(VALU_DEP_2)
	v_fmaak_f32 v1, v0, v1, 0x48660b06
	v_fmaak_f32 v2, v0, v2, 0xd316b96b
	s_delay_alu instid0(VALU_DEP_2) | instskip(NEXT) | instid1(VALU_DEP_2)
	;; [unrolled: 3-line block ×5, first 2 shown]
	v_fmaak_f32 v1, v0, v1, 0x580d1937
	v_fmaak_f32 v2, v0, v2, 0xdd2cf20b
	s_delay_alu instid0(VALU_DEP_2) | instskip(NEXT) | instid1(VALU_DEP_1)
	v_fmaak_f32 v1, v0, v1, 0x5b741f1e
	v_fmaak_f32 v0, v0, v1, 0x5e5c878d
	s_delay_alu instid0(VALU_DEP_1) | instskip(SKIP_1) | instid1(VALU_DEP_2)
	v_div_scale_f32 v1, null, v0, v0, v2
	v_div_scale_f32 v5, vcc_lo, v2, v0, v2
	v_rcp_f32_e32 v3, v1
	s_waitcnt_depctr 0xfff
	v_fma_f32 v4, -v1, v3, 1.0
	s_delay_alu instid0(VALU_DEP_1) | instskip(NEXT) | instid1(VALU_DEP_1)
	v_fmac_f32_e32 v3, v4, v3
	v_mul_f32_e32 v4, v5, v3
	s_delay_alu instid0(VALU_DEP_1) | instskip(NEXT) | instid1(VALU_DEP_1)
	v_fma_f32 v6, -v1, v4, v5
	v_fmac_f32_e32 v4, v6, v3
	s_delay_alu instid0(VALU_DEP_1) | instskip(NEXT) | instid1(VALU_DEP_1)
	v_fma_f32 v1, -v1, v4, v5
	v_div_fmas_f32 v1, v1, v3, v4
	s_delay_alu instid0(VALU_DEP_1)
	v_div_fixup_f32 v45, v1, v0, v2
	v_mov_b32_e32 v0, v41
	s_swappc_b64 s[30:31], s[2:3]
	v_div_scale_f32 v1, null, v41, v41, -1.0
	v_cmp_gt_f32_e32 vcc_lo, 0x800000, v41
	v_div_scale_f32 v5, s2, -1.0, v41, -1.0
	s_delay_alu instid0(VALU_DEP_3) | instskip(SKIP_4) | instid1(VALU_DEP_1)
	v_rcp_f32_e32 v3, v1
	s_mov_b64 s[0:1], s[54:55]
	v_cndmask_b32_e64 v2, 1.0, 0x4f800000, vcc_lo
	s_waitcnt_depctr 0xfff
	v_fma_f32 v4, -v1, v3, 1.0
	v_dual_mul_f32 v2, v41, v2 :: v_dual_fmac_f32 v3, v4, v3
	s_delay_alu instid0(VALU_DEP_1) | instskip(SKIP_3) | instid1(VALU_DEP_2)
	v_log_f32_e32 v2, v2
	s_waitcnt_depctr 0xfff
	v_mul_f32_e32 v4, 0x3f317217, v2
	v_cmp_gt_f32_e64 s3, 0x7f800000, |v2|
	v_fma_f32 v7, 0x3f317217, v2, -v4
	s_delay_alu instid0(VALU_DEP_1) | instskip(NEXT) | instid1(VALU_DEP_1)
	v_dual_mul_f32 v6, v5, v3 :: v_dual_fmamk_f32 v7, v2, 0x3377d1cf, v7
	v_fma_f32 v8, -v1, v6, v5
	s_delay_alu instid0(VALU_DEP_2) | instskip(NEXT) | instid1(VALU_DEP_2)
	v_add_f32_e32 v4, v4, v7
	v_fmac_f32_e32 v6, v8, v3
	s_delay_alu instid0(VALU_DEP_2) | instskip(NEXT) | instid1(VALU_DEP_2)
	v_cndmask_b32_e64 v2, v2, v4, s3
	v_fma_f32 v1, -v1, v6, v5
	v_cndmask_b32_e64 v4, 0, 0x41b17218, vcc_lo
	s_mov_b32 vcc_lo, s2
	s_delay_alu instid0(VALU_DEP_2) | instskip(NEXT) | instid1(VALU_DEP_2)
	v_div_fmas_f32 v1, v1, v3, v6
	v_sub_f32_e32 v2, v2, v4
	s_delay_alu instid0(VALU_DEP_2) | instskip(NEXT) | instid1(VALU_DEP_1)
	v_div_fixup_f32 v1, v1, v41, -1.0
	v_fmac_f32_e32 v1, v2, v0
	s_delay_alu instid0(VALU_DEP_1) | instskip(NEXT) | instid1(VALU_DEP_1)
	v_mul_f32_e32 v0, 0x3f22f983, v1
	v_fmac_f32_e32 v0, v41, v45
.LBB23_307:
	s_or_b32 exec_lo, exec_lo, s71
.LBB23_308:
	s_delay_alu instid0(SALU_CYCLE_1)
	s_or_b32 exec_lo, exec_lo, s70
                                        ; implicit-def: $vgpr41
.LBB23_309:
	s_and_not1_saveexec_b32 s5, s68
	s_cbranch_execz .LBB23_320
; %bb.310:
	v_add_f32_e32 v0, 0xc016cbe4, v41
                                        ; implicit-def: $vgpr3
                                        ; implicit-def: $vgpr2
	s_delay_alu instid0(VALU_DEP_1) | instskip(SKIP_1) | instid1(VALU_DEP_1)
	v_and_b32_e32 v1, 0x7fffffff, v0
	v_cmp_ngt_f32_e64 s6, 0x48000000, |v0|
	s_and_saveexec_b32 s2, s6
	s_delay_alu instid0(SALU_CYCLE_1)
	s_xor_b32 s7, exec_lo, s2
	s_cbranch_execz .LBB23_313
; %bb.311:
	s_mov_b32 s2, 0x7fffff
	v_mov_b32_e32 v4, 0
	v_and_or_b32 v12, v1, s2, 0x800000
	v_lshrrev_b32_e32 v9, 23, v1
	s_delay_alu instid0(VALU_DEP_2) | instskip(NEXT) | instid1(VALU_DEP_2)
	v_mad_u64_u32 v[2:3], null, 0xfe5163ab, v12, 0
	v_add_nc_u32_e32 v10, 0xffffff88, v9
	s_delay_alu instid0(VALU_DEP_1) | instskip(NEXT) | instid1(VALU_DEP_3)
	v_cmp_lt_u32_e32 vcc_lo, 63, v10
	v_mad_u64_u32 v[5:6], null, 0x3c439041, v12, v[3:4]
	v_cndmask_b32_e64 v11, 0, 0xffffffc0, vcc_lo
	s_delay_alu instid0(VALU_DEP_2) | instskip(NEXT) | instid1(VALU_DEP_2)
	v_mov_b32_e32 v3, v6
	v_add_nc_u32_e32 v11, v11, v10
	s_delay_alu instid0(VALU_DEP_2) | instskip(NEXT) | instid1(VALU_DEP_2)
	v_mad_u64_u32 v[6:7], null, 0xdb629599, v12, v[3:4]
	v_cmp_lt_u32_e64 s2, 31, v11
	s_delay_alu instid0(VALU_DEP_1) | instskip(NEXT) | instid1(VALU_DEP_3)
	v_cndmask_b32_e64 v13, 0, 0xffffffe0, s2
	v_dual_mov_b32 v3, v7 :: v_dual_cndmask_b32 v2, v6, v2
	s_delay_alu instid0(VALU_DEP_2) | instskip(NEXT) | instid1(VALU_DEP_2)
	v_add_nc_u32_e32 v13, v13, v11
	v_mad_u64_u32 v[7:8], null, 0xf534ddc0, v12, v[3:4]
	s_delay_alu instid0(VALU_DEP_2) | instskip(NEXT) | instid1(VALU_DEP_2)
	v_cmp_lt_u32_e64 s3, 31, v13
	v_mov_b32_e32 v3, v8
	s_delay_alu instid0(VALU_DEP_3) | instskip(NEXT) | instid1(VALU_DEP_2)
	v_cndmask_b32_e32 v5, v7, v5, vcc_lo
	v_mad_u64_u32 v[8:9], null, 0xfc2757d1, v12, v[3:4]
	s_delay_alu instid0(VALU_DEP_2) | instskip(NEXT) | instid1(VALU_DEP_2)
	v_cndmask_b32_e64 v2, v5, v2, s2
	v_mov_b32_e32 v3, v9
	s_delay_alu instid0(VALU_DEP_1) | instskip(NEXT) | instid1(VALU_DEP_1)
	v_mad_u64_u32 v[9:10], null, 0x4e441529, v12, v[3:4]
	v_mov_b32_e32 v3, v10
	s_delay_alu instid0(VALU_DEP_1) | instskip(SKIP_1) | instid1(VALU_DEP_1)
	v_mad_u64_u32 v[10:11], null, 0xa2f9836e, v12, v[3:4]
	v_cndmask_b32_e64 v3, 0, 0xffffffe0, s3
	v_dual_cndmask_b32 v4, v9, v7 :: v_dual_add_nc_u32 v3, v3, v13
	s_delay_alu instid0(VALU_DEP_3) | instskip(NEXT) | instid1(VALU_DEP_4)
	v_cndmask_b32_e32 v10, v10, v8, vcc_lo
	v_dual_cndmask_b32 v8, v8, v6 :: v_dual_cndmask_b32 v9, v11, v9
	s_delay_alu instid0(VALU_DEP_3) | instskip(NEXT) | instid1(VALU_DEP_3)
	v_cmp_eq_u32_e64 s4, 0, v3
	v_cndmask_b32_e64 v7, v10, v4, s2
	s_delay_alu instid0(VALU_DEP_3) | instskip(NEXT) | instid1(VALU_DEP_4)
	v_cndmask_b32_e64 v4, v4, v8, s2
	v_cndmask_b32_e64 v9, v9, v10, s2
	v_sub_nc_u32_e32 v10, 32, v3
	v_cndmask_b32_e64 v8, v8, v5, s2
	s_delay_alu instid0(VALU_DEP_3) | instskip(SKIP_1) | instid1(VALU_DEP_3)
	v_cndmask_b32_e64 v9, v9, v7, s3
	v_cndmask_b32_e64 v7, v7, v4, s3
	v_cndmask_b32_e64 v4, v4, v8, s3
	v_cndmask_b32_e64 v2, v8, v2, s3
	s_delay_alu instid0(VALU_DEP_3) | instskip(NEXT) | instid1(VALU_DEP_3)
	v_alignbit_b32 v11, v9, v7, v10
	v_alignbit_b32 v12, v7, v4, v10
	s_delay_alu instid0(VALU_DEP_3) | instskip(NEXT) | instid1(VALU_DEP_3)
	v_alignbit_b32 v10, v4, v2, v10
	v_cndmask_b32_e64 v3, v11, v9, s4
	s_delay_alu instid0(VALU_DEP_3) | instskip(NEXT) | instid1(VALU_DEP_3)
	v_cndmask_b32_e64 v6, v12, v7, s4
	v_cndmask_b32_e64 v4, v10, v4, s4
	s_delay_alu instid0(VALU_DEP_3) | instskip(NEXT) | instid1(VALU_DEP_3)
	v_bfe_u32 v7, v3, 29, 1
	v_alignbit_b32 v5, v3, v6, 30
	s_delay_alu instid0(VALU_DEP_3) | instskip(SKIP_1) | instid1(VALU_DEP_4)
	v_alignbit_b32 v6, v6, v4, 30
	v_alignbit_b32 v2, v4, v2, 30
	v_sub_nc_u32_e32 v9, 0, v7
	s_delay_alu instid0(VALU_DEP_1) | instskip(SKIP_3) | instid1(VALU_DEP_4)
	v_xor_b32_e32 v8, v5, v9
	v_cmp_ne_u32_e32 vcc_lo, v5, v9
	v_xor_b32_e32 v4, v6, v9
	v_xor_b32_e32 v2, v2, v9
	v_clz_i32_u32_e32 v11, v8
	s_delay_alu instid0(VALU_DEP_1) | instskip(NEXT) | instid1(VALU_DEP_1)
	v_add_nc_u32_e32 v10, 1, v11
	v_cndmask_b32_e32 v5, 33, v10, vcc_lo
	s_delay_alu instid0(VALU_DEP_1) | instskip(NEXT) | instid1(VALU_DEP_1)
	v_sub_nc_u32_e32 v6, 32, v5
	v_alignbit_b32 v8, v8, v4, v6
	v_alignbit_b32 v2, v4, v2, v6
	v_lshrrev_b32_e32 v4, 29, v3
	v_lshrrev_b32_e32 v3, 30, v3
	s_delay_alu instid0(VALU_DEP_3) | instskip(NEXT) | instid1(VALU_DEP_3)
	v_alignbit_b32 v6, v8, v2, 9
	v_lshlrev_b32_e32 v4, 31, v4
	v_alignbit_b32 v8, v5, v8, 9
	s_delay_alu instid0(VALU_DEP_4) | instskip(NEXT) | instid1(VALU_DEP_4)
	v_add_nc_u32_e32 v3, v7, v3
	v_clz_i32_u32_e32 v9, v6
	s_delay_alu instid0(VALU_DEP_3) | instskip(SKIP_1) | instid1(VALU_DEP_3)
	v_or_b32_e32 v8, v8, v4
	v_or_b32_e32 v4, 0x33800000, v4
	v_min_u32_e32 v9, 32, v9
	s_delay_alu instid0(VALU_DEP_3) | instskip(NEXT) | instid1(VALU_DEP_2)
	v_xor_b32_e32 v8, 1.0, v8
	v_sub_nc_u32_e32 v10, 31, v9
	v_add_lshl_u32 v5, v9, v5, 23
	s_delay_alu instid0(VALU_DEP_3) | instskip(NEXT) | instid1(VALU_DEP_3)
	v_mul_f32_e32 v9, 0x3fc90fda, v8
	v_alignbit_b32 v2, v6, v2, v10
	s_delay_alu instid0(VALU_DEP_3) | instskip(NEXT) | instid1(VALU_DEP_3)
	v_sub_nc_u32_e32 v4, v4, v5
	v_fma_f32 v5, 0x3fc90fda, v8, -v9
	s_delay_alu instid0(VALU_DEP_3) | instskip(NEXT) | instid1(VALU_DEP_2)
	v_lshrrev_b32_e32 v2, 9, v2
	v_fmamk_f32 v5, v8, 0x33a22168, v5
	s_delay_alu instid0(VALU_DEP_2) | instskip(NEXT) | instid1(VALU_DEP_1)
	v_or_b32_e32 v2, v4, v2
	v_fmac_f32_e32 v5, 0x3fc90fda, v2
	s_delay_alu instid0(VALU_DEP_1)
	v_add_f32_e32 v2, v9, v5
	s_and_not1_saveexec_b32 s2, s7
	s_branch .LBB23_314
.LBB23_312:
	s_mov_b32 s3, -1
	s_mov_b32 s67, s65
                                        ; implicit-def: $vgpr41
	s_branch .LBB23_478
.LBB23_313:
	s_and_not1_saveexec_b32 s2, s7
.LBB23_314:
	v_mul_f32_e64 v2, 0x3f22f983, |v0|
	s_delay_alu instid0(VALU_DEP_1) | instskip(NEXT) | instid1(VALU_DEP_1)
	v_rndne_f32_e32 v3, v2
	v_fma_f32 v2, 0xbfc90fda, v3, |v0|
	s_delay_alu instid0(VALU_DEP_1) | instskip(NEXT) | instid1(VALU_DEP_1)
	v_fmamk_f32 v2, v3, 0xb3a22168, v2
	v_fmamk_f32 v2, v3, 0xa7c234c4, v2
	v_cvt_i32_f32_e32 v3, v3
; %bb.315:
	s_or_b32 exec_lo, exec_lo, s2
                                        ; implicit-def: $vgpr5
                                        ; implicit-def: $vgpr4
	s_and_saveexec_b32 s2, s6
	s_delay_alu instid0(SALU_CYCLE_1)
	s_xor_b32 s6, exec_lo, s2
	s_cbranch_execz .LBB23_317
; %bb.316:
	s_mov_b32 s2, 0x7fffff
	v_mov_b32_e32 v6, 0
	v_and_or_b32 v14, v1, s2, 0x800000
	v_lshrrev_b32_e32 v11, 23, v1
	s_delay_alu instid0(VALU_DEP_2) | instskip(NEXT) | instid1(VALU_DEP_2)
	v_mad_u64_u32 v[4:5], null, 0xfe5163ab, v14, 0
	v_add_nc_u32_e32 v12, 0xffffff88, v11
	s_delay_alu instid0(VALU_DEP_1) | instskip(NEXT) | instid1(VALU_DEP_3)
	v_cmp_lt_u32_e32 vcc_lo, 63, v12
	v_mad_u64_u32 v[7:8], null, 0x3c439041, v14, v[5:6]
	v_cndmask_b32_e64 v13, 0, 0xffffffc0, vcc_lo
	s_delay_alu instid0(VALU_DEP_2) | instskip(NEXT) | instid1(VALU_DEP_2)
	v_mov_b32_e32 v5, v8
	v_add_nc_u32_e32 v13, v13, v12
	s_delay_alu instid0(VALU_DEP_2) | instskip(NEXT) | instid1(VALU_DEP_2)
	v_mad_u64_u32 v[8:9], null, 0xdb629599, v14, v[5:6]
	v_cmp_lt_u32_e64 s2, 31, v13
	s_delay_alu instid0(VALU_DEP_1) | instskip(NEXT) | instid1(VALU_DEP_3)
	v_cndmask_b32_e64 v15, 0, 0xffffffe0, s2
	v_dual_mov_b32 v5, v9 :: v_dual_cndmask_b32 v4, v8, v4
	s_delay_alu instid0(VALU_DEP_2) | instskip(NEXT) | instid1(VALU_DEP_2)
	v_add_nc_u32_e32 v15, v15, v13
	v_mad_u64_u32 v[9:10], null, 0xf534ddc0, v14, v[5:6]
	s_delay_alu instid0(VALU_DEP_2) | instskip(NEXT) | instid1(VALU_DEP_2)
	v_cmp_lt_u32_e64 s3, 31, v15
	v_mov_b32_e32 v5, v10
	s_delay_alu instid0(VALU_DEP_3) | instskip(NEXT) | instid1(VALU_DEP_2)
	v_cndmask_b32_e32 v7, v9, v7, vcc_lo
	v_mad_u64_u32 v[10:11], null, 0xfc2757d1, v14, v[5:6]
	s_delay_alu instid0(VALU_DEP_2) | instskip(NEXT) | instid1(VALU_DEP_2)
	v_cndmask_b32_e64 v4, v7, v4, s2
	v_mov_b32_e32 v5, v11
	s_delay_alu instid0(VALU_DEP_1) | instskip(NEXT) | instid1(VALU_DEP_1)
	v_mad_u64_u32 v[11:12], null, 0x4e441529, v14, v[5:6]
	v_mov_b32_e32 v5, v12
	s_delay_alu instid0(VALU_DEP_1) | instskip(SKIP_1) | instid1(VALU_DEP_1)
	v_mad_u64_u32 v[12:13], null, 0xa2f9836e, v14, v[5:6]
	v_cndmask_b32_e64 v5, 0, 0xffffffe0, s3
	v_dual_cndmask_b32 v6, v11, v9 :: v_dual_add_nc_u32 v5, v5, v15
	s_delay_alu instid0(VALU_DEP_3) | instskip(NEXT) | instid1(VALU_DEP_4)
	v_cndmask_b32_e32 v12, v12, v10, vcc_lo
	v_dual_cndmask_b32 v10, v10, v8 :: v_dual_cndmask_b32 v11, v13, v11
	s_delay_alu instid0(VALU_DEP_3) | instskip(NEXT) | instid1(VALU_DEP_3)
	v_cmp_eq_u32_e64 s4, 0, v5
	v_cndmask_b32_e64 v9, v12, v6, s2
	s_delay_alu instid0(VALU_DEP_3) | instskip(NEXT) | instid1(VALU_DEP_4)
	v_cndmask_b32_e64 v6, v6, v10, s2
	v_cndmask_b32_e64 v11, v11, v12, s2
	v_sub_nc_u32_e32 v12, 32, v5
	v_cndmask_b32_e64 v10, v10, v7, s2
	s_delay_alu instid0(VALU_DEP_3) | instskip(SKIP_1) | instid1(VALU_DEP_3)
	v_cndmask_b32_e64 v11, v11, v9, s3
	v_cndmask_b32_e64 v9, v9, v6, s3
	;; [unrolled: 1-line block ×4, first 2 shown]
	s_delay_alu instid0(VALU_DEP_3) | instskip(NEXT) | instid1(VALU_DEP_3)
	v_alignbit_b32 v13, v11, v9, v12
	v_alignbit_b32 v14, v9, v6, v12
	s_delay_alu instid0(VALU_DEP_3) | instskip(NEXT) | instid1(VALU_DEP_3)
	v_alignbit_b32 v12, v6, v4, v12
	v_cndmask_b32_e64 v5, v13, v11, s4
	s_delay_alu instid0(VALU_DEP_3) | instskip(NEXT) | instid1(VALU_DEP_3)
	v_cndmask_b32_e64 v8, v14, v9, s4
	v_cndmask_b32_e64 v6, v12, v6, s4
	s_delay_alu instid0(VALU_DEP_3) | instskip(NEXT) | instid1(VALU_DEP_3)
	v_bfe_u32 v9, v5, 29, 1
	v_alignbit_b32 v7, v5, v8, 30
	s_delay_alu instid0(VALU_DEP_3) | instskip(SKIP_1) | instid1(VALU_DEP_4)
	v_alignbit_b32 v8, v8, v6, 30
	v_alignbit_b32 v4, v6, v4, 30
	v_sub_nc_u32_e32 v11, 0, v9
	s_delay_alu instid0(VALU_DEP_1) | instskip(SKIP_3) | instid1(VALU_DEP_4)
	v_xor_b32_e32 v10, v7, v11
	v_cmp_ne_u32_e32 vcc_lo, v7, v11
	v_xor_b32_e32 v6, v8, v11
	v_xor_b32_e32 v4, v4, v11
	v_clz_i32_u32_e32 v13, v10
	s_delay_alu instid0(VALU_DEP_1) | instskip(NEXT) | instid1(VALU_DEP_1)
	v_add_nc_u32_e32 v12, 1, v13
	v_cndmask_b32_e32 v7, 33, v12, vcc_lo
	s_delay_alu instid0(VALU_DEP_1) | instskip(NEXT) | instid1(VALU_DEP_1)
	v_sub_nc_u32_e32 v8, 32, v7
	v_alignbit_b32 v10, v10, v6, v8
	v_alignbit_b32 v4, v6, v4, v8
	v_lshrrev_b32_e32 v6, 29, v5
	v_lshrrev_b32_e32 v5, 30, v5
	s_delay_alu instid0(VALU_DEP_3) | instskip(NEXT) | instid1(VALU_DEP_3)
	v_alignbit_b32 v8, v10, v4, 9
	v_lshlrev_b32_e32 v6, 31, v6
	v_alignbit_b32 v10, v7, v10, 9
	s_delay_alu instid0(VALU_DEP_4) | instskip(NEXT) | instid1(VALU_DEP_4)
	v_add_nc_u32_e32 v5, v9, v5
	v_clz_i32_u32_e32 v11, v8
	s_delay_alu instid0(VALU_DEP_3) | instskip(SKIP_1) | instid1(VALU_DEP_3)
	v_or_b32_e32 v10, v10, v6
	v_or_b32_e32 v6, 0x33800000, v6
	v_min_u32_e32 v11, 32, v11
	s_delay_alu instid0(VALU_DEP_3) | instskip(NEXT) | instid1(VALU_DEP_2)
	v_xor_b32_e32 v10, 1.0, v10
	v_sub_nc_u32_e32 v12, 31, v11
	v_add_lshl_u32 v7, v11, v7, 23
	s_delay_alu instid0(VALU_DEP_3) | instskip(NEXT) | instid1(VALU_DEP_3)
	v_mul_f32_e32 v11, 0x3fc90fda, v10
	v_alignbit_b32 v4, v8, v4, v12
	s_delay_alu instid0(VALU_DEP_3) | instskip(NEXT) | instid1(VALU_DEP_3)
	v_sub_nc_u32_e32 v6, v6, v7
	v_fma_f32 v7, 0x3fc90fda, v10, -v11
	s_delay_alu instid0(VALU_DEP_3) | instskip(NEXT) | instid1(VALU_DEP_2)
	v_lshrrev_b32_e32 v4, 9, v4
	v_fmamk_f32 v7, v10, 0x33a22168, v7
	s_delay_alu instid0(VALU_DEP_2) | instskip(NEXT) | instid1(VALU_DEP_1)
	v_or_b32_e32 v4, v6, v4
	v_fmac_f32_e32 v7, 0x3fc90fda, v4
	s_delay_alu instid0(VALU_DEP_1)
	v_add_f32_e32 v4, v11, v7
	s_and_not1_saveexec_b32 s2, s6
	s_cbranch_execnz .LBB23_318
	s_branch .LBB23_319
.LBB23_317:
	s_and_not1_saveexec_b32 s2, s6
.LBB23_318:
	v_mul_f32_e64 v4, 0x3f22f983, |v0|
	s_delay_alu instid0(VALU_DEP_1) | instskip(NEXT) | instid1(VALU_DEP_1)
	v_rndne_f32_e32 v5, v4
	v_fma_f32 v4, 0xbfc90fda, v5, |v0|
	s_delay_alu instid0(VALU_DEP_1) | instskip(NEXT) | instid1(VALU_DEP_1)
	v_fmamk_f32 v4, v5, 0xb3a22168, v4
	v_fmamk_f32 v4, v5, 0xa7c234c4, v4
	v_cvt_i32_f32_e32 v5, v5
.LBB23_319:
	s_or_b32 exec_lo, exec_lo, s2
	v_div_scale_f32 v6, null, v41, v41, 0x40a00000
	v_div_scale_f32 v9, vcc_lo, 0x40a00000, v41, 0x40a00000
	s_mov_b32 s2, 0xb94c1982
	s_delay_alu instid0(VALU_DEP_2)
	v_rcp_f32_e32 v7, v6
	s_mov_b32 s3, 0x37d75334
	v_xor_b32_e32 v1, v1, v0
	v_and_b32_e32 v11, 1, v5
	s_waitcnt_depctr 0xfff
	v_fma_f32 v8, -v6, v7, 1.0
	s_delay_alu instid0(VALU_DEP_1) | instskip(NEXT) | instid1(VALU_DEP_1)
	v_fmac_f32_e32 v7, v8, v7
	v_mul_f32_e32 v8, v9, v7
	s_delay_alu instid0(VALU_DEP_1) | instskip(NEXT) | instid1(VALU_DEP_1)
	v_fma_f32 v10, -v6, v8, v9
	v_fmac_f32_e32 v8, v10, v7
	v_mul_f32_e32 v10, v4, v4
	s_delay_alu instid0(VALU_DEP_2) | instskip(NEXT) | instid1(VALU_DEP_2)
	v_fma_f32 v6, -v6, v8, v9
	v_fmaak_f32 v19, s2, v10, 0x3c0881c4
	v_fmaak_f32 v20, s3, v10, 0xbab64f3b
	s_delay_alu instid0(VALU_DEP_3) | instskip(SKIP_1) | instid1(VALU_DEP_4)
	v_div_fmas_f32 v6, v6, v7, v8
	v_mul_f32_e32 v7, v2, v2
	v_fmaak_f32 v19, v10, v19, 0xbe2aaa9d
	s_delay_alu instid0(VALU_DEP_4) | instskip(NEXT) | instid1(VALU_DEP_4)
	v_fmaak_f32 v20, v10, v20, 0x3d2aabf7
	v_div_fixup_f32 v6, v6, v41, 0x40a00000
	v_and_b32_e32 v8, 1, v3
	v_lshlrev_b32_e32 v3, 30, v3
	v_fmaak_f32 v17, s2, v7, 0x3c0881c4
	s_delay_alu instid0(VALU_DEP_4) | instskip(SKIP_2) | instid1(VALU_DEP_4)
	v_dual_fmaak_f32 v18, s3, v7, 0xbab64f3b :: v_dual_mul_f32 v9, v6, v6
	v_cmp_gt_f32_e64 s2, 0xf800000, v41
	v_cmp_eq_u32_e64 s4, 0, v8
	v_fmaak_f32 v17, v7, v17, 0xbe2aaa9d
	s_delay_alu instid0(VALU_DEP_4) | instskip(SKIP_2) | instid1(VALU_DEP_4)
	v_fmaak_f32 v18, v7, v18, 0x3d2aabf7
	v_fmaak_f32 v13, 0, v9, 0x3a15c4d9
	v_dual_fmaak_f32 v14, 0, v9, 0x3a47c962 :: v_dual_mul_f32 v19, v10, v19
	v_mul_f32_e32 v17, v7, v17
	v_fmaak_f32 v12, 0, v9, 0x3d513fd3
	s_delay_alu instid0(VALU_DEP_4) | instskip(NEXT) | instid1(VALU_DEP_4)
	v_fmaak_f32 v13, v9, v13, 0x3d8cfeeb
	v_dual_fmaak_f32 v14, v9, v14, 0x3d95ca45 :: v_dual_lshlrev_b32 v5, 30, v5
	v_dual_fmaak_f32 v15, 0, v9, 0x42947983 :: v_dual_fmac_f32 v4, v4, v19
	s_delay_alu instid0(VALU_DEP_3) | instskip(NEXT) | instid1(VALU_DEP_3)
	v_fmaak_f32 v13, v9, v13, 0x3f8d754e
	v_fmaak_f32 v14, v9, v14, 0x3f9047f6
	;; [unrolled: 1-line block ×3, first 2 shown]
	s_delay_alu instid0(VALU_DEP_4) | instskip(NEXT) | instid1(VALU_DEP_4)
	v_dual_fmaak_f32 v15, v9, v15, 0x44840e5d :: v_dual_fmac_f32 v2, v2, v17
	v_fmaak_f32 v13, v9, v13, 0x40a25d18
	s_delay_alu instid0(VALU_DEP_4) | instskip(SKIP_1) | instid1(VALU_DEP_4)
	v_fmaak_f32 v14, v9, v14, 0x40a39628
	v_fmaak_f32 v18, v7, v18, 0xbf000004
	;; [unrolled: 1-line block ×6, first 2 shown]
	v_fma_f32 v7, v7, v18, 1.0
	v_fmaak_f32 v15, v9, v15, 0x46156947
	v_fma_f32 v10, v10, v20, 1.0
	v_fmaak_f32 v13, v9, v13, 0x40a6b6ea
	v_fmaak_f32 v14, v9, v14, 0x40a6dd51
	v_cndmask_b32_e64 v2, v7, v2, s4
	v_fmaak_f32 v15, v9, v15, 0x45f9e855
	v_cmp_eq_u32_e64 s4, 0, v11
	v_fma_f32 v13, v9, v13, 1.0
	v_fma_f32 v14, v9, v14, 1.0
	v_and_b32_e32 v3, 0x80000000, v3
	v_fmaak_f32 v15, v9, v15, 0x4530a316
	v_cndmask_b32_e64 v4, -v4, v10, s4
	v_and_b32_e32 v5, 0x80000000, v5
	v_div_scale_f32 v27, vcc_lo, v14, v13, v14
	v_fmaak_f32 v12, v9, v12, 0x4297a5cd
	v_fmaak_f32 v15, v9, v15, 0x43a80bfb
	v_xor3_b32 v1, v1, v3, v2
	v_xor_b32_e32 v4, v5, v4
	s_delay_alu instid0(VALU_DEP_4) | instskip(NEXT) | instid1(VALU_DEP_1)
	v_fmaak_f32 v12, v9, v12, 0x43b763ca
	v_fmaak_f32 v12, v9, v12, 0x4431b6ce
	s_delay_alu instid0(VALU_DEP_1) | instskip(NEXT) | instid1(VALU_DEP_1)
	v_fmaak_f32 v12, v9, v12, 0x44155f56
	v_fmaak_f32 v12, v9, v12, 0x4353b052
	s_delay_alu instid0(VALU_DEP_1) | instskip(SKIP_1) | instid1(VALU_DEP_2)
	v_fmaak_f32 v9, v9, v12, 0x41c9a7fa
	v_div_scale_f32 v12, null, v13, v13, v14
	v_div_scale_f32 v21, null, v15, v15, v9
	s_delay_alu instid0(VALU_DEP_2) | instskip(NEXT) | instid1(VALU_DEP_1)
	v_rcp_f32_e32 v22, v12
	v_rcp_f32_e32 v23, v21
	s_waitcnt_depctr 0xfff
	v_fma_f32 v25, -v12, v22, 1.0
	v_fma_f32 v26, -v21, v23, 1.0
	v_mul_f32_e32 v16, 0x4f800000, v41
	s_delay_alu instid0(VALU_DEP_3) | instskip(SKIP_1) | instid1(VALU_DEP_4)
	v_fmac_f32_e32 v22, v25, v22
	v_div_scale_f32 v25, s3, v9, v15, v9
	v_fmac_f32_e32 v23, v26, v23
	s_delay_alu instid0(VALU_DEP_4) | instskip(NEXT) | instid1(VALU_DEP_2)
	v_cndmask_b32_e64 v16, v41, v16, s2
	v_dual_mul_f32 v17, v27, v22 :: v_dual_mul_f32 v18, v25, v23
	s_delay_alu instid0(VALU_DEP_2) | instskip(NEXT) | instid1(VALU_DEP_1)
	v_sqrt_f32_e32 v24, v16
	v_fma_f32 v20, -v12, v17, v27
	s_delay_alu instid0(VALU_DEP_2) | instskip(NEXT) | instid1(VALU_DEP_2)
	v_fma_f32 v28, -v21, v18, v25
	v_fmac_f32_e32 v17, v20, v22
	s_waitcnt_depctr 0xfff
	v_dual_fmac_f32 v18, v28, v23 :: v_dual_add_nc_u32 v19, -1, v24
	v_fma_f32 v10, -v12, v17, v27
	v_add_nc_u32_e32 v26, 1, v24
	s_delay_alu instid0(VALU_DEP_3) | instskip(NEXT) | instid1(VALU_DEP_4)
	v_fma_f32 v2, -v21, v18, v25
	v_fma_f32 v7, -v19, v24, v16
	s_delay_alu instid0(VALU_DEP_4)
	v_div_fmas_f32 v3, v10, v22, v17
	s_mov_b32 vcc_lo, s3
	v_fma_f32 v8, -v26, v24, v16
	v_div_fmas_f32 v2, v2, v23, v18
	v_cmp_ge_f32_e32 vcc_lo, 0, v7
	v_div_fixup_f32 v3, v3, v13, v14
	s_delay_alu instid0(VALU_DEP_4) | instskip(SKIP_3) | instid1(VALU_DEP_3)
	v_cmp_lt_f32_e64 s3, 0, v8
	v_cndmask_b32_e32 v5, v24, v19, vcc_lo
	v_cmp_class_f32_e64 vcc_lo, v0, 0x1f8
	v_div_fixup_f32 v0, v2, v15, v9
	v_cndmask_b32_e64 v2, v5, v26, s3
	v_cndmask_b32_e32 v4, 0x7fc00000, v4, vcc_lo
	s_delay_alu instid0(VALU_DEP_3) | instskip(SKIP_1) | instid1(VALU_DEP_2)
	v_dual_mul_f32 v0, v6, v0 :: v_dual_cndmask_b32 v1, 0x7fc00000, v1
	v_cmp_class_f32_e64 vcc_lo, v16, 0x260
	v_dual_mul_f32 v5, 0x37800000, v2 :: v_dual_mul_f32 v0, v0, v4
	s_delay_alu instid0(VALU_DEP_1) | instskip(NEXT) | instid1(VALU_DEP_1)
	v_cndmask_b32_e64 v2, v2, v5, s2
	v_dual_fmac_f32 v0, v3, v1 :: v_dual_cndmask_b32 v1, v2, v16
	s_delay_alu instid0(VALU_DEP_1) | instskip(NEXT) | instid1(VALU_DEP_1)
	v_mul_f32_e32 v0, 0x3f4c422a, v0
	v_div_scale_f32 v2, null, v1, v1, v0
	s_delay_alu instid0(VALU_DEP_1) | instskip(SKIP_2) | instid1(VALU_DEP_1)
	v_rcp_f32_e32 v3, v2
	s_waitcnt_depctr 0xfff
	v_fma_f32 v4, -v2, v3, 1.0
	v_fmac_f32_e32 v3, v4, v3
	v_div_scale_f32 v4, vcc_lo, v0, v1, v0
	s_delay_alu instid0(VALU_DEP_1) | instskip(NEXT) | instid1(VALU_DEP_1)
	v_mul_f32_e32 v5, v4, v3
	v_fma_f32 v6, -v2, v5, v4
	s_delay_alu instid0(VALU_DEP_1) | instskip(NEXT) | instid1(VALU_DEP_1)
	v_fmac_f32_e32 v5, v6, v3
	v_fma_f32 v2, -v2, v5, v4
	s_delay_alu instid0(VALU_DEP_1) | instskip(NEXT) | instid1(VALU_DEP_1)
	v_div_fmas_f32 v2, v2, v3, v5
	v_div_fixup_f32 v0, v2, v1, v0
.LBB23_320:
	s_or_b32 exec_lo, exec_lo, s5
	v_and_b32_e32 v4, 0xff, v43
	v_add_co_u32 v2, s2, s36, v42
	s_delay_alu instid0(VALU_DEP_1) | instskip(NEXT) | instid1(VALU_DEP_3)
	v_add_co_ci_u32_e64 v3, null, s37, 0, s2
	v_cmp_gt_i16_e32 vcc_lo, 11, v4
	s_mov_b32 s3, 0
	s_mov_b32 s4, -1
	s_mov_b32 s2, s64
	s_cbranch_vccnz .LBB23_327
; %bb.321:
	v_cmp_lt_i16_e32 vcc_lo, 25, v4
	s_cbranch_vccz .LBB23_368
; %bb.322:
	v_cmp_lt_i16_e32 vcc_lo, 28, v4
	s_cbranch_vccz .LBB23_370
	;; [unrolled: 3-line block ×4, first 2 shown]
; %bb.325:
	v_cmp_eq_u16_e32 vcc_lo, 46, v4
	s_mov_b32 s4, 0
	s_mov_b32 s2, -1
	s_cbranch_vccz .LBB23_381
; %bb.326:
	v_bfe_u32 v1, v0, 16, 1
	v_cmp_o_f32_e32 vcc_lo, v0, v0
	s_mov_b32 s3, -1
	s_mov_b32 s2, 0
	s_delay_alu instid0(VALU_DEP_2) | instskip(NEXT) | instid1(VALU_DEP_1)
	v_add3_u32 v1, v0, v1, 0x7fff
	v_lshrrev_b32_e32 v1, 16, v1
	s_delay_alu instid0(VALU_DEP_1)
	v_cndmask_b32_e32 v1, 0x7fc0, v1, vcc_lo
	global_store_b32 v[2:3], v1, off
	s_branch .LBB23_381
.LBB23_327:
	s_and_b32 vcc_lo, exec_lo, s4
	s_cbranch_vccz .LBB23_450
; %bb.328:
	v_cmp_gt_i16_e32 vcc_lo, 5, v4
	s_mov_b32 s3, -1
	s_cbranch_vccnz .LBB23_349
; %bb.329:
	v_cmp_gt_i16_e32 vcc_lo, 8, v4
	s_cbranch_vccnz .LBB23_339
; %bb.330:
	v_cmp_gt_i16_e32 vcc_lo, 9, v4
	s_cbranch_vccnz .LBB23_336
; %bb.331:
	v_cmp_lt_i16_e32 vcc_lo, 9, v4
	s_cbranch_vccz .LBB23_333
; %bb.332:
	v_cvt_f64_f32_e32 v[5:6], v0
	v_mov_b32_e32 v7, 0
	s_mov_b32 s3, 0
	s_delay_alu instid0(VALU_DEP_1)
	v_mov_b32_e32 v8, v7
	global_store_b128 v[2:3], v[5:8], off
.LBB23_333:
	s_and_not1_b32 vcc_lo, exec_lo, s3
	s_cbranch_vccnz .LBB23_335
; %bb.334:
	v_mov_b32_e32 v1, 0
	global_store_b64 v[2:3], v[0:1], off
.LBB23_335:
	s_mov_b32 s3, 0
.LBB23_336:
	s_delay_alu instid0(SALU_CYCLE_1)
	s_and_not1_b32 vcc_lo, exec_lo, s3
	s_cbranch_vccnz .LBB23_338
; %bb.337:
	v_cvt_f16_f32_e32 v1, v0
	s_delay_alu instid0(VALU_DEP_1)
	v_and_b32_e32 v1, 0xffff, v1
	global_store_b32 v[2:3], v1, off
.LBB23_338:
	s_mov_b32 s3, 0
.LBB23_339:
	s_delay_alu instid0(SALU_CYCLE_1)
	s_and_not1_b32 vcc_lo, exec_lo, s3
	s_cbranch_vccnz .LBB23_348
; %bb.340:
	v_cmp_gt_i16_e32 vcc_lo, 6, v4
	s_mov_b32 s3, -1
	s_cbranch_vccnz .LBB23_346
; %bb.341:
	v_cmp_lt_i16_e32 vcc_lo, 6, v4
	s_cbranch_vccz .LBB23_343
; %bb.342:
	v_cvt_f64_f32_e32 v[5:6], v0
	s_mov_b32 s3, 0
	global_store_b64 v[2:3], v[5:6], off
.LBB23_343:
	s_and_not1_b32 vcc_lo, exec_lo, s3
	s_cbranch_vccnz .LBB23_345
; %bb.344:
	global_store_b32 v[2:3], v0, off
.LBB23_345:
	s_mov_b32 s3, 0
.LBB23_346:
	s_delay_alu instid0(SALU_CYCLE_1)
	s_and_not1_b32 vcc_lo, exec_lo, s3
	s_cbranch_vccnz .LBB23_348
; %bb.347:
	v_cvt_f16_f32_e32 v1, v0
	global_store_b16 v[2:3], v1, off
.LBB23_348:
	s_mov_b32 s3, 0
.LBB23_349:
	s_delay_alu instid0(SALU_CYCLE_1)
	s_and_not1_b32 vcc_lo, exec_lo, s3
	s_cbranch_vccnz .LBB23_365
; %bb.350:
	v_cmp_gt_i16_e32 vcc_lo, 2, v4
	s_mov_b32 s3, -1
	s_cbranch_vccnz .LBB23_360
; %bb.351:
	v_cmp_gt_i16_e32 vcc_lo, 3, v4
	s_cbranch_vccnz .LBB23_357
; %bb.352:
	v_cmp_lt_i16_e32 vcc_lo, 3, v4
	s_cbranch_vccz .LBB23_354
; %bb.353:
	v_trunc_f32_e32 v1, v0
	s_mov_b32 s3, 0
	s_delay_alu instid0(VALU_DEP_1) | instskip(NEXT) | instid1(VALU_DEP_1)
	v_mul_f32_e64 v5, 0x2f800000, |v1|
	v_floor_f32_e32 v5, v5
	s_delay_alu instid0(VALU_DEP_1) | instskip(SKIP_2) | instid1(VALU_DEP_3)
	v_fma_f32 v6, 0xcf800000, v5, |v1|
	v_ashrrev_i32_e32 v1, 31, v1
	v_cvt_u32_f32_e32 v5, v5
	v_cvt_u32_f32_e32 v6, v6
	s_delay_alu instid0(VALU_DEP_2) | instskip(NEXT) | instid1(VALU_DEP_2)
	v_xor_b32_e32 v7, v5, v1
	v_xor_b32_e32 v6, v6, v1
	s_delay_alu instid0(VALU_DEP_1) | instskip(NEXT) | instid1(VALU_DEP_3)
	v_sub_co_u32 v5, vcc_lo, v6, v1
	v_sub_co_ci_u32_e32 v6, vcc_lo, v7, v1, vcc_lo
	global_store_b64 v[2:3], v[5:6], off
.LBB23_354:
	s_and_not1_b32 vcc_lo, exec_lo, s3
	s_cbranch_vccnz .LBB23_356
; %bb.355:
	v_cvt_i32_f32_e32 v1, v0
	global_store_b32 v[2:3], v1, off
.LBB23_356:
	s_mov_b32 s3, 0
.LBB23_357:
	s_delay_alu instid0(SALU_CYCLE_1)
	s_and_not1_b32 vcc_lo, exec_lo, s3
	s_cbranch_vccnz .LBB23_359
; %bb.358:
	v_cvt_i32_f32_e32 v1, v0
	global_store_b16 v[2:3], v1, off
.LBB23_359:
	s_mov_b32 s3, 0
.LBB23_360:
	s_delay_alu instid0(SALU_CYCLE_1)
	s_and_not1_b32 vcc_lo, exec_lo, s3
	s_cbranch_vccnz .LBB23_365
; %bb.361:
	v_cmp_lt_i16_e32 vcc_lo, 0, v4
	s_mov_b32 s3, -1
	s_cbranch_vccz .LBB23_363
; %bb.362:
	v_cvt_i32_f32_e32 v1, v0
	s_mov_b32 s3, 0
	global_store_b8 v[2:3], v1, off
.LBB23_363:
	s_and_not1_b32 vcc_lo, exec_lo, s3
	s_cbranch_vccnz .LBB23_365
; %bb.364:
	v_trunc_f32_e32 v0, v0
	s_delay_alu instid0(VALU_DEP_1) | instskip(NEXT) | instid1(VALU_DEP_1)
	v_mul_f32_e64 v1, 0x2f800000, |v0|
	v_floor_f32_e32 v1, v1
	s_delay_alu instid0(VALU_DEP_1) | instskip(SKIP_1) | instid1(VALU_DEP_2)
	v_fma_f32 v1, 0xcf800000, v1, |v0|
	v_ashrrev_i32_e32 v0, 31, v0
	v_cvt_u32_f32_e32 v1, v1
	s_delay_alu instid0(VALU_DEP_1) | instskip(NEXT) | instid1(VALU_DEP_1)
	v_xor_b32_e32 v1, v1, v0
	v_sub_nc_u32_e32 v0, v1, v0
	global_store_b8 v[2:3], v0, off
.LBB23_365:
	s_branch .LBB23_451
.LBB23_366:
	s_mov_b32 s3, 0
	s_branch .LBB23_563
.LBB23_367:
	s_mov_b32 s3, -1
	s_mov_b32 s67, s65
                                        ; implicit-def: $vgpr41
	s_branch .LBB23_459
.LBB23_368:
	s_mov_b32 s2, s64
	s_branch .LBB23_408
.LBB23_369:
	s_mov_b32 s3, -1
	s_mov_b32 s67, s65
                                        ; implicit-def: $vgpr41
	s_branch .LBB23_454
.LBB23_370:
	s_mov_b32 s2, s64
	s_branch .LBB23_391
.LBB23_371:
	s_mov_b32 s3, -1
	s_mov_b32 s67, s65
	s_branch .LBB23_376
.LBB23_372:
	s_mov_b32 s2, s64
	s_branch .LBB23_387
.LBB23_373:
	s_or_saveexec_b32 s5, s5
                                        ; implicit-def: $sgpr6
	s_delay_alu instid0(SALU_CYCLE_1)
	s_xor_b32 exec_lo, exec_lo, s5
	s_cbranch_execz .LBB23_82
.LBB23_374:
	v_add_f32_e64 v1, 0x42800000, |v0|
	s_and_not1_b32 s4, s4, exec_lo
	s_mov_b32 s6, 0
	s_delay_alu instid0(VALU_DEP_1) | instskip(NEXT) | instid1(VALU_DEP_1)
	v_and_b32_e32 v1, 0xff, v1
	v_cmp_ne_u32_e32 vcc_lo, 0, v1
	s_and_b32 s7, vcc_lo, exec_lo
	s_delay_alu instid0(SALU_CYCLE_1)
	s_or_b32 s4, s4, s7
	s_or_b32 exec_lo, exec_lo, s5
	v_mov_b32_e32 v5, s6
	s_and_saveexec_b32 s5, s4
	s_cbranch_execnz .LBB23_83
	s_branch .LBB23_84
.LBB23_375:
	s_mov_b32 s67, -1
.LBB23_376:
                                        ; implicit-def: $vgpr41
.LBB23_377:
	s_and_b32 vcc_lo, exec_lo, s3
	s_cbranch_vccz .LBB23_453
; %bb.378:
	v_cmp_eq_u16_e32 vcc_lo, 44, v44
	s_cbranch_vccz .LBB23_452
; %bb.379:
	global_load_u8 v2, v[0:1], off
	s_mov_b32 s67, 0
	s_mov_b32 s2, -1
	s_waitcnt vmcnt(0)
	v_lshlrev_b32_e32 v3, 23, v2
	v_cmp_ne_u32_e32 vcc_lo, 0xff, v2
	s_delay_alu instid0(VALU_DEP_2) | instskip(SKIP_1) | instid1(VALU_DEP_2)
	v_cndmask_b32_e32 v3, 0x7f800001, v3, vcc_lo
	v_cmp_ne_u32_e32 vcc_lo, 0, v2
	v_cndmask_b32_e32 v41, 0x400000, v3, vcc_lo
	s_branch .LBB23_453
.LBB23_380:
	s_mov_b32 s2, s64
.LBB23_381:
	s_and_b32 vcc_lo, exec_lo, s4
	s_cbranch_vccz .LBB23_386
; %bb.382:
	v_cmp_eq_u16_e32 vcc_lo, 44, v4
	s_mov_b32 s2, -1
	s_cbranch_vccz .LBB23_386
; %bb.383:
	v_bfe_u32 v5, v0, 23, 8
	v_mov_b32_e32 v1, 0xff
	s_mov_b32 s3, exec_lo
	s_delay_alu instid0(VALU_DEP_2)
	v_cmpx_ne_u32_e32 0xff, v5
; %bb.384:
	v_and_b32_e32 v1, 0x400000, v0
	v_and_or_b32 v5, 0x3fffff, v0, v5
	s_delay_alu instid0(VALU_DEP_2) | instskip(NEXT) | instid1(VALU_DEP_2)
	v_cmp_ne_u32_e32 vcc_lo, 0, v1
	v_cmp_ne_u32_e64 s2, 0, v5
	v_lshrrev_b32_e32 v1, 23, v0
	s_delay_alu instid0(VALU_DEP_2) | instskip(NEXT) | instid1(SALU_CYCLE_1)
	s_and_b32 s2, vcc_lo, s2
	v_cndmask_b32_e64 v5, 0, 1, s2
	s_delay_alu instid0(VALU_DEP_1)
	v_add_nc_u32_e32 v1, v1, v5
; %bb.385:
	s_or_b32 exec_lo, exec_lo, s3
	s_mov_b32 s3, -1
	s_mov_b32 s2, 0
	global_store_b8 v[2:3], v1, off
.LBB23_386:
	s_mov_b32 s4, 0
.LBB23_387:
	s_delay_alu instid0(SALU_CYCLE_1)
	s_and_b32 vcc_lo, exec_lo, s4
	s_cbranch_vccz .LBB23_390
; %bb.388:
	v_cmp_eq_u16_e32 vcc_lo, 29, v4
	s_mov_b32 s2, -1
	s_cbranch_vccz .LBB23_390
; %bb.389:
	v_trunc_f32_e32 v1, v0
	s_mov_b32 s3, -1
	s_mov_b32 s2, 0
	s_mov_b32 s4, 0
	s_delay_alu instid0(VALU_DEP_1) | instskip(NEXT) | instid1(VALU_DEP_1)
	v_mul_f32_e32 v5, 0x2f800000, v1
	v_floor_f32_e32 v5, v5
	s_delay_alu instid0(VALU_DEP_1) | instskip(SKIP_1) | instid1(VALU_DEP_2)
	v_fmamk_f32 v1, v5, 0xcf800000, v1
	v_cvt_u32_f32_e32 v6, v5
	v_cvt_u32_f32_e32 v5, v1
	global_store_b64 v[2:3], v[5:6], off
	s_branch .LBB23_391
.LBB23_390:
	s_mov_b32 s4, 0
.LBB23_391:
	s_delay_alu instid0(SALU_CYCLE_1)
	s_and_b32 vcc_lo, exec_lo, s4
	s_cbranch_vccz .LBB23_407
; %bb.392:
	v_cmp_gt_i16_e32 vcc_lo, 27, v4
	s_mov_b32 s3, -1
	s_cbranch_vccnz .LBB23_398
; %bb.393:
	v_cmp_lt_i16_e32 vcc_lo, 27, v4
	s_cbranch_vccz .LBB23_395
; %bb.394:
	v_cvt_u32_f32_e32 v1, v0
	s_mov_b32 s3, 0
	global_store_b32 v[2:3], v1, off
.LBB23_395:
	s_and_not1_b32 vcc_lo, exec_lo, s3
	s_cbranch_vccnz .LBB23_397
; %bb.396:
	v_cvt_u32_f32_e32 v1, v0
	global_store_b16 v[2:3], v1, off
.LBB23_397:
	s_mov_b32 s3, 0
.LBB23_398:
	s_delay_alu instid0(SALU_CYCLE_1)
	s_and_not1_b32 vcc_lo, exec_lo, s3
	s_cbranch_vccnz .LBB23_406
; %bb.399:
	v_and_b32_e32 v1, 0x7fffffff, v0
	v_mov_b32_e32 v5, 0x80
	s_mov_b32 s3, exec_lo
	s_delay_alu instid0(VALU_DEP_2)
	v_cmpx_gt_u32_e32 0x43800000, v1
	s_cbranch_execz .LBB23_405
; %bb.400:
	v_cmp_lt_u32_e32 vcc_lo, 0x3bffffff, v1
	s_mov_b32 s4, 0
                                        ; implicit-def: $vgpr1
	s_and_saveexec_b32 s5, vcc_lo
	s_delay_alu instid0(SALU_CYCLE_1)
	s_xor_b32 s5, exec_lo, s5
	s_cbranch_execz .LBB23_591
; %bb.401:
	v_bfe_u32 v1, v0, 20, 1
	s_mov_b32 s4, exec_lo
	s_delay_alu instid0(VALU_DEP_1) | instskip(NEXT) | instid1(VALU_DEP_1)
	v_add3_u32 v1, v0, v1, 0x487ffff
	v_lshrrev_b32_e32 v1, 20, v1
	s_or_saveexec_b32 s5, s5
                                        ; implicit-def: $sgpr6
	s_delay_alu instid0(SALU_CYCLE_1)
	s_xor_b32 exec_lo, exec_lo, s5
	s_cbranch_execnz .LBB23_592
.LBB23_402:
	s_or_b32 exec_lo, exec_lo, s5
	v_mov_b32_e32 v5, s6
	s_and_saveexec_b32 s5, s4
.LBB23_403:
	v_lshrrev_b32_e32 v5, 24, v0
	s_delay_alu instid0(VALU_DEP_1)
	v_and_or_b32 v5, 0x80, v5, v1
.LBB23_404:
	s_or_b32 exec_lo, exec_lo, s5
.LBB23_405:
	s_delay_alu instid0(SALU_CYCLE_1)
	s_or_b32 exec_lo, exec_lo, s3
	global_store_b8 v[2:3], v5, off
.LBB23_406:
	s_mov_b32 s3, -1
.LBB23_407:
	s_mov_b32 s4, 0
.LBB23_408:
	s_delay_alu instid0(SALU_CYCLE_1)
	s_and_b32 vcc_lo, exec_lo, s4
	s_cbranch_vccz .LBB23_449
; %bb.409:
	v_cmp_lt_i16_e32 vcc_lo, 22, v4
	s_mov_b32 s4, -1
	s_cbranch_vccz .LBB23_441
; %bb.410:
	v_cmp_gt_i16_e32 vcc_lo, 24, v4
	s_mov_b32 s3, -1
	s_cbranch_vccnz .LBB23_430
; %bb.411:
	v_cmp_lt_i16_e32 vcc_lo, 24, v4
	s_cbranch_vccz .LBB23_419
; %bb.412:
	v_and_b32_e32 v1, 0x7fffffff, v0
	v_mov_b32_e32 v5, 0x80
	s_mov_b32 s3, exec_lo
	s_delay_alu instid0(VALU_DEP_2)
	v_cmpx_gt_u32_e32 0x47800000, v1
	s_cbranch_execz .LBB23_418
; %bb.413:
	v_cmp_lt_u32_e32 vcc_lo, 0x37ffffff, v1
	s_mov_b32 s4, 0
                                        ; implicit-def: $vgpr1
	s_and_saveexec_b32 s5, vcc_lo
	s_delay_alu instid0(SALU_CYCLE_1)
	s_xor_b32 s5, exec_lo, s5
	s_cbranch_execz .LBB23_594
; %bb.414:
	v_bfe_u32 v1, v0, 21, 1
	s_mov_b32 s4, exec_lo
	s_delay_alu instid0(VALU_DEP_1) | instskip(NEXT) | instid1(VALU_DEP_1)
	v_add3_u32 v1, v0, v1, 0x88fffff
	v_lshrrev_b32_e32 v1, 21, v1
	s_or_saveexec_b32 s5, s5
                                        ; implicit-def: $sgpr6
	s_delay_alu instid0(SALU_CYCLE_1)
	s_xor_b32 exec_lo, exec_lo, s5
	s_cbranch_execnz .LBB23_595
.LBB23_415:
	s_or_b32 exec_lo, exec_lo, s5
	v_mov_b32_e32 v5, s6
	s_and_saveexec_b32 s5, s4
.LBB23_416:
	v_lshrrev_b32_e32 v5, 24, v0
	s_delay_alu instid0(VALU_DEP_1)
	v_and_or_b32 v5, 0x80, v5, v1
.LBB23_417:
	s_or_b32 exec_lo, exec_lo, s5
.LBB23_418:
	s_delay_alu instid0(SALU_CYCLE_1)
	s_or_b32 exec_lo, exec_lo, s3
	s_mov_b32 s3, 0
	global_store_b8 v[2:3], v5, off
.LBB23_419:
	s_and_b32 vcc_lo, exec_lo, s3
	s_cbranch_vccz .LBB23_429
; %bb.420:
	v_and_b32_e32 v5, 0x7fffffff, v0
	s_mov_b32 s3, exec_lo
                                        ; implicit-def: $vgpr1
	s_delay_alu instid0(VALU_DEP_1)
	v_cmpx_gt_u32_e32 0x43f00000, v5
	s_xor_b32 s3, exec_lo, s3
	s_cbranch_execz .LBB23_426
; %bb.421:
	s_mov_b32 s4, exec_lo
                                        ; implicit-def: $vgpr1
	v_cmpx_lt_u32_e32 0x3c7fffff, v5
	s_xor_b32 s4, exec_lo, s4
; %bb.422:
	v_bfe_u32 v1, v0, 20, 1
	s_delay_alu instid0(VALU_DEP_1) | instskip(NEXT) | instid1(VALU_DEP_1)
	v_add3_u32 v1, v0, v1, 0x407ffff
	v_and_b32_e32 v5, 0xff00000, v1
	v_lshrrev_b32_e32 v1, 20, v1
	s_delay_alu instid0(VALU_DEP_2) | instskip(NEXT) | instid1(VALU_DEP_2)
	v_cmp_ne_u32_e32 vcc_lo, 0x7f00000, v5
	v_cndmask_b32_e32 v1, 0x7e, v1, vcc_lo
; %bb.423:
	s_and_not1_saveexec_b32 s4, s4
; %bb.424:
	v_add_f32_e64 v1, 0x46800000, |v0|
; %bb.425:
	s_or_b32 exec_lo, exec_lo, s4
                                        ; implicit-def: $vgpr5
.LBB23_426:
	s_and_not1_saveexec_b32 s3, s3
; %bb.427:
	v_mov_b32_e32 v1, 0x7f
	v_cmp_lt_u32_e32 vcc_lo, 0x7f800000, v5
	s_delay_alu instid0(VALU_DEP_2)
	v_cndmask_b32_e32 v1, 0x7e, v1, vcc_lo
; %bb.428:
	s_or_b32 exec_lo, exec_lo, s3
	v_lshrrev_b32_e32 v5, 24, v0
	s_delay_alu instid0(VALU_DEP_1)
	v_and_or_b32 v1, 0x80, v5, v1
	global_store_b8 v[2:3], v1, off
.LBB23_429:
	s_mov_b32 s3, 0
.LBB23_430:
	s_delay_alu instid0(SALU_CYCLE_1)
	s_and_not1_b32 vcc_lo, exec_lo, s3
	s_cbranch_vccnz .LBB23_440
; %bb.431:
	v_and_b32_e32 v5, 0x7fffffff, v0
	s_mov_b32 s3, exec_lo
                                        ; implicit-def: $vgpr1
	s_delay_alu instid0(VALU_DEP_1)
	v_cmpx_gt_u32_e32 0x47800000, v5
	s_xor_b32 s3, exec_lo, s3
	s_cbranch_execz .LBB23_437
; %bb.432:
	s_mov_b32 s4, exec_lo
                                        ; implicit-def: $vgpr1
	v_cmpx_lt_u32_e32 0x387fffff, v5
	s_xor_b32 s4, exec_lo, s4
; %bb.433:
	v_bfe_u32 v1, v0, 21, 1
	s_delay_alu instid0(VALU_DEP_1) | instskip(NEXT) | instid1(VALU_DEP_1)
	v_add3_u32 v1, v0, v1, 0x80fffff
	v_lshrrev_b32_e32 v1, 21, v1
; %bb.434:
	s_and_not1_saveexec_b32 s4, s4
; %bb.435:
	v_add_f32_e64 v1, 0x43000000, |v0|
; %bb.436:
	s_or_b32 exec_lo, exec_lo, s4
                                        ; implicit-def: $vgpr5
.LBB23_437:
	s_and_not1_saveexec_b32 s3, s3
; %bb.438:
	v_mov_b32_e32 v1, 0x7f
	v_cmp_lt_u32_e32 vcc_lo, 0x7f800000, v5
	s_delay_alu instid0(VALU_DEP_2)
	v_cndmask_b32_e32 v1, 0x7c, v1, vcc_lo
; %bb.439:
	s_or_b32 exec_lo, exec_lo, s3
	v_lshrrev_b32_e32 v5, 24, v0
	s_delay_alu instid0(VALU_DEP_1)
	v_and_or_b32 v1, 0x80, v5, v1
	global_store_b8 v[2:3], v1, off
.LBB23_440:
	s_mov_b32 s4, 0
	s_mov_b32 s3, -1
.LBB23_441:
	s_and_not1_b32 vcc_lo, exec_lo, s4
	s_cbranch_vccnz .LBB23_449
; %bb.442:
	v_cmp_lt_i16_e32 vcc_lo, 14, v4
	s_mov_b32 s4, -1
	s_cbranch_vccz .LBB23_446
; %bb.443:
	v_cmp_eq_u16_e32 vcc_lo, 15, v4
	s_mov_b32 s2, -1
	s_cbranch_vccz .LBB23_445
; %bb.444:
	v_bfe_u32 v1, v0, 16, 1
	v_cmp_o_f32_e32 vcc_lo, v0, v0
	s_mov_b32 s3, -1
	s_mov_b32 s2, 0
	s_delay_alu instid0(VALU_DEP_2) | instskip(NEXT) | instid1(VALU_DEP_1)
	v_add3_u32 v1, v0, v1, 0x7fff
	v_lshrrev_b32_e32 v1, 16, v1
	s_delay_alu instid0(VALU_DEP_1)
	v_cndmask_b32_e32 v1, 0x7fc0, v1, vcc_lo
	global_store_b16 v[2:3], v1, off
.LBB23_445:
	s_mov_b32 s4, 0
.LBB23_446:
	s_delay_alu instid0(SALU_CYCLE_1)
	s_and_b32 vcc_lo, exec_lo, s4
	s_cbranch_vccz .LBB23_449
; %bb.447:
	v_cmp_eq_u16_e32 vcc_lo, 11, v4
	s_mov_b32 s2, -1
	s_cbranch_vccz .LBB23_449
; %bb.448:
	v_cmp_neq_f32_e32 vcc_lo, 0, v0
	s_mov_b32 s2, 0
	s_mov_b32 s3, -1
	v_cndmask_b32_e64 v1, 0, 1, vcc_lo
	global_store_b8 v[2:3], v1, off
.LBB23_449:
.LBB23_450:
	s_and_not1_b32 vcc_lo, exec_lo, s3
	s_cbranch_vccnz .LBB23_366
.LBB23_451:
	v_add_nc_u32_e32 v46, 0x80, v46
	s_mov_b32 s3, -1
	s_branch .LBB23_564
.LBB23_452:
	s_mov_b32 s67, -1
                                        ; implicit-def: $vgpr41
.LBB23_453:
	s_mov_b32 s3, 0
.LBB23_454:
	s_delay_alu instid0(SALU_CYCLE_1)
	s_and_b32 vcc_lo, exec_lo, s3
	s_cbranch_vccz .LBB23_458
; %bb.455:
	v_cmp_eq_u16_e32 vcc_lo, 29, v44
	s_cbranch_vccz .LBB23_457
; %bb.456:
	global_load_b64 v[2:3], v[0:1], off
	s_mov_b32 s2, -1
	s_mov_b32 s67, 0
	s_mov_b32 s3, 0
	s_waitcnt vmcnt(0)
	v_clz_i32_u32_e32 v4, v3
	s_delay_alu instid0(VALU_DEP_1) | instskip(NEXT) | instid1(VALU_DEP_1)
	v_min_u32_e32 v4, 32, v4
	v_lshlrev_b64 v[2:3], v4, v[2:3]
	s_delay_alu instid0(VALU_DEP_1) | instskip(NEXT) | instid1(VALU_DEP_1)
	v_min_u32_e32 v2, 1, v2
	v_or_b32_e32 v2, v3, v2
	v_sub_nc_u32_e32 v3, 32, v4
	s_delay_alu instid0(VALU_DEP_2) | instskip(NEXT) | instid1(VALU_DEP_1)
	v_cvt_f32_u32_e32 v2, v2
	v_ldexp_f32 v41, v2, v3
	s_branch .LBB23_459
.LBB23_457:
	s_mov_b32 s67, -1
                                        ; implicit-def: $vgpr41
.LBB23_458:
	s_mov_b32 s3, 0
.LBB23_459:
	s_delay_alu instid0(SALU_CYCLE_1)
	s_and_b32 vcc_lo, exec_lo, s3
	s_cbranch_vccz .LBB23_477
; %bb.460:
	v_cmp_gt_i16_e32 vcc_lo, 27, v44
	s_cbranch_vccnz .LBB23_463
; %bb.461:
	v_cmp_lt_i16_e32 vcc_lo, 27, v44
	s_cbranch_vccz .LBB23_464
; %bb.462:
	global_load_b32 v2, v[0:1], off
	s_mov_b32 s2, 0
	s_waitcnt vmcnt(0)
	v_cvt_f32_u32_e32 v41, v2
	s_branch .LBB23_465
.LBB23_463:
	s_mov_b32 s2, -1
                                        ; implicit-def: $vgpr41
	s_branch .LBB23_468
.LBB23_464:
	s_mov_b32 s2, -1
                                        ; implicit-def: $vgpr41
.LBB23_465:
	s_delay_alu instid0(SALU_CYCLE_1)
	s_and_not1_b32 vcc_lo, exec_lo, s2
	s_cbranch_vccnz .LBB23_467
; %bb.466:
	global_load_u16 v2, v[0:1], off
	s_waitcnt vmcnt(0)
	v_cvt_f32_u32_e32 v41, v2
.LBB23_467:
	s_mov_b32 s2, 0
.LBB23_468:
	s_delay_alu instid0(SALU_CYCLE_1)
	s_and_not1_b32 vcc_lo, exec_lo, s2
	s_cbranch_vccnz .LBB23_476
; %bb.469:
	global_load_u8 v2, v[0:1], off
	s_mov_b32 s2, 0
	s_mov_b32 s4, exec_lo
                                        ; implicit-def: $sgpr3
	s_waitcnt vmcnt(0)
	v_cmpx_lt_i16_e32 0x7f, v2
	s_xor_b32 s4, exec_lo, s4
	s_cbranch_execz .LBB23_490
; %bb.470:
	s_mov_b32 s2, -1
	s_mov_b32 s5, exec_lo
                                        ; implicit-def: $sgpr3
	v_cmpx_eq_u16_e32 0x80, v2
; %bb.471:
	s_mov_b32 s3, 0x7f800001
	s_xor_b32 s2, exec_lo, -1
; %bb.472:
	s_or_b32 exec_lo, exec_lo, s5
	s_delay_alu instid0(SALU_CYCLE_1)
	s_and_b32 s2, s2, exec_lo
	s_or_saveexec_b32 s4, s4
	v_mov_b32_e32 v41, s3
	s_xor_b32 exec_lo, exec_lo, s4
	s_cbranch_execnz .LBB23_491
.LBB23_473:
	s_or_b32 exec_lo, exec_lo, s4
	s_and_saveexec_b32 s3, s2
	s_cbranch_execz .LBB23_475
.LBB23_474:
	v_and_b32_e32 v3, 0xffff, v2
	v_lshlrev_b32_e32 v2, 24, v2
	s_delay_alu instid0(VALU_DEP_2) | instskip(NEXT) | instid1(VALU_DEP_2)
	v_and_b32_e32 v4, 7, v3
	v_and_b32_e32 v2, 0x80000000, v2
	s_delay_alu instid0(VALU_DEP_2) | instskip(NEXT) | instid1(VALU_DEP_1)
	v_clz_i32_u32_e32 v5, v4
	v_min_u32_e32 v5, 32, v5
	s_delay_alu instid0(VALU_DEP_1) | instskip(SKIP_1) | instid1(VALU_DEP_2)
	v_subrev_nc_u32_e32 v6, 28, v5
	v_sub_nc_u32_e32 v5, 29, v5
	v_lshlrev_b32_e32 v6, v6, v3
	v_bfe_u32 v3, v3, 3, 4
	s_delay_alu instid0(VALU_DEP_2) | instskip(NEXT) | instid1(VALU_DEP_2)
	v_and_b32_e32 v6, 7, v6
	v_cmp_eq_u32_e32 vcc_lo, 0, v3
	s_delay_alu instid0(VALU_DEP_2) | instskip(NEXT) | instid1(VALU_DEP_1)
	v_dual_cndmask_b32 v3, v3, v5 :: v_dual_cndmask_b32 v4, v4, v6
	v_lshl_add_u32 v3, v3, 23, 0x3b800000
	s_delay_alu instid0(VALU_DEP_2) | instskip(NEXT) | instid1(VALU_DEP_1)
	v_lshlrev_b32_e32 v4, 20, v4
	v_or3_b32 v41, v2, v3, v4
.LBB23_475:
	s_or_b32 exec_lo, exec_lo, s3
.LBB23_476:
	s_mov_b32 s2, -1
.LBB23_477:
	s_mov_b32 s3, 0
.LBB23_478:
	s_delay_alu instid0(SALU_CYCLE_1)
	s_and_b32 vcc_lo, exec_lo, s3
	s_cbranch_vccz .LBB23_513
; %bb.479:
	v_cmp_lt_i16_e32 vcc_lo, 22, v44
	s_cbranch_vccz .LBB23_489
; %bb.480:
	v_cmp_gt_i16_e32 vcc_lo, 24, v44
	s_cbranch_vccnz .LBB23_492
; %bb.481:
	v_cmp_lt_i16_e32 vcc_lo, 24, v44
	s_cbranch_vccz .LBB23_493
; %bb.482:
	global_load_u8 v2, v[0:1], off
	s_mov_b32 s2, 0
	s_mov_b32 s4, exec_lo
                                        ; implicit-def: $sgpr3
	s_waitcnt vmcnt(0)
	v_cmpx_lt_i16_e32 0x7f, v2
	s_xor_b32 s4, exec_lo, s4
	s_cbranch_execz .LBB23_505
; %bb.483:
	s_mov_b32 s2, -1
	s_mov_b32 s5, exec_lo
                                        ; implicit-def: $sgpr3
	v_cmpx_eq_u16_e32 0x80, v2
; %bb.484:
	s_mov_b32 s3, 0x7f800001
	s_xor_b32 s2, exec_lo, -1
; %bb.485:
	s_or_b32 exec_lo, exec_lo, s5
	s_delay_alu instid0(SALU_CYCLE_1)
	s_and_b32 s2, s2, exec_lo
	s_or_saveexec_b32 s4, s4
	v_mov_b32_e32 v41, s3
	s_xor_b32 exec_lo, exec_lo, s4
	s_cbranch_execnz .LBB23_506
.LBB23_486:
	s_or_b32 exec_lo, exec_lo, s4
	s_and_saveexec_b32 s3, s2
	s_cbranch_execz .LBB23_488
.LBB23_487:
	v_and_b32_e32 v3, 0xffff, v2
	v_lshlrev_b32_e32 v2, 24, v2
	s_delay_alu instid0(VALU_DEP_2) | instskip(NEXT) | instid1(VALU_DEP_2)
	v_and_b32_e32 v4, 3, v3
	v_and_b32_e32 v2, 0x80000000, v2
	s_delay_alu instid0(VALU_DEP_2) | instskip(NEXT) | instid1(VALU_DEP_1)
	v_clz_i32_u32_e32 v5, v4
	v_min_u32_e32 v5, 32, v5
	s_delay_alu instid0(VALU_DEP_1) | instskip(SKIP_1) | instid1(VALU_DEP_2)
	v_subrev_nc_u32_e32 v6, 29, v5
	v_sub_nc_u32_e32 v5, 30, v5
	v_lshlrev_b32_e32 v6, v6, v3
	v_bfe_u32 v3, v3, 2, 5
	s_delay_alu instid0(VALU_DEP_2) | instskip(NEXT) | instid1(VALU_DEP_2)
	v_and_b32_e32 v6, 3, v6
	v_cmp_eq_u32_e32 vcc_lo, 0, v3
	s_delay_alu instid0(VALU_DEP_2) | instskip(NEXT) | instid1(VALU_DEP_1)
	v_dual_cndmask_b32 v3, v3, v5 :: v_dual_cndmask_b32 v4, v4, v6
	v_lshl_add_u32 v3, v3, 23, 0x37800000
	s_delay_alu instid0(VALU_DEP_2) | instskip(NEXT) | instid1(VALU_DEP_1)
	v_lshlrev_b32_e32 v4, 21, v4
	v_or3_b32 v41, v2, v3, v4
.LBB23_488:
	s_or_b32 exec_lo, exec_lo, s3
	s_mov_b32 s2, 0
	s_branch .LBB23_494
.LBB23_489:
	s_mov_b32 s3, -1
                                        ; implicit-def: $vgpr41
	s_branch .LBB23_500
.LBB23_490:
	s_or_saveexec_b32 s4, s4
	v_mov_b32_e32 v41, s3
	s_xor_b32 exec_lo, exec_lo, s4
	s_cbranch_execz .LBB23_473
.LBB23_491:
	v_cmp_ne_u16_e32 vcc_lo, 0, v2
	v_mov_b32_e32 v41, 0
	s_and_not1_b32 s2, s2, exec_lo
	s_and_b32 s3, vcc_lo, exec_lo
	s_delay_alu instid0(SALU_CYCLE_1)
	s_or_b32 s2, s2, s3
	s_or_b32 exec_lo, exec_lo, s4
	s_and_saveexec_b32 s3, s2
	s_cbranch_execnz .LBB23_474
	s_branch .LBB23_475
.LBB23_492:
	s_mov_b32 s2, -1
                                        ; implicit-def: $vgpr41
	s_branch .LBB23_497
.LBB23_493:
	s_mov_b32 s2, -1
                                        ; implicit-def: $vgpr41
.LBB23_494:
	s_delay_alu instid0(SALU_CYCLE_1)
	s_and_b32 vcc_lo, exec_lo, s2
	s_cbranch_vccz .LBB23_496
; %bb.495:
	global_load_u8 v2, v[0:1], off
	s_waitcnt vmcnt(0)
	v_lshlrev_b32_e32 v2, 24, v2
	s_delay_alu instid0(VALU_DEP_1) | instskip(NEXT) | instid1(VALU_DEP_1)
	v_and_b32_e32 v3, 0x7f000000, v2
	v_clz_i32_u32_e32 v4, v3
	v_add_nc_u32_e32 v6, 0x1000000, v3
	v_cmp_ne_u32_e32 vcc_lo, 0, v3
	s_delay_alu instid0(VALU_DEP_3) | instskip(NEXT) | instid1(VALU_DEP_1)
	v_min_u32_e32 v4, 32, v4
	v_sub_nc_u32_e64 v4, v4, 4 clamp
	s_delay_alu instid0(VALU_DEP_1) | instskip(SKIP_1) | instid1(VALU_DEP_2)
	v_lshlrev_b32_e32 v5, v4, v3
	v_lshlrev_b32_e32 v4, 23, v4
	v_lshrrev_b32_e32 v5, 4, v5
	s_delay_alu instid0(VALU_DEP_1) | instskip(SKIP_1) | instid1(VALU_DEP_2)
	v_sub_nc_u32_e32 v4, v5, v4
	v_ashrrev_i32_e32 v5, 8, v6
	v_add_nc_u32_e32 v4, 0x3c000000, v4
	s_delay_alu instid0(VALU_DEP_1) | instskip(NEXT) | instid1(VALU_DEP_1)
	v_and_or_b32 v4, 0x7f800000, v5, v4
	v_cndmask_b32_e32 v3, 0, v4, vcc_lo
	s_delay_alu instid0(VALU_DEP_1)
	v_and_or_b32 v41, 0x80000000, v2, v3
.LBB23_496:
	s_mov_b32 s2, 0
.LBB23_497:
	s_delay_alu instid0(SALU_CYCLE_1)
	s_and_not1_b32 vcc_lo, exec_lo, s2
	s_cbranch_vccnz .LBB23_499
; %bb.498:
	global_load_u8 v2, v[0:1], off
	s_waitcnt vmcnt(0)
	v_lshlrev_b32_e32 v3, 25, v2
	v_lshlrev_b16 v2, 8, v2
	s_delay_alu instid0(VALU_DEP_2) | instskip(NEXT) | instid1(VALU_DEP_2)
	v_lshrrev_b32_e32 v4, 4, v3
	v_and_or_b32 v5, 0x7f00, v2, 0.5
	v_bfe_i32 v2, v2, 0, 16
	s_delay_alu instid0(VALU_DEP_3) | instskip(NEXT) | instid1(VALU_DEP_1)
	v_or_b32_e32 v4, 0x70000000, v4
	v_dual_add_f32 v5, -0.5, v5 :: v_dual_mul_f32 v4, 0x7800000, v4
	v_cmp_gt_u32_e32 vcc_lo, 0x8000000, v3
	s_delay_alu instid0(VALU_DEP_2) | instskip(NEXT) | instid1(VALU_DEP_1)
	v_cndmask_b32_e32 v3, v4, v5, vcc_lo
	v_and_or_b32 v41, 0x80000000, v2, v3
.LBB23_499:
	s_mov_b32 s3, 0
	s_mov_b32 s2, -1
.LBB23_500:
	s_and_not1_b32 vcc_lo, exec_lo, s3
	s_cbranch_vccnz .LBB23_513
; %bb.501:
	v_cmp_lt_i16_e32 vcc_lo, 14, v44
	s_cbranch_vccz .LBB23_504
; %bb.502:
	v_cmp_eq_u16_e32 vcc_lo, 15, v44
	s_cbranch_vccz .LBB23_507
; %bb.503:
	global_load_u16 v2, v[0:1], off
	s_mov_b32 s2, -1
	s_mov_b32 s67, 0
	s_waitcnt vmcnt(0)
	v_lshlrev_b32_e32 v41, 16, v2
	s_branch .LBB23_508
.LBB23_504:
	s_mov_b32 s3, -1
                                        ; implicit-def: $vgpr41
	s_branch .LBB23_509
.LBB23_505:
	s_or_saveexec_b32 s4, s4
	v_mov_b32_e32 v41, s3
	s_xor_b32 exec_lo, exec_lo, s4
	s_cbranch_execz .LBB23_486
.LBB23_506:
	v_cmp_ne_u16_e32 vcc_lo, 0, v2
	v_mov_b32_e32 v41, 0
	s_and_not1_b32 s2, s2, exec_lo
	s_and_b32 s3, vcc_lo, exec_lo
	s_delay_alu instid0(SALU_CYCLE_1)
	s_or_b32 s2, s2, s3
	s_or_b32 exec_lo, exec_lo, s4
	s_and_saveexec_b32 s3, s2
	s_cbranch_execnz .LBB23_487
	s_branch .LBB23_488
.LBB23_507:
	s_mov_b32 s67, -1
                                        ; implicit-def: $vgpr41
.LBB23_508:
	s_mov_b32 s3, 0
.LBB23_509:
	s_delay_alu instid0(SALU_CYCLE_1)
	s_and_b32 vcc_lo, exec_lo, s3
	s_cbranch_vccz .LBB23_513
; %bb.510:
	v_cmp_eq_u16_e32 vcc_lo, 11, v44
	s_cbranch_vccz .LBB23_512
; %bb.511:
	global_load_u8 v2, v[0:1], off
	s_mov_b32 s67, 0
	s_mov_b32 s2, -1
	s_waitcnt vmcnt(0)
	v_cmp_ne_u16_e32 vcc_lo, 0, v2
	v_cndmask_b32_e64 v41, 0, 1.0, vcc_lo
	s_branch .LBB23_513
.LBB23_512:
	s_mov_b32 s67, -1
                                        ; implicit-def: $vgpr41
.LBB23_513:
	s_branch .LBB23_302
.LBB23_514:
	v_cmp_gt_i16_e32 vcc_lo, 5, v44
	s_cbranch_vccnz .LBB23_519
; %bb.515:
	v_cmp_gt_i16_e32 vcc_lo, 8, v44
	s_cbranch_vccnz .LBB23_520
; %bb.516:
	;; [unrolled: 3-line block ×3, first 2 shown]
	v_cmp_lt_i16_e32 vcc_lo, 9, v44
	s_cbranch_vccz .LBB23_522
; %bb.518:
	global_load_b64 v[2:3], v[0:1], off
	s_mov_b32 s2, 0
	s_waitcnt vmcnt(0)
	v_cvt_f32_f64_e32 v41, v[2:3]
	s_branch .LBB23_523
.LBB23_519:
	s_mov_b32 s2, -1
                                        ; implicit-def: $vgpr41
	s_branch .LBB23_541
.LBB23_520:
	s_mov_b32 s2, -1
                                        ; implicit-def: $vgpr41
	s_branch .LBB23_529
.LBB23_521:
	s_mov_b32 s2, -1
                                        ; implicit-def: $vgpr41
	s_branch .LBB23_526
.LBB23_522:
	s_mov_b32 s2, -1
                                        ; implicit-def: $vgpr41
.LBB23_523:
	s_delay_alu instid0(SALU_CYCLE_1)
	s_and_not1_b32 vcc_lo, exec_lo, s2
	s_cbranch_vccnz .LBB23_525
; %bb.524:
	global_load_b32 v41, v[0:1], off
.LBB23_525:
	s_mov_b32 s2, 0
.LBB23_526:
	s_delay_alu instid0(SALU_CYCLE_1)
	s_and_not1_b32 vcc_lo, exec_lo, s2
	s_cbranch_vccnz .LBB23_528
; %bb.527:
	global_load_b32 v2, v[0:1], off
	s_waitcnt vmcnt(0)
	v_cvt_f32_f16_e32 v41, v2
.LBB23_528:
	s_mov_b32 s2, 0
.LBB23_529:
	s_delay_alu instid0(SALU_CYCLE_1)
	s_and_not1_b32 vcc_lo, exec_lo, s2
	s_cbranch_vccnz .LBB23_540
; %bb.530:
	v_cmp_gt_i16_e32 vcc_lo, 6, v44
	s_cbranch_vccnz .LBB23_533
; %bb.531:
	v_cmp_lt_i16_e32 vcc_lo, 6, v44
	s_cbranch_vccz .LBB23_534
; %bb.532:
	global_load_b64 v[2:3], v[0:1], off
	s_mov_b32 s2, 0
	s_waitcnt vmcnt(0)
	v_cvt_f32_f64_e32 v41, v[2:3]
	s_branch .LBB23_535
.LBB23_533:
	s_mov_b32 s2, -1
                                        ; implicit-def: $vgpr41
	s_branch .LBB23_538
.LBB23_534:
	s_mov_b32 s2, -1
                                        ; implicit-def: $vgpr41
.LBB23_535:
	s_delay_alu instid0(SALU_CYCLE_1)
	s_and_not1_b32 vcc_lo, exec_lo, s2
	s_cbranch_vccnz .LBB23_537
; %bb.536:
	global_load_b32 v41, v[0:1], off
.LBB23_537:
	s_mov_b32 s2, 0
.LBB23_538:
	s_delay_alu instid0(SALU_CYCLE_1)
	s_and_not1_b32 vcc_lo, exec_lo, s2
	s_cbranch_vccnz .LBB23_540
; %bb.539:
	global_load_u16 v2, v[0:1], off
	s_waitcnt vmcnt(0)
	v_cvt_f32_f16_e32 v41, v2
.LBB23_540:
	s_mov_b32 s2, 0
.LBB23_541:
	s_delay_alu instid0(SALU_CYCLE_1)
	s_and_not1_b32 vcc_lo, exec_lo, s2
	s_cbranch_vccnz .LBB23_561
; %bb.542:
	v_cmp_gt_i16_e32 vcc_lo, 2, v44
	s_cbranch_vccnz .LBB23_546
; %bb.543:
	v_cmp_gt_i16_e32 vcc_lo, 3, v44
	s_cbranch_vccnz .LBB23_547
; %bb.544:
	v_cmp_lt_i16_e32 vcc_lo, 3, v44
	s_cbranch_vccz .LBB23_548
; %bb.545:
	global_load_b64 v[2:3], v[0:1], off
	s_mov_b32 s2, 0
	s_waitcnt vmcnt(0)
	v_xor_b32_e32 v4, v2, v3
	v_cls_i32_e32 v5, v3
	s_delay_alu instid0(VALU_DEP_2) | instskip(NEXT) | instid1(VALU_DEP_2)
	v_ashrrev_i32_e32 v4, 31, v4
	v_add_nc_u32_e32 v5, -1, v5
	s_delay_alu instid0(VALU_DEP_2) | instskip(NEXT) | instid1(VALU_DEP_1)
	v_add_nc_u32_e32 v4, 32, v4
	v_min_u32_e32 v4, v5, v4
	s_delay_alu instid0(VALU_DEP_1) | instskip(NEXT) | instid1(VALU_DEP_1)
	v_lshlrev_b64 v[2:3], v4, v[2:3]
	v_min_u32_e32 v2, 1, v2
	s_delay_alu instid0(VALU_DEP_1) | instskip(SKIP_1) | instid1(VALU_DEP_2)
	v_or_b32_e32 v2, v3, v2
	v_sub_nc_u32_e32 v3, 32, v4
	v_cvt_f32_i32_e32 v2, v2
	s_delay_alu instid0(VALU_DEP_1)
	v_ldexp_f32 v41, v2, v3
	s_branch .LBB23_549
.LBB23_546:
	s_mov_b32 s2, -1
                                        ; implicit-def: $vgpr41
	s_branch .LBB23_555
.LBB23_547:
	s_mov_b32 s2, -1
                                        ; implicit-def: $vgpr41
	s_branch .LBB23_552
.LBB23_548:
	s_mov_b32 s2, -1
                                        ; implicit-def: $vgpr41
.LBB23_549:
	s_delay_alu instid0(SALU_CYCLE_1)
	s_and_not1_b32 vcc_lo, exec_lo, s2
	s_cbranch_vccnz .LBB23_551
; %bb.550:
	global_load_b32 v2, v[0:1], off
	s_waitcnt vmcnt(0)
	v_cvt_f32_i32_e32 v41, v2
.LBB23_551:
	s_mov_b32 s2, 0
.LBB23_552:
	s_delay_alu instid0(SALU_CYCLE_1)
	s_and_not1_b32 vcc_lo, exec_lo, s2
	s_cbranch_vccnz .LBB23_554
; %bb.553:
	global_load_i16 v2, v[0:1], off
	s_waitcnt vmcnt(0)
	v_cvt_f32_i32_e32 v41, v2
.LBB23_554:
	s_mov_b32 s2, 0
.LBB23_555:
	s_delay_alu instid0(SALU_CYCLE_1)
	s_and_not1_b32 vcc_lo, exec_lo, s2
	s_cbranch_vccnz .LBB23_561
; %bb.556:
	v_cmp_lt_i16_e32 vcc_lo, 0, v44
	s_mov_b32 s2, 0
	s_cbranch_vccz .LBB23_558
; %bb.557:
	global_load_i8 v2, v[0:1], off
	s_waitcnt vmcnt(0)
	v_cvt_f32_i32_e32 v41, v2
	s_branch .LBB23_559
.LBB23_558:
	s_mov_b32 s2, -1
                                        ; implicit-def: $vgpr41
.LBB23_559:
	s_delay_alu instid0(SALU_CYCLE_1)
	s_and_not1_b32 vcc_lo, exec_lo, s2
	s_cbranch_vccnz .LBB23_561
; %bb.560:
	global_load_u8 v0, v[0:1], off
	s_waitcnt vmcnt(0)
	v_cvt_f32_ubyte0_e32 v41, v0
.LBB23_561:
	s_branch .LBB23_303
.LBB23_562:
	s_mov_b32 s3, 0
	s_mov_b32 s2, s64
.LBB23_563:
                                        ; implicit-def: $vgpr46
.LBB23_564:
	s_and_not1_b32 s4, s64, exec_lo
	s_and_b32 s2, s2, exec_lo
	s_and_not1_b32 s5, s65, exec_lo
	s_and_b32 s6, s67, exec_lo
	s_or_b32 s68, s4, s2
	s_or_b32 s67, s5, s6
	s_or_not1_b32 s2, s3, exec_lo
.LBB23_565:
	s_or_b32 exec_lo, exec_lo, s69
	s_mov_b32 s3, 0
	s_mov_b32 s4, 0
	;; [unrolled: 1-line block ×3, first 2 shown]
                                        ; implicit-def: $vgpr0_vgpr1
                                        ; implicit-def: $vgpr42
                                        ; implicit-def: $vgpr41
	s_and_saveexec_b32 s69, s2
	s_cbranch_execz .LBB23_953
; %bb.566:
	s_mov_b32 s5, -1
	s_mov_b32 s6, s67
	s_mov_b32 s7, s68
	s_mov_b32 s70, exec_lo
	v_cmpx_gt_i32_e64 s61, v46
	s_cbranch_execz .LBB23_854
; %bb.567:
	s_and_not1_b32 vcc_lo, exec_lo, s58
	s_cbranch_vccnz .LBB23_572
; %bb.568:
	v_mov_b32_e32 v42, 0
	v_mov_b32_e32 v0, 0
	s_and_not1_b32 vcc_lo, exec_lo, s63
	s_mov_b32 s6, 0
	s_cbranch_vccnz .LBB23_577
; %bb.569:
	v_mov_b32_e32 v42, 0
	s_add_i32 s8, s62, 1
	s_cmp_eq_u32 s56, 2
	s_mov_b32 s7, 0
	s_cbranch_scc1 .LBB23_573
; %bb.570:
	v_dual_mov_b32 v0, 0 :: v_dual_mov_b32 v1, v46
	v_mov_b32_e32 v42, 0
	s_and_b32 s7, s8, 28
	s_mov_b32 s9, 0
	s_mov_b64 s[2:3], s[52:53]
	s_mov_b64 s[4:5], s[48:49]
.LBB23_571:                             ; =>This Inner Loop Header: Depth=1
	s_clause 0x1
	s_load_b256 s[12:19], s[4:5], 0x4
	s_load_b128 s[28:31], s[4:5], 0x24
	s_load_b256 s[20:27], s[2:3], 0x0
	s_add_u32 s4, s4, 48
	s_addc_u32 s5, s5, 0
	s_add_i32 s9, s9, 4
	s_add_u32 s2, s2, 32
	s_addc_u32 s3, s3, 0
	s_cmp_eq_u32 s7, s9
	s_waitcnt lgkmcnt(0)
	v_mul_hi_u32 v2, s13, v1
	s_delay_alu instid0(VALU_DEP_1) | instskip(NEXT) | instid1(VALU_DEP_1)
	v_add_nc_u32_e32 v2, v1, v2
	v_lshrrev_b32_e32 v2, s14, v2
	s_delay_alu instid0(VALU_DEP_1) | instskip(SKIP_1) | instid1(VALU_DEP_2)
	v_mul_hi_u32 v3, s16, v2
	v_mul_lo_u32 v5, v2, s12
	v_add_nc_u32_e32 v3, v2, v3
	s_delay_alu instid0(VALU_DEP_2) | instskip(NEXT) | instid1(VALU_DEP_2)
	v_sub_nc_u32_e32 v1, v1, v5
	v_lshrrev_b32_e32 v3, s17, v3
	s_delay_alu instid0(VALU_DEP_2) | instskip(SKIP_1) | instid1(VALU_DEP_3)
	v_mul_lo_u32 v5, v1, s20
	v_mul_lo_u32 v7, v1, s21
	v_mul_hi_u32 v4, s19, v3
	s_delay_alu instid0(VALU_DEP_1) | instskip(NEXT) | instid1(VALU_DEP_1)
	v_add_nc_u32_e32 v4, v3, v4
	v_lshrrev_b32_e32 v4, s28, v4
	s_delay_alu instid0(VALU_DEP_1) | instskip(SKIP_1) | instid1(VALU_DEP_2)
	v_mul_hi_u32 v6, s30, v4
	v_mul_lo_u32 v8, v4, s18
	v_add_nc_u32_e32 v1, v4, v6
	v_mul_lo_u32 v6, v3, s15
	s_delay_alu instid0(VALU_DEP_3) | instskip(NEXT) | instid1(VALU_DEP_3)
	v_sub_nc_u32_e32 v3, v3, v8
	v_lshrrev_b32_e32 v1, s31, v1
	s_delay_alu instid0(VALU_DEP_2) | instskip(SKIP_2) | instid1(VALU_DEP_4)
	v_mul_lo_u32 v8, v3, s24
	v_mul_lo_u32 v3, v3, s25
	v_sub_nc_u32_e32 v2, v2, v6
	v_mul_lo_u32 v9, v1, s29
	s_delay_alu instid0(VALU_DEP_2) | instskip(SKIP_1) | instid1(VALU_DEP_3)
	v_mul_lo_u32 v6, v2, s22
	v_mul_lo_u32 v2, v2, s23
	v_sub_nc_u32_e32 v4, v4, v9
	s_delay_alu instid0(VALU_DEP_3) | instskip(NEXT) | instid1(VALU_DEP_2)
	v_add3_u32 v5, v5, v42, v6
	v_mul_lo_u32 v9, v4, s26
	v_mul_lo_u32 v4, v4, s27
	v_add3_u32 v0, v7, v0, v2
	s_delay_alu instid0(VALU_DEP_3) | instskip(NEXT) | instid1(VALU_DEP_2)
	v_add3_u32 v42, v8, v5, v9
	v_add3_u32 v0, v3, v0, v4
	s_cbranch_scc0 .LBB23_571
	s_branch .LBB23_574
.LBB23_572:
	s_mov_b32 s6, -1
                                        ; implicit-def: $vgpr42
                                        ; implicit-def: $vgpr0
	s_branch .LBB23_577
.LBB23_573:
	v_dual_mov_b32 v1, v46 :: v_dual_mov_b32 v0, 0
.LBB23_574:
	s_and_b32 s8, s8, 3
	s_delay_alu instid0(SALU_CYCLE_1)
	s_cmp_eq_u32 s8, 0
	s_cbranch_scc1 .LBB23_577
; %bb.575:
	s_lshl_b32 s2, s7, 3
	s_mul_i32 s4, s7, 12
	s_add_u32 s2, s2, s48
	s_addc_u32 s3, s49, 0
	s_add_u32 s2, s2, 0xc4
	s_addc_u32 s3, s3, 0
	;; [unrolled: 2-line block ×3, first 2 shown]
	.p2align	6
.LBB23_576:                             ; =>This Inner Loop Header: Depth=1
	s_clause 0x1
	s_load_b64 s[10:11], s[4:5], 0x4
	s_load_b32 s7, s[4:5], 0xc
	s_load_b64 s[12:13], s[2:3], 0x0
	s_add_u32 s4, s4, 12
	s_addc_u32 s5, s5, 0
	s_add_u32 s2, s2, 8
	s_addc_u32 s3, s3, 0
	s_add_i32 s8, s8, -1
	s_delay_alu instid0(SALU_CYCLE_1) | instskip(SKIP_2) | instid1(VALU_DEP_1)
	s_cmp_lg_u32 s8, 0
	s_waitcnt lgkmcnt(0)
	v_mul_hi_u32 v2, s11, v1
	v_add_nc_u32_e32 v2, v1, v2
	s_delay_alu instid0(VALU_DEP_1) | instskip(NEXT) | instid1(VALU_DEP_1)
	v_lshrrev_b32_e32 v5, s7, v2
	v_mul_lo_u32 v2, v5, s10
	s_delay_alu instid0(VALU_DEP_1) | instskip(NEXT) | instid1(VALU_DEP_1)
	v_sub_nc_u32_e32 v1, v1, v2
	v_mad_u64_u32 v[2:3], null, v1, s12, v[42:43]
	v_mad_u64_u32 v[3:4], null, v1, s13, v[0:1]
	s_delay_alu instid0(VALU_DEP_2) | instskip(NEXT) | instid1(VALU_DEP_2)
	v_dual_mov_b32 v1, v5 :: v_dual_mov_b32 v42, v2
	v_mov_b32_e32 v0, v3
	s_cbranch_scc1 .LBB23_576
.LBB23_577:
	s_and_not1_b32 vcc_lo, exec_lo, s6
	s_cbranch_vccnz .LBB23_580
; %bb.578:
	s_waitcnt lgkmcnt(0)
	v_mul_hi_u32 v0, s45, v46
	s_and_not1_b32 vcc_lo, exec_lo, s60
	s_delay_alu instid0(VALU_DEP_1) | instskip(NEXT) | instid1(VALU_DEP_1)
	v_add_nc_u32_e32 v0, v46, v0
	v_lshrrev_b32_e32 v1, s46, v0
	s_delay_alu instid0(VALU_DEP_1) | instskip(NEXT) | instid1(VALU_DEP_1)
	v_mul_lo_u32 v0, v1, s44
	v_sub_nc_u32_e32 v0, v46, v0
	s_delay_alu instid0(VALU_DEP_1)
	v_mul_lo_u32 v42, v0, s40
	v_mul_lo_u32 v0, v0, s41
	s_cbranch_vccnz .LBB23_580
; %bb.579:
	v_mul_hi_u32 v2, s50, v1
	s_delay_alu instid0(VALU_DEP_1) | instskip(NEXT) | instid1(VALU_DEP_1)
	v_add_nc_u32_e32 v2, v1, v2
	v_lshrrev_b32_e32 v2, s51, v2
	s_delay_alu instid0(VALU_DEP_1) | instskip(NEXT) | instid1(VALU_DEP_1)
	v_mul_lo_u32 v2, v2, s47
	v_sub_nc_u32_e32 v4, v1, v2
	s_delay_alu instid0(VALU_DEP_1) | instskip(NEXT) | instid1(VALU_DEP_1)
	v_mad_u64_u32 v[1:2], null, v4, s42, v[42:43]
	v_mad_u64_u32 v[2:3], null, v4, s43, v[0:1]
	v_mov_b32_e32 v42, v1
	s_delay_alu instid0(VALU_DEP_2)
	v_mov_b32_e32 v0, v2
.LBB23_580:
	v_cmp_gt_i16_e32 vcc_lo, 11, v44
	s_waitcnt lgkmcnt(0)
	s_delay_alu instid0(VALU_DEP_2) | instskip(NEXT) | instid1(VALU_DEP_1)
	v_add_co_u32 v0, s2, s38, v0
	v_add_co_ci_u32_e64 v1, null, s39, 0, s2
	s_mov_b32 s2, 0
	s_cbranch_vccnz .LBB23_587
; %bb.581:
	v_cmp_lt_i16_e32 vcc_lo, 25, v44
	s_cbranch_vccz .LBB23_588
; %bb.582:
	v_cmp_lt_i16_e32 vcc_lo, 28, v44
	s_cbranch_vccz .LBB23_589
	;; [unrolled: 3-line block ×4, first 2 shown]
; %bb.585:
	v_cmp_eq_u16_e32 vcc_lo, 46, v44
	s_mov_b32 s3, 0
	s_cbranch_vccz .LBB23_596
; %bb.586:
	global_load_b32 v2, v[0:1], off
	s_mov_b32 s2, -1
	s_mov_b32 s71, 0
	s_waitcnt vmcnt(0)
	v_lshlrev_b32_e32 v41, 16, v2
	s_branch .LBB23_598
.LBB23_587:
	s_mov_b32 s3, -1
	s_mov_b32 s71, s67
                                        ; implicit-def: $vgpr41
	s_branch .LBB23_663
.LBB23_588:
	s_mov_b32 s3, -1
	s_mov_b32 s71, s67
                                        ; implicit-def: $vgpr41
	s_branch .LBB23_627
.LBB23_589:
	s_mov_b32 s3, -1
	s_mov_b32 s71, s67
                                        ; implicit-def: $vgpr41
	s_branch .LBB23_608
.LBB23_590:
	s_mov_b32 s3, -1
	s_mov_b32 s71, s67
                                        ; implicit-def: $vgpr41
	s_branch .LBB23_603
.LBB23_591:
	s_or_saveexec_b32 s5, s5
                                        ; implicit-def: $sgpr6
	s_delay_alu instid0(SALU_CYCLE_1)
	s_xor_b32 exec_lo, exec_lo, s5
	s_cbranch_execz .LBB23_402
.LBB23_592:
	v_add_f32_e64 v1, 0x46000000, |v0|
	s_and_not1_b32 s4, s4, exec_lo
	s_mov_b32 s6, 0
	s_delay_alu instid0(VALU_DEP_1) | instskip(NEXT) | instid1(VALU_DEP_1)
	v_and_b32_e32 v1, 0xff, v1
	v_cmp_ne_u32_e32 vcc_lo, 0, v1
	s_and_b32 s7, vcc_lo, exec_lo
	s_delay_alu instid0(SALU_CYCLE_1)
	s_or_b32 s4, s4, s7
	s_or_b32 exec_lo, exec_lo, s5
	v_mov_b32_e32 v5, s6
	s_and_saveexec_b32 s5, s4
	s_cbranch_execnz .LBB23_403
	s_branch .LBB23_404
.LBB23_593:
	s_mov_b32 s3, -1
	s_mov_b32 s71, s67
	s_branch .LBB23_597
.LBB23_594:
	s_or_saveexec_b32 s5, s5
                                        ; implicit-def: $sgpr6
	s_delay_alu instid0(SALU_CYCLE_1)
	s_xor_b32 exec_lo, exec_lo, s5
	s_cbranch_execz .LBB23_415
.LBB23_595:
	v_add_f32_e64 v1, 0x42800000, |v0|
	s_and_not1_b32 s4, s4, exec_lo
	s_mov_b32 s6, 0
	s_delay_alu instid0(VALU_DEP_1) | instskip(NEXT) | instid1(VALU_DEP_1)
	v_and_b32_e32 v1, 0xff, v1
	v_cmp_ne_u32_e32 vcc_lo, 0, v1
	s_and_b32 s7, vcc_lo, exec_lo
	s_delay_alu instid0(SALU_CYCLE_1)
	s_or_b32 s4, s4, s7
	s_or_b32 exec_lo, exec_lo, s5
	v_mov_b32_e32 v5, s6
	s_and_saveexec_b32 s5, s4
	s_cbranch_execnz .LBB23_416
	s_branch .LBB23_417
.LBB23_596:
	s_mov_b32 s71, -1
.LBB23_597:
                                        ; implicit-def: $vgpr41
.LBB23_598:
	s_and_b32 vcc_lo, exec_lo, s3
	s_cbranch_vccz .LBB23_602
; %bb.599:
	v_cmp_eq_u16_e32 vcc_lo, 44, v44
	s_cbranch_vccz .LBB23_601
; %bb.600:
	global_load_u8 v2, v[0:1], off
	s_mov_b32 s71, 0
	s_mov_b32 s2, -1
	s_waitcnt vmcnt(0)
	v_lshlrev_b32_e32 v3, 23, v2
	v_cmp_ne_u32_e32 vcc_lo, 0xff, v2
	s_delay_alu instid0(VALU_DEP_2) | instskip(SKIP_1) | instid1(VALU_DEP_2)
	v_cndmask_b32_e32 v3, 0x7f800001, v3, vcc_lo
	v_cmp_ne_u32_e32 vcc_lo, 0, v2
	v_cndmask_b32_e32 v41, 0x400000, v3, vcc_lo
	s_branch .LBB23_602
.LBB23_601:
	s_mov_b32 s71, -1
                                        ; implicit-def: $vgpr41
.LBB23_602:
	s_mov_b32 s3, 0
.LBB23_603:
	s_delay_alu instid0(SALU_CYCLE_1)
	s_and_b32 vcc_lo, exec_lo, s3
	s_cbranch_vccz .LBB23_607
; %bb.604:
	v_cmp_eq_u16_e32 vcc_lo, 29, v44
	s_cbranch_vccz .LBB23_606
; %bb.605:
	global_load_b64 v[2:3], v[0:1], off
	s_mov_b32 s2, -1
	s_mov_b32 s71, 0
	s_mov_b32 s3, 0
	s_waitcnt vmcnt(0)
	v_clz_i32_u32_e32 v4, v3
	s_delay_alu instid0(VALU_DEP_1) | instskip(NEXT) | instid1(VALU_DEP_1)
	v_min_u32_e32 v4, 32, v4
	v_lshlrev_b64 v[2:3], v4, v[2:3]
	s_delay_alu instid0(VALU_DEP_1) | instskip(NEXT) | instid1(VALU_DEP_1)
	v_min_u32_e32 v2, 1, v2
	v_or_b32_e32 v2, v3, v2
	v_sub_nc_u32_e32 v3, 32, v4
	s_delay_alu instid0(VALU_DEP_2) | instskip(NEXT) | instid1(VALU_DEP_1)
	v_cvt_f32_u32_e32 v2, v2
	v_ldexp_f32 v41, v2, v3
	s_branch .LBB23_608
.LBB23_606:
	s_mov_b32 s71, -1
                                        ; implicit-def: $vgpr41
.LBB23_607:
	s_mov_b32 s3, 0
.LBB23_608:
	s_delay_alu instid0(SALU_CYCLE_1)
	s_and_b32 vcc_lo, exec_lo, s3
	s_cbranch_vccz .LBB23_626
; %bb.609:
	v_cmp_gt_i16_e32 vcc_lo, 27, v44
	s_cbranch_vccnz .LBB23_612
; %bb.610:
	v_cmp_lt_i16_e32 vcc_lo, 27, v44
	s_cbranch_vccz .LBB23_613
; %bb.611:
	global_load_b32 v2, v[0:1], off
	s_mov_b32 s2, 0
	s_waitcnt vmcnt(0)
	v_cvt_f32_u32_e32 v41, v2
	s_branch .LBB23_614
.LBB23_612:
	s_mov_b32 s2, -1
                                        ; implicit-def: $vgpr41
	s_branch .LBB23_617
.LBB23_613:
	s_mov_b32 s2, -1
                                        ; implicit-def: $vgpr41
.LBB23_614:
	s_delay_alu instid0(SALU_CYCLE_1)
	s_and_not1_b32 vcc_lo, exec_lo, s2
	s_cbranch_vccnz .LBB23_616
; %bb.615:
	global_load_u16 v2, v[0:1], off
	s_waitcnt vmcnt(0)
	v_cvt_f32_u32_e32 v41, v2
.LBB23_616:
	s_mov_b32 s2, 0
.LBB23_617:
	s_delay_alu instid0(SALU_CYCLE_1)
	s_and_not1_b32 vcc_lo, exec_lo, s2
	s_cbranch_vccnz .LBB23_625
; %bb.618:
	global_load_u8 v2, v[0:1], off
	s_mov_b32 s2, 0
	s_mov_b32 s4, exec_lo
                                        ; implicit-def: $sgpr3
	s_waitcnt vmcnt(0)
	v_cmpx_lt_i16_e32 0x7f, v2
	s_xor_b32 s4, exec_lo, s4
	s_cbranch_execz .LBB23_639
; %bb.619:
	s_mov_b32 s2, -1
	s_mov_b32 s5, exec_lo
                                        ; implicit-def: $sgpr3
	v_cmpx_eq_u16_e32 0x80, v2
; %bb.620:
	s_mov_b32 s3, 0x7f800001
	s_xor_b32 s2, exec_lo, -1
; %bb.621:
	s_or_b32 exec_lo, exec_lo, s5
	s_delay_alu instid0(SALU_CYCLE_1)
	s_and_b32 s2, s2, exec_lo
	s_or_saveexec_b32 s4, s4
	v_mov_b32_e32 v41, s3
	s_xor_b32 exec_lo, exec_lo, s4
	s_cbranch_execnz .LBB23_640
.LBB23_622:
	s_or_b32 exec_lo, exec_lo, s4
	s_and_saveexec_b32 s3, s2
	s_cbranch_execz .LBB23_624
.LBB23_623:
	v_and_b32_e32 v3, 0xffff, v2
	v_lshlrev_b32_e32 v2, 24, v2
	s_delay_alu instid0(VALU_DEP_2) | instskip(NEXT) | instid1(VALU_DEP_2)
	v_and_b32_e32 v4, 7, v3
	v_and_b32_e32 v2, 0x80000000, v2
	s_delay_alu instid0(VALU_DEP_2) | instskip(NEXT) | instid1(VALU_DEP_1)
	v_clz_i32_u32_e32 v5, v4
	v_min_u32_e32 v5, 32, v5
	s_delay_alu instid0(VALU_DEP_1) | instskip(SKIP_1) | instid1(VALU_DEP_2)
	v_subrev_nc_u32_e32 v6, 28, v5
	v_sub_nc_u32_e32 v5, 29, v5
	v_lshlrev_b32_e32 v6, v6, v3
	v_bfe_u32 v3, v3, 3, 4
	s_delay_alu instid0(VALU_DEP_2) | instskip(NEXT) | instid1(VALU_DEP_2)
	v_and_b32_e32 v6, 7, v6
	v_cmp_eq_u32_e32 vcc_lo, 0, v3
	s_delay_alu instid0(VALU_DEP_2) | instskip(NEXT) | instid1(VALU_DEP_1)
	v_dual_cndmask_b32 v3, v3, v5 :: v_dual_cndmask_b32 v4, v4, v6
	v_lshl_add_u32 v3, v3, 23, 0x3b800000
	s_delay_alu instid0(VALU_DEP_2) | instskip(NEXT) | instid1(VALU_DEP_1)
	v_lshlrev_b32_e32 v4, 20, v4
	v_or3_b32 v41, v2, v3, v4
.LBB23_624:
	s_or_b32 exec_lo, exec_lo, s3
.LBB23_625:
	s_mov_b32 s2, -1
.LBB23_626:
	s_mov_b32 s3, 0
.LBB23_627:
	s_delay_alu instid0(SALU_CYCLE_1)
	s_and_b32 vcc_lo, exec_lo, s3
	s_cbranch_vccz .LBB23_662
; %bb.628:
	v_cmp_lt_i16_e32 vcc_lo, 22, v44
	s_cbranch_vccz .LBB23_638
; %bb.629:
	v_cmp_gt_i16_e32 vcc_lo, 24, v44
	s_cbranch_vccnz .LBB23_641
; %bb.630:
	v_cmp_lt_i16_e32 vcc_lo, 24, v44
	s_cbranch_vccz .LBB23_642
; %bb.631:
	global_load_u8 v2, v[0:1], off
	s_mov_b32 s2, 0
	s_mov_b32 s4, exec_lo
                                        ; implicit-def: $sgpr3
	s_waitcnt vmcnt(0)
	v_cmpx_lt_i16_e32 0x7f, v2
	s_xor_b32 s4, exec_lo, s4
	s_cbranch_execz .LBB23_654
; %bb.632:
	s_mov_b32 s2, -1
	s_mov_b32 s5, exec_lo
                                        ; implicit-def: $sgpr3
	v_cmpx_eq_u16_e32 0x80, v2
; %bb.633:
	s_mov_b32 s3, 0x7f800001
	s_xor_b32 s2, exec_lo, -1
; %bb.634:
	s_or_b32 exec_lo, exec_lo, s5
	s_delay_alu instid0(SALU_CYCLE_1)
	s_and_b32 s2, s2, exec_lo
	s_or_saveexec_b32 s4, s4
	v_mov_b32_e32 v41, s3
	s_xor_b32 exec_lo, exec_lo, s4
	s_cbranch_execnz .LBB23_655
.LBB23_635:
	s_or_b32 exec_lo, exec_lo, s4
	s_and_saveexec_b32 s3, s2
	s_cbranch_execz .LBB23_637
.LBB23_636:
	v_and_b32_e32 v3, 0xffff, v2
	v_lshlrev_b32_e32 v2, 24, v2
	s_delay_alu instid0(VALU_DEP_2) | instskip(NEXT) | instid1(VALU_DEP_2)
	v_and_b32_e32 v4, 3, v3
	v_and_b32_e32 v2, 0x80000000, v2
	s_delay_alu instid0(VALU_DEP_2) | instskip(NEXT) | instid1(VALU_DEP_1)
	v_clz_i32_u32_e32 v5, v4
	v_min_u32_e32 v5, 32, v5
	s_delay_alu instid0(VALU_DEP_1) | instskip(SKIP_1) | instid1(VALU_DEP_2)
	v_subrev_nc_u32_e32 v6, 29, v5
	v_sub_nc_u32_e32 v5, 30, v5
	v_lshlrev_b32_e32 v6, v6, v3
	v_bfe_u32 v3, v3, 2, 5
	s_delay_alu instid0(VALU_DEP_2) | instskip(NEXT) | instid1(VALU_DEP_2)
	v_and_b32_e32 v6, 3, v6
	v_cmp_eq_u32_e32 vcc_lo, 0, v3
	s_delay_alu instid0(VALU_DEP_2) | instskip(NEXT) | instid1(VALU_DEP_1)
	v_dual_cndmask_b32 v3, v3, v5 :: v_dual_cndmask_b32 v4, v4, v6
	v_lshl_add_u32 v3, v3, 23, 0x37800000
	s_delay_alu instid0(VALU_DEP_2) | instskip(NEXT) | instid1(VALU_DEP_1)
	v_lshlrev_b32_e32 v4, 21, v4
	v_or3_b32 v41, v2, v3, v4
.LBB23_637:
	s_or_b32 exec_lo, exec_lo, s3
	s_mov_b32 s2, 0
	s_branch .LBB23_643
.LBB23_638:
	s_mov_b32 s3, -1
                                        ; implicit-def: $vgpr41
	s_branch .LBB23_649
.LBB23_639:
	s_or_saveexec_b32 s4, s4
	v_mov_b32_e32 v41, s3
	s_xor_b32 exec_lo, exec_lo, s4
	s_cbranch_execz .LBB23_622
.LBB23_640:
	v_cmp_ne_u16_e32 vcc_lo, 0, v2
	v_mov_b32_e32 v41, 0
	s_and_not1_b32 s2, s2, exec_lo
	s_and_b32 s3, vcc_lo, exec_lo
	s_delay_alu instid0(SALU_CYCLE_1)
	s_or_b32 s2, s2, s3
	s_or_b32 exec_lo, exec_lo, s4
	s_and_saveexec_b32 s3, s2
	s_cbranch_execnz .LBB23_623
	s_branch .LBB23_624
.LBB23_641:
	s_mov_b32 s2, -1
                                        ; implicit-def: $vgpr41
	s_branch .LBB23_646
.LBB23_642:
	s_mov_b32 s2, -1
                                        ; implicit-def: $vgpr41
.LBB23_643:
	s_delay_alu instid0(SALU_CYCLE_1)
	s_and_b32 vcc_lo, exec_lo, s2
	s_cbranch_vccz .LBB23_645
; %bb.644:
	global_load_u8 v2, v[0:1], off
	s_waitcnt vmcnt(0)
	v_lshlrev_b32_e32 v2, 24, v2
	s_delay_alu instid0(VALU_DEP_1) | instskip(NEXT) | instid1(VALU_DEP_1)
	v_and_b32_e32 v3, 0x7f000000, v2
	v_clz_i32_u32_e32 v4, v3
	v_add_nc_u32_e32 v6, 0x1000000, v3
	v_cmp_ne_u32_e32 vcc_lo, 0, v3
	s_delay_alu instid0(VALU_DEP_3) | instskip(NEXT) | instid1(VALU_DEP_1)
	v_min_u32_e32 v4, 32, v4
	v_sub_nc_u32_e64 v4, v4, 4 clamp
	s_delay_alu instid0(VALU_DEP_1) | instskip(SKIP_1) | instid1(VALU_DEP_2)
	v_lshlrev_b32_e32 v5, v4, v3
	v_lshlrev_b32_e32 v4, 23, v4
	v_lshrrev_b32_e32 v5, 4, v5
	s_delay_alu instid0(VALU_DEP_1) | instskip(SKIP_1) | instid1(VALU_DEP_2)
	v_sub_nc_u32_e32 v4, v5, v4
	v_ashrrev_i32_e32 v5, 8, v6
	v_add_nc_u32_e32 v4, 0x3c000000, v4
	s_delay_alu instid0(VALU_DEP_1) | instskip(NEXT) | instid1(VALU_DEP_1)
	v_and_or_b32 v4, 0x7f800000, v5, v4
	v_cndmask_b32_e32 v3, 0, v4, vcc_lo
	s_delay_alu instid0(VALU_DEP_1)
	v_and_or_b32 v41, 0x80000000, v2, v3
.LBB23_645:
	s_mov_b32 s2, 0
.LBB23_646:
	s_delay_alu instid0(SALU_CYCLE_1)
	s_and_not1_b32 vcc_lo, exec_lo, s2
	s_cbranch_vccnz .LBB23_648
; %bb.647:
	global_load_u8 v2, v[0:1], off
	s_waitcnt vmcnt(0)
	v_lshlrev_b32_e32 v3, 25, v2
	v_lshlrev_b16 v2, 8, v2
	s_delay_alu instid0(VALU_DEP_2) | instskip(NEXT) | instid1(VALU_DEP_2)
	v_lshrrev_b32_e32 v4, 4, v3
	v_and_or_b32 v5, 0x7f00, v2, 0.5
	v_bfe_i32 v2, v2, 0, 16
	s_delay_alu instid0(VALU_DEP_3) | instskip(NEXT) | instid1(VALU_DEP_1)
	v_or_b32_e32 v4, 0x70000000, v4
	v_dual_add_f32 v5, -0.5, v5 :: v_dual_mul_f32 v4, 0x7800000, v4
	v_cmp_gt_u32_e32 vcc_lo, 0x8000000, v3
	s_delay_alu instid0(VALU_DEP_2) | instskip(NEXT) | instid1(VALU_DEP_1)
	v_cndmask_b32_e32 v3, v4, v5, vcc_lo
	v_and_or_b32 v41, 0x80000000, v2, v3
.LBB23_648:
	s_mov_b32 s3, 0
	s_mov_b32 s2, -1
.LBB23_649:
	s_and_not1_b32 vcc_lo, exec_lo, s3
	s_cbranch_vccnz .LBB23_662
; %bb.650:
	v_cmp_lt_i16_e32 vcc_lo, 14, v44
	s_cbranch_vccz .LBB23_653
; %bb.651:
	v_cmp_eq_u16_e32 vcc_lo, 15, v44
	s_cbranch_vccz .LBB23_656
; %bb.652:
	global_load_u16 v2, v[0:1], off
	s_mov_b32 s2, -1
	s_mov_b32 s71, 0
	s_waitcnt vmcnt(0)
	v_lshlrev_b32_e32 v41, 16, v2
	s_branch .LBB23_657
.LBB23_653:
	s_mov_b32 s3, -1
                                        ; implicit-def: $vgpr41
	s_branch .LBB23_658
.LBB23_654:
	s_or_saveexec_b32 s4, s4
	v_mov_b32_e32 v41, s3
	s_xor_b32 exec_lo, exec_lo, s4
	s_cbranch_execz .LBB23_635
.LBB23_655:
	v_cmp_ne_u16_e32 vcc_lo, 0, v2
	v_mov_b32_e32 v41, 0
	s_and_not1_b32 s2, s2, exec_lo
	s_and_b32 s3, vcc_lo, exec_lo
	s_delay_alu instid0(SALU_CYCLE_1)
	s_or_b32 s2, s2, s3
	s_or_b32 exec_lo, exec_lo, s4
	s_and_saveexec_b32 s3, s2
	s_cbranch_execnz .LBB23_636
	s_branch .LBB23_637
.LBB23_656:
	s_mov_b32 s71, -1
                                        ; implicit-def: $vgpr41
.LBB23_657:
	s_mov_b32 s3, 0
.LBB23_658:
	s_delay_alu instid0(SALU_CYCLE_1)
	s_and_b32 vcc_lo, exec_lo, s3
	s_cbranch_vccz .LBB23_662
; %bb.659:
	v_cmp_eq_u16_e32 vcc_lo, 11, v44
	s_cbranch_vccz .LBB23_661
; %bb.660:
	global_load_u8 v2, v[0:1], off
	s_mov_b32 s71, 0
	s_mov_b32 s2, -1
	s_waitcnt vmcnt(0)
	v_cmp_ne_u16_e32 vcc_lo, 0, v2
	v_cndmask_b32_e64 v41, 0, 1.0, vcc_lo
	s_branch .LBB23_662
.LBB23_661:
	s_mov_b32 s71, -1
                                        ; implicit-def: $vgpr41
.LBB23_662:
	s_mov_b32 s3, 0
.LBB23_663:
	s_delay_alu instid0(SALU_CYCLE_1)
	s_and_b32 vcc_lo, exec_lo, s3
	s_cbranch_vccz .LBB23_712
; %bb.664:
	v_cmp_gt_i16_e32 vcc_lo, 5, v44
	s_cbranch_vccnz .LBB23_669
; %bb.665:
	v_cmp_gt_i16_e32 vcc_lo, 8, v44
	s_cbranch_vccnz .LBB23_670
	;; [unrolled: 3-line block ×3, first 2 shown]
; %bb.667:
	v_cmp_lt_i16_e32 vcc_lo, 9, v44
	s_cbranch_vccz .LBB23_672
; %bb.668:
	global_load_b64 v[2:3], v[0:1], off
	s_mov_b32 s2, 0
	s_waitcnt vmcnt(0)
	v_cvt_f32_f64_e32 v41, v[2:3]
	s_branch .LBB23_673
.LBB23_669:
	s_mov_b32 s2, -1
                                        ; implicit-def: $vgpr41
	s_branch .LBB23_691
.LBB23_670:
	s_mov_b32 s2, -1
                                        ; implicit-def: $vgpr41
	s_branch .LBB23_679
.LBB23_671:
	s_mov_b32 s2, -1
                                        ; implicit-def: $vgpr41
	s_branch .LBB23_676
.LBB23_672:
	s_mov_b32 s2, -1
                                        ; implicit-def: $vgpr41
.LBB23_673:
	s_delay_alu instid0(SALU_CYCLE_1)
	s_and_not1_b32 vcc_lo, exec_lo, s2
	s_cbranch_vccnz .LBB23_675
; %bb.674:
	global_load_b32 v41, v[0:1], off
.LBB23_675:
	s_mov_b32 s2, 0
.LBB23_676:
	s_delay_alu instid0(SALU_CYCLE_1)
	s_and_not1_b32 vcc_lo, exec_lo, s2
	s_cbranch_vccnz .LBB23_678
; %bb.677:
	global_load_b32 v2, v[0:1], off
	s_waitcnt vmcnt(0)
	v_cvt_f32_f16_e32 v41, v2
.LBB23_678:
	s_mov_b32 s2, 0
.LBB23_679:
	s_delay_alu instid0(SALU_CYCLE_1)
	s_and_not1_b32 vcc_lo, exec_lo, s2
	s_cbranch_vccnz .LBB23_690
; %bb.680:
	v_cmp_gt_i16_e32 vcc_lo, 6, v44
	s_cbranch_vccnz .LBB23_683
; %bb.681:
	v_cmp_lt_i16_e32 vcc_lo, 6, v44
	s_cbranch_vccz .LBB23_684
; %bb.682:
	global_load_b64 v[2:3], v[0:1], off
	s_mov_b32 s2, 0
	s_waitcnt vmcnt(0)
	v_cvt_f32_f64_e32 v41, v[2:3]
	s_branch .LBB23_685
.LBB23_683:
	s_mov_b32 s2, -1
                                        ; implicit-def: $vgpr41
	s_branch .LBB23_688
.LBB23_684:
	s_mov_b32 s2, -1
                                        ; implicit-def: $vgpr41
.LBB23_685:
	s_delay_alu instid0(SALU_CYCLE_1)
	s_and_not1_b32 vcc_lo, exec_lo, s2
	s_cbranch_vccnz .LBB23_687
; %bb.686:
	global_load_b32 v41, v[0:1], off
.LBB23_687:
	s_mov_b32 s2, 0
.LBB23_688:
	s_delay_alu instid0(SALU_CYCLE_1)
	s_and_not1_b32 vcc_lo, exec_lo, s2
	s_cbranch_vccnz .LBB23_690
; %bb.689:
	global_load_u16 v2, v[0:1], off
	s_waitcnt vmcnt(0)
	v_cvt_f32_f16_e32 v41, v2
.LBB23_690:
	s_mov_b32 s2, 0
.LBB23_691:
	s_delay_alu instid0(SALU_CYCLE_1)
	s_and_not1_b32 vcc_lo, exec_lo, s2
	s_cbranch_vccnz .LBB23_711
; %bb.692:
	v_cmp_gt_i16_e32 vcc_lo, 2, v44
	s_cbranch_vccnz .LBB23_696
; %bb.693:
	v_cmp_gt_i16_e32 vcc_lo, 3, v44
	s_cbranch_vccnz .LBB23_697
; %bb.694:
	v_cmp_lt_i16_e32 vcc_lo, 3, v44
	s_cbranch_vccz .LBB23_698
; %bb.695:
	global_load_b64 v[2:3], v[0:1], off
	s_mov_b32 s2, 0
	s_waitcnt vmcnt(0)
	v_xor_b32_e32 v4, v2, v3
	v_cls_i32_e32 v5, v3
	s_delay_alu instid0(VALU_DEP_2) | instskip(NEXT) | instid1(VALU_DEP_2)
	v_ashrrev_i32_e32 v4, 31, v4
	v_add_nc_u32_e32 v5, -1, v5
	s_delay_alu instid0(VALU_DEP_2) | instskip(NEXT) | instid1(VALU_DEP_1)
	v_add_nc_u32_e32 v4, 32, v4
	v_min_u32_e32 v4, v5, v4
	s_delay_alu instid0(VALU_DEP_1) | instskip(NEXT) | instid1(VALU_DEP_1)
	v_lshlrev_b64 v[2:3], v4, v[2:3]
	v_min_u32_e32 v2, 1, v2
	s_delay_alu instid0(VALU_DEP_1) | instskip(SKIP_1) | instid1(VALU_DEP_2)
	v_or_b32_e32 v2, v3, v2
	v_sub_nc_u32_e32 v3, 32, v4
	v_cvt_f32_i32_e32 v2, v2
	s_delay_alu instid0(VALU_DEP_1)
	v_ldexp_f32 v41, v2, v3
	s_branch .LBB23_699
.LBB23_696:
	s_mov_b32 s2, -1
                                        ; implicit-def: $vgpr41
	s_branch .LBB23_705
.LBB23_697:
	s_mov_b32 s2, -1
                                        ; implicit-def: $vgpr41
	s_branch .LBB23_702
.LBB23_698:
	s_mov_b32 s2, -1
                                        ; implicit-def: $vgpr41
.LBB23_699:
	s_delay_alu instid0(SALU_CYCLE_1)
	s_and_not1_b32 vcc_lo, exec_lo, s2
	s_cbranch_vccnz .LBB23_701
; %bb.700:
	global_load_b32 v2, v[0:1], off
	s_waitcnt vmcnt(0)
	v_cvt_f32_i32_e32 v41, v2
.LBB23_701:
	s_mov_b32 s2, 0
.LBB23_702:
	s_delay_alu instid0(SALU_CYCLE_1)
	s_and_not1_b32 vcc_lo, exec_lo, s2
	s_cbranch_vccnz .LBB23_704
; %bb.703:
	global_load_i16 v2, v[0:1], off
	s_waitcnt vmcnt(0)
	v_cvt_f32_i32_e32 v41, v2
.LBB23_704:
	s_mov_b32 s2, 0
.LBB23_705:
	s_delay_alu instid0(SALU_CYCLE_1)
	s_and_not1_b32 vcc_lo, exec_lo, s2
	s_cbranch_vccnz .LBB23_711
; %bb.706:
	v_cmp_lt_i16_e32 vcc_lo, 0, v44
	s_mov_b32 s2, 0
	s_cbranch_vccz .LBB23_708
; %bb.707:
	global_load_i8 v2, v[0:1], off
	s_waitcnt vmcnt(0)
	v_cvt_f32_i32_e32 v41, v2
	s_branch .LBB23_709
.LBB23_708:
	s_mov_b32 s2, -1
                                        ; implicit-def: $vgpr41
.LBB23_709:
	s_delay_alu instid0(SALU_CYCLE_1)
	s_and_not1_b32 vcc_lo, exec_lo, s2
	s_cbranch_vccnz .LBB23_711
; %bb.710:
	global_load_u8 v0, v[0:1], off
	s_waitcnt vmcnt(0)
	v_cvt_f32_ubyte0_e32 v41, v0
.LBB23_711:
	s_mov_b32 s2, -1
.LBB23_712:
	s_delay_alu instid0(SALU_CYCLE_1)
	s_and_not1_b32 vcc_lo, exec_lo, s2
	s_cbranch_vccnz .LBB23_722
; %bb.713:
                                        ; implicit-def: $vgpr0
	s_mov_b32 s2, exec_lo
	s_waitcnt vmcnt(0)
	s_delay_alu instid0(VALU_DEP_1)
	v_cmpx_ge_f32_e32 0x40a00000, v41
	s_xor_b32 s72, exec_lo, s2
	s_cbranch_execz .LBB23_719
; %bb.714:
	v_mov_b32_e32 v0, 0xff800000
	s_mov_b32 s73, exec_lo
	v_cmpx_neq_f32_e32 0, v41
	s_cbranch_execz .LBB23_718
; %bb.715:
	v_mov_b32_e32 v0, 0x7fc00000
	s_mov_b32 s74, exec_lo
	v_cmpx_nge_f32_e32 0, v41
	s_cbranch_execz .LBB23_717
; %bb.716:
	v_mul_f32_e32 v0, v41, v41
	s_getpc_b64 s[2:3]
	s_add_u32 s2, s2, _Z17bessel_j1_forwardIfET_S0_@rel32@lo+4
	s_addc_u32 s3, s3, _Z17bessel_j1_forwardIfET_S0_@rel32@hi+12
	s_mov_b64 s[54:55], s[0:1]
	v_fmaak_f32 v1, 0, v0, 0x4414934d
	v_fmaak_f32 v2, 0, v0, 0x4e9695f3
	s_delay_alu instid0(VALU_DEP_2) | instskip(NEXT) | instid1(VALU_DEP_2)
	v_fmaak_f32 v1, v0, v1, 0x48660b06
	v_fmaak_f32 v2, v0, v2, 0xd316b96b
	s_delay_alu instid0(VALU_DEP_2) | instskip(NEXT) | instid1(VALU_DEP_2)
	;; [unrolled: 3-line block ×5, first 2 shown]
	v_fmaak_f32 v1, v0, v1, 0x580d1937
	v_fmaak_f32 v2, v0, v2, 0xdd2cf20b
	s_delay_alu instid0(VALU_DEP_2) | instskip(NEXT) | instid1(VALU_DEP_1)
	v_fmaak_f32 v1, v0, v1, 0x5b741f1e
	v_fmaak_f32 v0, v0, v1, 0x5e5c878d
	s_delay_alu instid0(VALU_DEP_1) | instskip(SKIP_1) | instid1(VALU_DEP_2)
	v_div_scale_f32 v1, null, v0, v0, v2
	v_div_scale_f32 v5, vcc_lo, v2, v0, v2
	v_rcp_f32_e32 v3, v1
	s_waitcnt_depctr 0xfff
	v_fma_f32 v4, -v1, v3, 1.0
	s_delay_alu instid0(VALU_DEP_1) | instskip(NEXT) | instid1(VALU_DEP_1)
	v_fmac_f32_e32 v3, v4, v3
	v_mul_f32_e32 v4, v5, v3
	s_delay_alu instid0(VALU_DEP_1) | instskip(NEXT) | instid1(VALU_DEP_1)
	v_fma_f32 v6, -v1, v4, v5
	v_fmac_f32_e32 v4, v6, v3
	s_delay_alu instid0(VALU_DEP_1) | instskip(NEXT) | instid1(VALU_DEP_1)
	v_fma_f32 v1, -v1, v4, v5
	v_div_fmas_f32 v1, v1, v3, v4
	s_delay_alu instid0(VALU_DEP_1)
	v_div_fixup_f32 v45, v1, v0, v2
	v_mov_b32_e32 v0, v41
	s_swappc_b64 s[30:31], s[2:3]
	v_div_scale_f32 v1, null, v41, v41, -1.0
	v_cmp_gt_f32_e32 vcc_lo, 0x800000, v41
	v_div_scale_f32 v5, s2, -1.0, v41, -1.0
	s_delay_alu instid0(VALU_DEP_3) | instskip(SKIP_4) | instid1(VALU_DEP_1)
	v_rcp_f32_e32 v3, v1
	s_mov_b64 s[0:1], s[54:55]
	v_cndmask_b32_e64 v2, 1.0, 0x4f800000, vcc_lo
	s_waitcnt_depctr 0xfff
	v_fma_f32 v4, -v1, v3, 1.0
	v_dual_mul_f32 v2, v41, v2 :: v_dual_fmac_f32 v3, v4, v3
	s_delay_alu instid0(VALU_DEP_1) | instskip(SKIP_3) | instid1(VALU_DEP_2)
	v_log_f32_e32 v2, v2
	s_waitcnt_depctr 0xfff
	v_mul_f32_e32 v4, 0x3f317217, v2
	v_cmp_gt_f32_e64 s3, 0x7f800000, |v2|
	v_fma_f32 v7, 0x3f317217, v2, -v4
	s_delay_alu instid0(VALU_DEP_1) | instskip(NEXT) | instid1(VALU_DEP_1)
	v_dual_mul_f32 v6, v5, v3 :: v_dual_fmamk_f32 v7, v2, 0x3377d1cf, v7
	v_fma_f32 v8, -v1, v6, v5
	s_delay_alu instid0(VALU_DEP_2) | instskip(NEXT) | instid1(VALU_DEP_2)
	v_add_f32_e32 v4, v4, v7
	v_fmac_f32_e32 v6, v8, v3
	s_delay_alu instid0(VALU_DEP_2) | instskip(NEXT) | instid1(VALU_DEP_2)
	v_cndmask_b32_e64 v2, v2, v4, s3
	v_fma_f32 v1, -v1, v6, v5
	v_cndmask_b32_e64 v4, 0, 0x41b17218, vcc_lo
	s_mov_b32 vcc_lo, s2
	s_delay_alu instid0(VALU_DEP_2) | instskip(NEXT) | instid1(VALU_DEP_2)
	v_div_fmas_f32 v1, v1, v3, v6
	v_sub_f32_e32 v2, v2, v4
	s_delay_alu instid0(VALU_DEP_2) | instskip(NEXT) | instid1(VALU_DEP_1)
	v_div_fixup_f32 v1, v1, v41, -1.0
	v_fmac_f32_e32 v1, v2, v0
	s_delay_alu instid0(VALU_DEP_1) | instskip(NEXT) | instid1(VALU_DEP_1)
	v_mul_f32_e32 v0, 0x3f22f983, v1
	v_fmac_f32_e32 v0, v41, v45
.LBB23_717:
	s_or_b32 exec_lo, exec_lo, s74
.LBB23_718:
	s_delay_alu instid0(SALU_CYCLE_1)
	s_or_b32 exec_lo, exec_lo, s73
                                        ; implicit-def: $vgpr41
.LBB23_719:
	s_and_not1_saveexec_b32 s5, s72
	s_cbranch_execz .LBB23_730
; %bb.720:
	v_add_f32_e32 v0, 0xc016cbe4, v41
                                        ; implicit-def: $vgpr3
                                        ; implicit-def: $vgpr2
	s_delay_alu instid0(VALU_DEP_1) | instskip(SKIP_1) | instid1(VALU_DEP_2)
	v_and_b32_e32 v1, 0x7fffffff, v0
	v_cmp_ngt_f32_e64 s6, 0x48000000, |v0|
	v_lshrrev_b32_e32 v5, 23, v1
	s_delay_alu instid0(VALU_DEP_2) | instskip(NEXT) | instid1(SALU_CYCLE_1)
	s_and_saveexec_b32 s2, s6
	s_xor_b32 s7, exec_lo, s2
	s_cbranch_execz .LBB23_723
; %bb.721:
	s_mov_b32 s2, 0x7fffff
	v_mov_b32_e32 v4, 0
	v_and_or_b32 v13, v1, s2, 0x800000
	v_add_nc_u32_e32 v11, 0xffffff88, v5
	s_delay_alu instid0(VALU_DEP_2) | instskip(NEXT) | instid1(VALU_DEP_2)
	v_mad_u64_u32 v[2:3], null, 0xfe5163ab, v13, 0
	v_cmp_lt_u32_e32 vcc_lo, 63, v11
	v_cndmask_b32_e64 v12, 0, 0xffffffc0, vcc_lo
	s_delay_alu instid0(VALU_DEP_3) | instskip(NEXT) | instid1(VALU_DEP_1)
	v_mad_u64_u32 v[6:7], null, 0x3c439041, v13, v[3:4]
	v_dual_mov_b32 v3, v7 :: v_dual_add_nc_u32 v12, v12, v11
	s_delay_alu instid0(VALU_DEP_1) | instskip(NEXT) | instid1(VALU_DEP_2)
	v_cmp_lt_u32_e64 s2, 31, v12
	v_mad_u64_u32 v[7:8], null, 0xdb629599, v13, v[3:4]
	s_delay_alu instid0(VALU_DEP_2) | instskip(NEXT) | instid1(VALU_DEP_1)
	v_cndmask_b32_e64 v14, 0, 0xffffffe0, s2
	v_dual_mov_b32 v3, v8 :: v_dual_add_nc_u32 v14, v14, v12
	s_delay_alu instid0(VALU_DEP_3) | instskip(NEXT) | instid1(VALU_DEP_2)
	v_cndmask_b32_e32 v2, v7, v2, vcc_lo
	v_cmp_lt_u32_e64 s3, 31, v14
	s_delay_alu instid0(VALU_DEP_3) | instskip(NEXT) | instid1(VALU_DEP_1)
	v_mad_u64_u32 v[8:9], null, 0xf534ddc0, v13, v[3:4]
	v_dual_mov_b32 v3, v9 :: v_dual_cndmask_b32 v6, v8, v6
	s_delay_alu instid0(VALU_DEP_1) | instskip(NEXT) | instid1(VALU_DEP_2)
	v_mad_u64_u32 v[9:10], null, 0xfc2757d1, v13, v[3:4]
	v_cndmask_b32_e64 v2, v6, v2, s2
	s_delay_alu instid0(VALU_DEP_2) | instskip(NEXT) | instid1(VALU_DEP_1)
	v_mov_b32_e32 v3, v10
	v_mad_u64_u32 v[10:11], null, 0x4e441529, v13, v[3:4]
	s_delay_alu instid0(VALU_DEP_1) | instskip(NEXT) | instid1(VALU_DEP_1)
	v_mov_b32_e32 v3, v11
	v_mad_u64_u32 v[11:12], null, 0xa2f9836e, v13, v[3:4]
	v_cndmask_b32_e64 v3, 0, 0xffffffe0, s3
	s_delay_alu instid0(VALU_DEP_1) | instskip(NEXT) | instid1(VALU_DEP_3)
	v_dual_cndmask_b32 v4, v10, v8 :: v_dual_add_nc_u32 v3, v3, v14
	v_dual_cndmask_b32 v11, v11, v9 :: v_dual_cndmask_b32 v10, v12, v10
	v_cndmask_b32_e32 v9, v9, v7, vcc_lo
	s_delay_alu instid0(VALU_DEP_3) | instskip(NEXT) | instid1(VALU_DEP_3)
	v_cmp_eq_u32_e64 s4, 0, v3
	v_cndmask_b32_e64 v8, v11, v4, s2
	s_delay_alu instid0(VALU_DEP_4) | instskip(NEXT) | instid1(VALU_DEP_4)
	v_cndmask_b32_e64 v10, v10, v11, s2
	v_cndmask_b32_e64 v4, v4, v9, s2
	v_sub_nc_u32_e32 v11, 32, v3
	v_cndmask_b32_e64 v9, v9, v6, s2
	s_delay_alu instid0(VALU_DEP_4) | instskip(NEXT) | instid1(VALU_DEP_4)
	v_cndmask_b32_e64 v10, v10, v8, s3
	v_cndmask_b32_e64 v8, v8, v4, s3
	s_delay_alu instid0(VALU_DEP_3) | instskip(SKIP_1) | instid1(VALU_DEP_3)
	v_cndmask_b32_e64 v4, v4, v9, s3
	v_cndmask_b32_e64 v2, v9, v2, s3
	v_alignbit_b32 v12, v10, v8, v11
	s_delay_alu instid0(VALU_DEP_3) | instskip(NEXT) | instid1(VALU_DEP_3)
	v_alignbit_b32 v13, v8, v4, v11
	v_alignbit_b32 v11, v4, v2, v11
	s_delay_alu instid0(VALU_DEP_3) | instskip(NEXT) | instid1(VALU_DEP_3)
	v_cndmask_b32_e64 v3, v12, v10, s4
	v_cndmask_b32_e64 v7, v13, v8, s4
	s_delay_alu instid0(VALU_DEP_3) | instskip(NEXT) | instid1(VALU_DEP_3)
	v_cndmask_b32_e64 v4, v11, v4, s4
	v_bfe_u32 v8, v3, 29, 1
	s_delay_alu instid0(VALU_DEP_3) | instskip(NEXT) | instid1(VALU_DEP_3)
	v_alignbit_b32 v6, v3, v7, 30
	v_alignbit_b32 v7, v7, v4, 30
	;; [unrolled: 1-line block ×3, first 2 shown]
	s_delay_alu instid0(VALU_DEP_4) | instskip(NEXT) | instid1(VALU_DEP_1)
	v_sub_nc_u32_e32 v10, 0, v8
	v_xor_b32_e32 v9, v6, v10
	v_cmp_ne_u32_e32 vcc_lo, v6, v10
	v_xor_b32_e32 v4, v7, v10
	v_xor_b32_e32 v2, v2, v10
	s_delay_alu instid0(VALU_DEP_4) | instskip(NEXT) | instid1(VALU_DEP_1)
	v_clz_i32_u32_e32 v12, v9
	v_add_nc_u32_e32 v11, 1, v12
	s_delay_alu instid0(VALU_DEP_1) | instskip(NEXT) | instid1(VALU_DEP_1)
	v_cndmask_b32_e32 v6, 33, v11, vcc_lo
	v_sub_nc_u32_e32 v7, 32, v6
	s_delay_alu instid0(VALU_DEP_1) | instskip(SKIP_3) | instid1(VALU_DEP_3)
	v_alignbit_b32 v9, v9, v4, v7
	v_alignbit_b32 v2, v4, v2, v7
	v_lshrrev_b32_e32 v4, 29, v3
	v_lshrrev_b32_e32 v3, 30, v3
	v_alignbit_b32 v7, v9, v2, 9
	s_delay_alu instid0(VALU_DEP_3) | instskip(SKIP_1) | instid1(VALU_DEP_4)
	v_lshlrev_b32_e32 v4, 31, v4
	v_alignbit_b32 v9, v6, v9, 9
	v_add_nc_u32_e32 v3, v8, v3
	s_delay_alu instid0(VALU_DEP_4) | instskip(NEXT) | instid1(VALU_DEP_3)
	v_clz_i32_u32_e32 v10, v7
	v_or_b32_e32 v9, v9, v4
	v_or_b32_e32 v4, 0x33800000, v4
	s_delay_alu instid0(VALU_DEP_3) | instskip(NEXT) | instid1(VALU_DEP_3)
	v_min_u32_e32 v10, 32, v10
	v_xor_b32_e32 v9, 1.0, v9
	s_delay_alu instid0(VALU_DEP_2) | instskip(SKIP_1) | instid1(VALU_DEP_3)
	v_sub_nc_u32_e32 v11, 31, v10
	v_add_lshl_u32 v6, v10, v6, 23
	v_mul_f32_e32 v10, 0x3fc90fda, v9
	s_delay_alu instid0(VALU_DEP_3) | instskip(NEXT) | instid1(VALU_DEP_3)
	v_alignbit_b32 v2, v7, v2, v11
	v_sub_nc_u32_e32 v4, v4, v6
	s_delay_alu instid0(VALU_DEP_3) | instskip(NEXT) | instid1(VALU_DEP_3)
	v_fma_f32 v6, 0x3fc90fda, v9, -v10
	v_lshrrev_b32_e32 v2, 9, v2
	s_delay_alu instid0(VALU_DEP_2) | instskip(NEXT) | instid1(VALU_DEP_2)
	v_fmamk_f32 v6, v9, 0x33a22168, v6
	v_or_b32_e32 v2, v4, v2
	s_delay_alu instid0(VALU_DEP_1) | instskip(NEXT) | instid1(VALU_DEP_1)
	v_fmac_f32_e32 v6, 0x3fc90fda, v2
	v_add_f32_e32 v2, v10, v6
	s_or_saveexec_b32 s2, s7
	v_mul_f32_e64 v7, 0x3f22f983, |v0|
	s_xor_b32 exec_lo, exec_lo, s2
	s_branch .LBB23_724
.LBB23_722:
	s_mov_b32 s3, 0
	s_mov_b32 s2, s68
	s_branch .LBB23_777
.LBB23_723:
	s_or_saveexec_b32 s2, s7
	v_mul_f32_e64 v7, 0x3f22f983, |v0|
	s_xor_b32 exec_lo, exec_lo, s2
.LBB23_724:
	s_delay_alu instid0(VALU_DEP_1) | instskip(NEXT) | instid1(VALU_DEP_1)
	v_rndne_f32_e32 v3, v7
	v_fma_f32 v2, 0xbfc90fda, v3, |v0|
	s_delay_alu instid0(VALU_DEP_1) | instskip(NEXT) | instid1(VALU_DEP_1)
	v_fmamk_f32 v2, v3, 0xb3a22168, v2
	v_fmamk_f32 v2, v3, 0xa7c234c4, v2
	v_cvt_i32_f32_e32 v3, v3
; %bb.725:
	s_or_b32 exec_lo, exec_lo, s2
                                        ; implicit-def: $vgpr6
                                        ; implicit-def: $vgpr4
	s_and_saveexec_b32 s2, s6
	s_delay_alu instid0(SALU_CYCLE_1)
	s_xor_b32 s6, exec_lo, s2
	s_cbranch_execz .LBB23_727
; %bb.726:
	s_mov_b32 s2, 0x7fffff
	v_mov_b32_e32 v8, 0
	v_and_or_b32 v15, v1, s2, 0x800000
	s_delay_alu instid0(VALU_DEP_1) | instskip(NEXT) | instid1(VALU_DEP_1)
	v_mad_u64_u32 v[6:7], null, 0xfe5163ab, v15, 0
	v_mad_u64_u32 v[9:10], null, 0x3c439041, v15, v[7:8]
	s_delay_alu instid0(VALU_DEP_1) | instskip(NEXT) | instid1(VALU_DEP_1)
	v_mov_b32_e32 v7, v10
	v_mad_u64_u32 v[10:11], null, 0xdb629599, v15, v[7:8]
	s_delay_alu instid0(VALU_DEP_1) | instskip(NEXT) | instid1(VALU_DEP_1)
	v_mov_b32_e32 v7, v11
	v_mad_u64_u32 v[11:12], null, 0xf534ddc0, v15, v[7:8]
	s_delay_alu instid0(VALU_DEP_1) | instskip(NEXT) | instid1(VALU_DEP_1)
	v_dual_mov_b32 v7, v12 :: v_dual_add_nc_u32 v12, 0xffffff88, v5
	v_mad_u64_u32 v[4:5], null, 0xfc2757d1, v15, v[7:8]
	s_delay_alu instid0(VALU_DEP_2) | instskip(SKIP_1) | instid1(VALU_DEP_3)
	v_cmp_lt_u32_e32 vcc_lo, 63, v12
	v_cndmask_b32_e64 v13, 0, 0xffffffc0, vcc_lo
	v_dual_mov_b32 v7, v5 :: v_dual_cndmask_b32 v6, v10, v6
	s_delay_alu instid0(VALU_DEP_2) | instskip(NEXT) | instid1(VALU_DEP_2)
	v_add_nc_u32_e32 v5, v13, v12
	v_mad_u64_u32 v[12:13], null, 0x4e441529, v15, v[7:8]
	s_delay_alu instid0(VALU_DEP_2) | instskip(NEXT) | instid1(VALU_DEP_2)
	v_cmp_lt_u32_e64 s2, 31, v5
	v_mov_b32_e32 v7, v13
	s_delay_alu instid0(VALU_DEP_2) | instskip(NEXT) | instid1(VALU_DEP_1)
	v_cndmask_b32_e64 v14, 0, 0xffffffe0, s2
	v_add_nc_u32_e32 v5, v14, v5
	s_delay_alu instid0(VALU_DEP_3) | instskip(SKIP_1) | instid1(VALU_DEP_3)
	v_mad_u64_u32 v[13:14], null, 0xa2f9836e, v15, v[7:8]
	v_cndmask_b32_e32 v8, v12, v11, vcc_lo
	v_cmp_lt_u32_e64 s3, 31, v5
	s_delay_alu instid0(VALU_DEP_3) | instskip(NEXT) | instid1(VALU_DEP_2)
	v_cndmask_b32_e32 v13, v13, v4, vcc_lo
	v_cndmask_b32_e64 v7, 0, 0xffffffe0, s3
	v_cndmask_b32_e32 v12, v14, v12, vcc_lo
	s_delay_alu instid0(VALU_DEP_2) | instskip(SKIP_2) | instid1(VALU_DEP_4)
	v_dual_cndmask_b32 v4, v4, v10 :: v_dual_add_nc_u32 v5, v7, v5
	v_cndmask_b32_e32 v7, v11, v9, vcc_lo
	v_cndmask_b32_e64 v9, v13, v8, s2
	v_cndmask_b32_e64 v11, v12, v13, s2
	s_delay_alu instid0(VALU_DEP_4)
	v_cndmask_b32_e64 v8, v8, v4, s2
	v_sub_nc_u32_e32 v12, 32, v5
	v_cndmask_b32_e64 v4, v4, v7, s2
	v_cmp_eq_u32_e64 s4, 0, v5
	v_cndmask_b32_e64 v11, v11, v9, s3
	v_cndmask_b32_e64 v9, v9, v8, s3
	;; [unrolled: 1-line block ×4, first 2 shown]
	s_delay_alu instid0(VALU_DEP_3) | instskip(NEXT) | instid1(VALU_DEP_3)
	v_alignbit_b32 v13, v11, v9, v12
	v_cndmask_b32_e64 v4, v4, v6, s3
	s_delay_alu instid0(VALU_DEP_3) | instskip(NEXT) | instid1(VALU_DEP_3)
	v_alignbit_b32 v14, v9, v8, v12
	v_cndmask_b32_e64 v5, v13, v11, s4
	;; [unrolled: 3-line block ×3, first 2 shown]
	s_delay_alu instid0(VALU_DEP_3) | instskip(NEXT) | instid1(VALU_DEP_3)
	v_bfe_u32 v10, v5, 29, 1
	v_cndmask_b32_e64 v8, v12, v8, s4
	s_delay_alu instid0(VALU_DEP_3) | instskip(NEXT) | instid1(VALU_DEP_3)
	v_alignbit_b32 v7, v5, v9, 30
	v_sub_nc_u32_e32 v11, 0, v10
	s_delay_alu instid0(VALU_DEP_3) | instskip(SKIP_1) | instid1(VALU_DEP_3)
	v_alignbit_b32 v9, v9, v8, 30
	v_alignbit_b32 v4, v8, v4, 30
	v_xor_b32_e32 v6, v7, v11
	v_cmp_ne_u32_e32 vcc_lo, v7, v11
	s_delay_alu instid0(VALU_DEP_4) | instskip(NEXT) | instid1(VALU_DEP_4)
	v_xor_b32_e32 v8, v9, v11
	v_xor_b32_e32 v4, v4, v11
	s_delay_alu instid0(VALU_DEP_4) | instskip(NEXT) | instid1(VALU_DEP_1)
	v_clz_i32_u32_e32 v13, v6
	v_add_nc_u32_e32 v12, 1, v13
	s_delay_alu instid0(VALU_DEP_1) | instskip(NEXT) | instid1(VALU_DEP_1)
	v_cndmask_b32_e32 v7, 33, v12, vcc_lo
	v_sub_nc_u32_e32 v9, 32, v7
	s_delay_alu instid0(VALU_DEP_1) | instskip(SKIP_3) | instid1(VALU_DEP_3)
	v_alignbit_b32 v6, v6, v8, v9
	v_alignbit_b32 v4, v8, v4, v9
	v_lshrrev_b32_e32 v8, 29, v5
	v_lshrrev_b32_e32 v5, 30, v5
	v_alignbit_b32 v9, v6, v4, 9
	s_delay_alu instid0(VALU_DEP_3) | instskip(SKIP_1) | instid1(VALU_DEP_3)
	v_lshlrev_b32_e32 v8, 31, v8
	v_alignbit_b32 v6, v7, v6, 9
	v_clz_i32_u32_e32 v11, v9
	s_delay_alu instid0(VALU_DEP_2) | instskip(SKIP_1) | instid1(VALU_DEP_3)
	v_or_b32_e32 v6, v6, v8
	v_or_b32_e32 v8, 0x33800000, v8
	v_min_u32_e32 v11, 32, v11
	s_delay_alu instid0(VALU_DEP_3) | instskip(NEXT) | instid1(VALU_DEP_2)
	v_xor_b32_e32 v6, 1.0, v6
	v_sub_nc_u32_e32 v12, 31, v11
	v_add_lshl_u32 v7, v11, v7, 23
	s_delay_alu instid0(VALU_DEP_3) | instskip(NEXT) | instid1(VALU_DEP_3)
	v_mul_f32_e32 v11, 0x3fc90fda, v6
	v_alignbit_b32 v4, v9, v4, v12
	s_delay_alu instid0(VALU_DEP_3) | instskip(NEXT) | instid1(VALU_DEP_3)
	v_sub_nc_u32_e32 v7, v8, v7
	v_fma_f32 v8, 0x3fc90fda, v6, -v11
	s_delay_alu instid0(VALU_DEP_3) | instskip(NEXT) | instid1(VALU_DEP_2)
	v_lshrrev_b32_e32 v4, 9, v4
	v_fmamk_f32 v6, v6, 0x33a22168, v8
	s_delay_alu instid0(VALU_DEP_2) | instskip(NEXT) | instid1(VALU_DEP_1)
	v_or_b32_e32 v4, v7, v4
                                        ; implicit-def: $vgpr7
	v_fmac_f32_e32 v6, 0x3fc90fda, v4
	s_delay_alu instid0(VALU_DEP_1)
	v_add_f32_e32 v4, v11, v6
	v_add_nc_u32_e32 v6, v10, v5
	s_and_not1_saveexec_b32 s2, s6
	s_cbranch_execnz .LBB23_728
	s_branch .LBB23_729
.LBB23_727:
	s_and_not1_saveexec_b32 s2, s6
.LBB23_728:
	v_rndne_f32_e32 v5, v7
	s_delay_alu instid0(VALU_DEP_1) | instskip(SKIP_1) | instid1(VALU_DEP_2)
	v_fma_f32 v4, 0xbfc90fda, v5, |v0|
	v_cvt_i32_f32_e32 v6, v5
	v_fmamk_f32 v4, v5, 0xb3a22168, v4
	s_delay_alu instid0(VALU_DEP_1)
	v_fmamk_f32 v4, v5, 0xa7c234c4, v4
.LBB23_729:
	s_or_b32 exec_lo, exec_lo, s2
	v_div_scale_f32 v5, null, v41, v41, 0x40a00000
	v_div_scale_f32 v9, vcc_lo, 0x40a00000, v41, 0x40a00000
	s_mov_b32 s2, 0xb94c1982
	s_delay_alu instid0(VALU_DEP_2) | instskip(SKIP_4) | instid1(VALU_DEP_1)
	v_rcp_f32_e32 v7, v5
	s_mov_b32 s3, 0x37d75334
	v_xor_b32_e32 v1, v1, v0
	s_waitcnt_depctr 0xfff
	v_fma_f32 v8, -v5, v7, 1.0
	v_fmac_f32_e32 v7, v8, v7
	s_delay_alu instid0(VALU_DEP_1) | instskip(NEXT) | instid1(VALU_DEP_1)
	v_mul_f32_e32 v8, v9, v7
	v_fma_f32 v10, -v5, v8, v9
	s_delay_alu instid0(VALU_DEP_1) | instskip(SKIP_1) | instid1(VALU_DEP_2)
	v_fmac_f32_e32 v8, v10, v7
	v_mul_f32_e32 v10, v4, v4
	v_fma_f32 v5, -v5, v8, v9
	s_delay_alu instid0(VALU_DEP_2) | instskip(SKIP_1) | instid1(VALU_DEP_3)
	v_fmaak_f32 v19, s2, v10, 0x3c0881c4
	v_fmaak_f32 v20, s3, v10, 0xbab64f3b
	v_div_fmas_f32 v5, v5, v7, v8
	v_mul_f32_e32 v7, v2, v2
	s_delay_alu instid0(VALU_DEP_4)
	v_fmaak_f32 v19, v10, v19, 0xbe2aaa9d
	v_mul_f32_e32 v16, 0x4f800000, v41
	v_fmaak_f32 v20, v10, v20, 0x3d2aabf7
	v_div_fixup_f32 v5, v5, v41, 0x40a00000
	v_fmaak_f32 v17, s2, v7, 0x3c0881c4
	v_cmp_gt_f32_e64 s2, 0xf800000, v41
	v_fmaak_f32 v18, s3, v7, 0xbab64f3b
	v_mul_f32_e32 v19, v10, v19
	v_dual_mul_f32 v9, v5, v5 :: v_dual_and_b32 v8, 1, v3
	v_lshlrev_b32_e32 v3, 30, v3
	v_and_b32_e32 v11, 1, v6
	v_cndmask_b32_e64 v16, v41, v16, s2
	s_delay_alu instid0(VALU_DEP_4) | instskip(SKIP_3) | instid1(VALU_DEP_4)
	v_fmaak_f32 v14, 0, v9, 0x3a47c962
	v_fmaak_f32 v13, 0, v9, 0x3a15c4d9
	;; [unrolled: 1-line block ×3, first 2 shown]
	v_dual_fmaak_f32 v15, 0, v9, 0x42947983 :: v_dual_lshlrev_b32 v6, 30, v6
	v_fmaak_f32 v14, v9, v14, 0x3d95ca45
	s_delay_alu instid0(VALU_DEP_4) | instskip(SKIP_2) | instid1(VALU_DEP_3)
	v_dual_fmaak_f32 v13, v9, v13, 0x3d8cfeeb :: v_dual_fmac_f32 v4, v4, v19
	v_sqrt_f32_e32 v24, v16
	v_fmaak_f32 v17, v7, v17, 0xbe2aaa9d
	v_fmaak_f32 v14, v9, v14, 0x3f9047f6
	s_delay_alu instid0(VALU_DEP_3)
	v_fmaak_f32 v13, v9, v13, 0x3f8d754e
	v_fmaak_f32 v12, v9, v12, 0x409f6dae
	;; [unrolled: 1-line block ×3, first 2 shown]
	v_mul_f32_e32 v17, v7, v17
	v_fmaak_f32 v15, v9, v15, 0x44840e5d
	v_fmaak_f32 v20, v10, v20, 0xbf000004
	v_cmp_eq_u32_e64 s4, 0, v8
	v_fmaak_f32 v18, v7, v18, 0xbf000004
	v_fmac_f32_e32 v2, v2, v17
	v_fmaak_f32 v13, v9, v13, 0x40a25d18
	v_fmaak_f32 v15, v9, v15, 0x459bd349
	v_fma_f32 v10, v10, v20, 1.0
	v_fma_f32 v7, v7, v18, 1.0
	v_and_b32_e32 v3, 0x80000000, v3
	v_dual_fmaak_f32 v14, v9, v14, 0x40a39628 :: v_dual_add_nc_u32 v19, -1, v24
	v_fmaak_f32 v13, v9, v13, 0x410665cf
	v_fmaak_f32 v15, v9, v15, 0x46156947
	v_cndmask_b32_e64 v2, v7, v2, s4
	v_cmp_eq_u32_e64 s4, 0, v11
	v_fmaak_f32 v14, v9, v14, 0x4106c8e4
	v_fmaak_f32 v13, v9, v13, 0x40a6b6ea
	;; [unrolled: 1-line block ×3, first 2 shown]
	v_fma_f32 v7, -v19, v24, v16
	v_cndmask_b32_e64 v4, -v4, v10, s4
	v_fmaak_f32 v14, v9, v14, 0x40a6dd51
	v_fma_f32 v13, v9, v13, 1.0
	v_fmaak_f32 v15, v9, v15, 0x4530a316
	v_xor3_b32 v1, v1, v3, v2
	v_and_b32_e32 v6, 0x80000000, v6
	v_fma_f32 v14, v9, v14, 1.0
	s_delay_alu instid0(VALU_DEP_4) | instskip(NEXT) | instid1(VALU_DEP_3)
	v_fmaak_f32 v15, v9, v15, 0x43a80bfb
	v_xor_b32_e32 v4, v6, v4
	s_delay_alu instid0(VALU_DEP_3) | instskip(SKIP_1) | instid1(VALU_DEP_1)
	v_div_scale_f32 v27, vcc_lo, v14, v13, v14
	v_fmaak_f32 v12, v9, v12, 0x4297a5cd
	v_fmaak_f32 v12, v9, v12, 0x43b763ca
	s_delay_alu instid0(VALU_DEP_1) | instskip(NEXT) | instid1(VALU_DEP_1)
	v_fmaak_f32 v12, v9, v12, 0x4431b6ce
	v_fmaak_f32 v12, v9, v12, 0x44155f56
	s_delay_alu instid0(VALU_DEP_1) | instskip(NEXT) | instid1(VALU_DEP_1)
	v_fmaak_f32 v12, v9, v12, 0x4353b052
	v_fmaak_f32 v9, v9, v12, 0x41c9a7fa
	v_div_scale_f32 v12, null, v13, v13, v14
	s_delay_alu instid0(VALU_DEP_2) | instskip(NEXT) | instid1(VALU_DEP_2)
	v_div_scale_f32 v21, null, v15, v15, v9
	v_rcp_f32_e32 v22, v12
	s_delay_alu instid0(VALU_DEP_1) | instskip(SKIP_3) | instid1(VALU_DEP_2)
	v_rcp_f32_e32 v23, v21
	s_waitcnt_depctr 0xfff
	v_fma_f32 v25, -v12, v22, 1.0
	v_fma_f32 v26, -v21, v23, 1.0
	v_fmac_f32_e32 v22, v25, v22
	v_div_scale_f32 v25, s3, v9, v15, v9
	s_delay_alu instid0(VALU_DEP_3) | instskip(NEXT) | instid1(VALU_DEP_1)
	v_dual_fmac_f32 v23, v26, v23 :: v_dual_add_nc_u32 v26, 1, v24
	v_dual_mul_f32 v17, v27, v22 :: v_dual_mul_f32 v18, v25, v23
	s_delay_alu instid0(VALU_DEP_2) | instskip(NEXT) | instid1(VALU_DEP_2)
	v_fma_f32 v8, -v26, v24, v16
	v_fma_f32 v20, -v12, v17, v27
	s_delay_alu instid0(VALU_DEP_3) | instskip(NEXT) | instid1(VALU_DEP_2)
	v_fma_f32 v28, -v21, v18, v25
	v_fmac_f32_e32 v17, v20, v22
	s_delay_alu instid0(VALU_DEP_2) | instskip(NEXT) | instid1(VALU_DEP_2)
	v_fmac_f32_e32 v18, v28, v23
	v_fma_f32 v10, -v12, v17, v27
	s_delay_alu instid0(VALU_DEP_2) | instskip(NEXT) | instid1(VALU_DEP_2)
	v_fma_f32 v2, -v21, v18, v25
	v_div_fmas_f32 v3, v10, v22, v17
	s_mov_b32 vcc_lo, s3
	v_cmp_lt_f32_e64 s3, 0, v8
	s_delay_alu instid0(VALU_DEP_3)
	v_div_fmas_f32 v2, v2, v23, v18
	v_cmp_ge_f32_e32 vcc_lo, 0, v7
	v_div_fixup_f32 v3, v3, v13, v14
	v_cndmask_b32_e32 v6, v24, v19, vcc_lo
	v_cmp_class_f32_e64 vcc_lo, v0, 0x1f8
	v_div_fixup_f32 v0, v2, v15, v9
	s_delay_alu instid0(VALU_DEP_3) | instskip(SKIP_1) | instid1(VALU_DEP_3)
	v_cndmask_b32_e64 v2, v6, v26, s3
	v_cndmask_b32_e32 v4, 0x7fc00000, v4, vcc_lo
	v_dual_mul_f32 v0, v5, v0 :: v_dual_cndmask_b32 v1, 0x7fc00000, v1
	v_cmp_class_f32_e64 vcc_lo, v16, 0x260
	s_delay_alu instid0(VALU_DEP_2) | instskip(NEXT) | instid1(VALU_DEP_1)
	v_dual_mul_f32 v5, 0x37800000, v2 :: v_dual_mul_f32 v0, v0, v4
	v_cndmask_b32_e64 v2, v2, v5, s2
	s_delay_alu instid0(VALU_DEP_1) | instskip(NEXT) | instid1(VALU_DEP_1)
	v_dual_fmac_f32 v0, v3, v1 :: v_dual_cndmask_b32 v1, v2, v16
	v_mul_f32_e32 v0, 0x3f4c422a, v0
	s_delay_alu instid0(VALU_DEP_1) | instskip(NEXT) | instid1(VALU_DEP_1)
	v_div_scale_f32 v2, null, v1, v1, v0
	v_rcp_f32_e32 v3, v2
	s_waitcnt_depctr 0xfff
	v_fma_f32 v4, -v2, v3, 1.0
	s_delay_alu instid0(VALU_DEP_1) | instskip(SKIP_1) | instid1(VALU_DEP_1)
	v_fmac_f32_e32 v3, v4, v3
	v_div_scale_f32 v4, vcc_lo, v0, v1, v0
	v_mul_f32_e32 v5, v4, v3
	s_delay_alu instid0(VALU_DEP_1) | instskip(NEXT) | instid1(VALU_DEP_1)
	v_fma_f32 v6, -v2, v5, v4
	v_fmac_f32_e32 v5, v6, v3
	s_delay_alu instid0(VALU_DEP_1) | instskip(NEXT) | instid1(VALU_DEP_1)
	v_fma_f32 v2, -v2, v5, v4
	v_div_fmas_f32 v2, v2, v3, v5
	s_delay_alu instid0(VALU_DEP_1)
	v_div_fixup_f32 v0, v2, v1, v0
.LBB23_730:
	s_or_b32 exec_lo, exec_lo, s5
	v_and_b32_e32 v4, 0xff, v43
	v_add_co_u32 v2, s2, s36, v42
	s_delay_alu instid0(VALU_DEP_1) | instskip(NEXT) | instid1(VALU_DEP_3)
	v_add_co_ci_u32_e64 v3, null, s37, 0, s2
	v_cmp_gt_i16_e32 vcc_lo, 11, v4
	s_mov_b32 s3, 0
	s_mov_b32 s4, -1
	s_mov_b32 s2, s68
	s_cbranch_vccnz .LBB23_737
; %bb.731:
	v_cmp_lt_i16_e32 vcc_lo, 25, v4
	s_cbranch_vccz .LBB23_778
; %bb.732:
	v_cmp_lt_i16_e32 vcc_lo, 28, v4
	s_cbranch_vccz .LBB23_779
	;; [unrolled: 3-line block ×4, first 2 shown]
; %bb.735:
	v_cmp_eq_u16_e32 vcc_lo, 46, v4
	s_mov_b32 s4, 0
	s_mov_b32 s2, -1
	s_cbranch_vccz .LBB23_782
; %bb.736:
	v_bfe_u32 v1, v0, 16, 1
	v_cmp_o_f32_e32 vcc_lo, v0, v0
	s_mov_b32 s3, -1
	s_mov_b32 s2, 0
	s_delay_alu instid0(VALU_DEP_2) | instskip(NEXT) | instid1(VALU_DEP_1)
	v_add3_u32 v1, v0, v1, 0x7fff
	v_lshrrev_b32_e32 v1, 16, v1
	s_delay_alu instid0(VALU_DEP_1)
	v_cndmask_b32_e32 v1, 0x7fc0, v1, vcc_lo
	global_store_b32 v[2:3], v1, off
	s_branch .LBB23_782
.LBB23_737:
	s_and_b32 vcc_lo, exec_lo, s4
	s_cbranch_vccz .LBB23_851
; %bb.738:
	v_cmp_gt_i16_e32 vcc_lo, 5, v4
	s_mov_b32 s3, -1
	s_cbranch_vccnz .LBB23_759
; %bb.739:
	v_cmp_gt_i16_e32 vcc_lo, 8, v4
	s_cbranch_vccnz .LBB23_749
; %bb.740:
	v_cmp_gt_i16_e32 vcc_lo, 9, v4
	s_cbranch_vccnz .LBB23_746
; %bb.741:
	v_cmp_lt_i16_e32 vcc_lo, 9, v4
	s_cbranch_vccz .LBB23_743
; %bb.742:
	v_cvt_f64_f32_e32 v[5:6], v0
	v_mov_b32_e32 v7, 0
	s_mov_b32 s3, 0
	s_delay_alu instid0(VALU_DEP_1)
	v_mov_b32_e32 v8, v7
	global_store_b128 v[2:3], v[5:8], off
.LBB23_743:
	s_and_not1_b32 vcc_lo, exec_lo, s3
	s_cbranch_vccnz .LBB23_745
; %bb.744:
	v_mov_b32_e32 v1, 0
	global_store_b64 v[2:3], v[0:1], off
.LBB23_745:
	s_mov_b32 s3, 0
.LBB23_746:
	s_delay_alu instid0(SALU_CYCLE_1)
	s_and_not1_b32 vcc_lo, exec_lo, s3
	s_cbranch_vccnz .LBB23_748
; %bb.747:
	v_cvt_f16_f32_e32 v1, v0
	s_delay_alu instid0(VALU_DEP_1)
	v_and_b32_e32 v1, 0xffff, v1
	global_store_b32 v[2:3], v1, off
.LBB23_748:
	s_mov_b32 s3, 0
.LBB23_749:
	s_delay_alu instid0(SALU_CYCLE_1)
	s_and_not1_b32 vcc_lo, exec_lo, s3
	s_cbranch_vccnz .LBB23_758
; %bb.750:
	v_cmp_gt_i16_e32 vcc_lo, 6, v4
	s_mov_b32 s3, -1
	s_cbranch_vccnz .LBB23_756
; %bb.751:
	v_cmp_lt_i16_e32 vcc_lo, 6, v4
	s_cbranch_vccz .LBB23_753
; %bb.752:
	v_cvt_f64_f32_e32 v[5:6], v0
	s_mov_b32 s3, 0
	global_store_b64 v[2:3], v[5:6], off
.LBB23_753:
	s_and_not1_b32 vcc_lo, exec_lo, s3
	s_cbranch_vccnz .LBB23_755
; %bb.754:
	global_store_b32 v[2:3], v0, off
.LBB23_755:
	s_mov_b32 s3, 0
.LBB23_756:
	s_delay_alu instid0(SALU_CYCLE_1)
	s_and_not1_b32 vcc_lo, exec_lo, s3
	s_cbranch_vccnz .LBB23_758
; %bb.757:
	v_cvt_f16_f32_e32 v1, v0
	global_store_b16 v[2:3], v1, off
.LBB23_758:
	s_mov_b32 s3, 0
.LBB23_759:
	s_delay_alu instid0(SALU_CYCLE_1)
	s_and_not1_b32 vcc_lo, exec_lo, s3
	s_cbranch_vccnz .LBB23_775
; %bb.760:
	v_cmp_gt_i16_e32 vcc_lo, 2, v4
	s_mov_b32 s3, -1
	s_cbranch_vccnz .LBB23_770
; %bb.761:
	v_cmp_gt_i16_e32 vcc_lo, 3, v4
	s_cbranch_vccnz .LBB23_767
; %bb.762:
	v_cmp_lt_i16_e32 vcc_lo, 3, v4
	s_cbranch_vccz .LBB23_764
; %bb.763:
	v_trunc_f32_e32 v1, v0
	s_mov_b32 s3, 0
	s_delay_alu instid0(VALU_DEP_1) | instskip(NEXT) | instid1(VALU_DEP_1)
	v_mul_f32_e64 v5, 0x2f800000, |v1|
	v_floor_f32_e32 v5, v5
	s_delay_alu instid0(VALU_DEP_1) | instskip(SKIP_2) | instid1(VALU_DEP_3)
	v_fma_f32 v6, 0xcf800000, v5, |v1|
	v_ashrrev_i32_e32 v1, 31, v1
	v_cvt_u32_f32_e32 v5, v5
	v_cvt_u32_f32_e32 v6, v6
	s_delay_alu instid0(VALU_DEP_2) | instskip(NEXT) | instid1(VALU_DEP_2)
	v_xor_b32_e32 v7, v5, v1
	v_xor_b32_e32 v6, v6, v1
	s_delay_alu instid0(VALU_DEP_1) | instskip(NEXT) | instid1(VALU_DEP_3)
	v_sub_co_u32 v5, vcc_lo, v6, v1
	v_sub_co_ci_u32_e32 v6, vcc_lo, v7, v1, vcc_lo
	global_store_b64 v[2:3], v[5:6], off
.LBB23_764:
	s_and_not1_b32 vcc_lo, exec_lo, s3
	s_cbranch_vccnz .LBB23_766
; %bb.765:
	v_cvt_i32_f32_e32 v1, v0
	global_store_b32 v[2:3], v1, off
.LBB23_766:
	s_mov_b32 s3, 0
.LBB23_767:
	s_delay_alu instid0(SALU_CYCLE_1)
	s_and_not1_b32 vcc_lo, exec_lo, s3
	s_cbranch_vccnz .LBB23_769
; %bb.768:
	v_cvt_i32_f32_e32 v1, v0
	global_store_b16 v[2:3], v1, off
.LBB23_769:
	s_mov_b32 s3, 0
.LBB23_770:
	s_delay_alu instid0(SALU_CYCLE_1)
	s_and_not1_b32 vcc_lo, exec_lo, s3
	s_cbranch_vccnz .LBB23_775
; %bb.771:
	v_cmp_lt_i16_e32 vcc_lo, 0, v4
	s_mov_b32 s3, -1
	s_cbranch_vccz .LBB23_773
; %bb.772:
	v_cvt_i32_f32_e32 v1, v0
	s_mov_b32 s3, 0
	global_store_b8 v[2:3], v1, off
.LBB23_773:
	s_and_not1_b32 vcc_lo, exec_lo, s3
	s_cbranch_vccnz .LBB23_775
; %bb.774:
	v_trunc_f32_e32 v0, v0
	s_delay_alu instid0(VALU_DEP_1) | instskip(NEXT) | instid1(VALU_DEP_1)
	v_mul_f32_e64 v1, 0x2f800000, |v0|
	v_floor_f32_e32 v1, v1
	s_delay_alu instid0(VALU_DEP_1) | instskip(SKIP_1) | instid1(VALU_DEP_2)
	v_fma_f32 v1, 0xcf800000, v1, |v0|
	v_ashrrev_i32_e32 v0, 31, v0
	v_cvt_u32_f32_e32 v1, v1
	s_delay_alu instid0(VALU_DEP_1) | instskip(NEXT) | instid1(VALU_DEP_1)
	v_xor_b32_e32 v1, v1, v0
	v_sub_nc_u32_e32 v0, v1, v0
	global_store_b8 v[2:3], v0, off
.LBB23_775:
	s_branch .LBB23_852
.LBB23_776:
	s_mov_b32 s3, 0
.LBB23_777:
                                        ; implicit-def: $vgpr46
	s_branch .LBB23_853
.LBB23_778:
	s_mov_b32 s2, s68
	s_branch .LBB23_809
.LBB23_779:
	s_mov_b32 s2, s68
	s_branch .LBB23_792
.LBB23_780:
	s_mov_b32 s2, s68
	s_branch .LBB23_788
.LBB23_781:
	s_mov_b32 s2, s68
.LBB23_782:
	s_and_b32 vcc_lo, exec_lo, s4
	s_cbranch_vccz .LBB23_787
; %bb.783:
	v_cmp_eq_u16_e32 vcc_lo, 44, v4
	s_mov_b32 s2, -1
	s_cbranch_vccz .LBB23_787
; %bb.784:
	v_bfe_u32 v5, v0, 23, 8
	v_mov_b32_e32 v1, 0xff
	s_mov_b32 s3, exec_lo
	s_delay_alu instid0(VALU_DEP_2)
	v_cmpx_ne_u32_e32 0xff, v5
; %bb.785:
	v_and_b32_e32 v1, 0x400000, v0
	v_and_or_b32 v5, 0x3fffff, v0, v5
	s_delay_alu instid0(VALU_DEP_2) | instskip(NEXT) | instid1(VALU_DEP_2)
	v_cmp_ne_u32_e32 vcc_lo, 0, v1
	v_cmp_ne_u32_e64 s2, 0, v5
	v_lshrrev_b32_e32 v1, 23, v0
	s_delay_alu instid0(VALU_DEP_2) | instskip(NEXT) | instid1(SALU_CYCLE_1)
	s_and_b32 s2, vcc_lo, s2
	v_cndmask_b32_e64 v5, 0, 1, s2
	s_delay_alu instid0(VALU_DEP_1)
	v_add_nc_u32_e32 v1, v1, v5
; %bb.786:
	s_or_b32 exec_lo, exec_lo, s3
	s_mov_b32 s3, -1
	s_mov_b32 s2, 0
	global_store_b8 v[2:3], v1, off
.LBB23_787:
	s_mov_b32 s4, 0
.LBB23_788:
	s_delay_alu instid0(SALU_CYCLE_1)
	s_and_b32 vcc_lo, exec_lo, s4
	s_cbranch_vccz .LBB23_791
; %bb.789:
	v_cmp_eq_u16_e32 vcc_lo, 29, v4
	s_mov_b32 s2, -1
	s_cbranch_vccz .LBB23_791
; %bb.790:
	v_trunc_f32_e32 v1, v0
	s_mov_b32 s3, -1
	s_mov_b32 s2, 0
	s_mov_b32 s4, 0
	s_delay_alu instid0(VALU_DEP_1) | instskip(NEXT) | instid1(VALU_DEP_1)
	v_mul_f32_e32 v5, 0x2f800000, v1
	v_floor_f32_e32 v5, v5
	s_delay_alu instid0(VALU_DEP_1) | instskip(SKIP_1) | instid1(VALU_DEP_2)
	v_fmamk_f32 v1, v5, 0xcf800000, v1
	v_cvt_u32_f32_e32 v6, v5
	v_cvt_u32_f32_e32 v5, v1
	global_store_b64 v[2:3], v[5:6], off
	s_branch .LBB23_792
.LBB23_791:
	s_mov_b32 s4, 0
.LBB23_792:
	s_delay_alu instid0(SALU_CYCLE_1)
	s_and_b32 vcc_lo, exec_lo, s4
	s_cbranch_vccz .LBB23_808
; %bb.793:
	v_cmp_gt_i16_e32 vcc_lo, 27, v4
	s_mov_b32 s3, -1
	s_cbranch_vccnz .LBB23_799
; %bb.794:
	v_cmp_lt_i16_e32 vcc_lo, 27, v4
	s_cbranch_vccz .LBB23_796
; %bb.795:
	v_cvt_u32_f32_e32 v1, v0
	s_mov_b32 s3, 0
	global_store_b32 v[2:3], v1, off
.LBB23_796:
	s_and_not1_b32 vcc_lo, exec_lo, s3
	s_cbranch_vccnz .LBB23_798
; %bb.797:
	v_cvt_u32_f32_e32 v1, v0
	global_store_b16 v[2:3], v1, off
.LBB23_798:
	s_mov_b32 s3, 0
.LBB23_799:
	s_delay_alu instid0(SALU_CYCLE_1)
	s_and_not1_b32 vcc_lo, exec_lo, s3
	s_cbranch_vccnz .LBB23_807
; %bb.800:
	v_and_b32_e32 v1, 0x7fffffff, v0
	v_mov_b32_e32 v5, 0x80
	s_mov_b32 s3, exec_lo
	s_delay_alu instid0(VALU_DEP_2)
	v_cmpx_gt_u32_e32 0x43800000, v1
	s_cbranch_execz .LBB23_806
; %bb.801:
	v_cmp_lt_u32_e32 vcc_lo, 0x3bffffff, v1
	s_mov_b32 s4, 0
                                        ; implicit-def: $vgpr1
	s_and_saveexec_b32 s5, vcc_lo
	s_delay_alu instid0(SALU_CYCLE_1)
	s_xor_b32 s5, exec_lo, s5
	s_cbranch_execz .LBB23_880
; %bb.802:
	v_bfe_u32 v1, v0, 20, 1
	s_mov_b32 s4, exec_lo
	s_delay_alu instid0(VALU_DEP_1) | instskip(NEXT) | instid1(VALU_DEP_1)
	v_add3_u32 v1, v0, v1, 0x487ffff
	v_lshrrev_b32_e32 v1, 20, v1
	s_or_saveexec_b32 s5, s5
                                        ; implicit-def: $sgpr6
	s_delay_alu instid0(SALU_CYCLE_1)
	s_xor_b32 exec_lo, exec_lo, s5
	s_cbranch_execnz .LBB23_881
.LBB23_803:
	s_or_b32 exec_lo, exec_lo, s5
	v_mov_b32_e32 v5, s6
	s_and_saveexec_b32 s5, s4
.LBB23_804:
	v_lshrrev_b32_e32 v5, 24, v0
	s_delay_alu instid0(VALU_DEP_1)
	v_and_or_b32 v5, 0x80, v5, v1
.LBB23_805:
	s_or_b32 exec_lo, exec_lo, s5
.LBB23_806:
	s_delay_alu instid0(SALU_CYCLE_1)
	s_or_b32 exec_lo, exec_lo, s3
	global_store_b8 v[2:3], v5, off
.LBB23_807:
	s_mov_b32 s3, -1
.LBB23_808:
	s_mov_b32 s4, 0
.LBB23_809:
	s_delay_alu instid0(SALU_CYCLE_1)
	s_and_b32 vcc_lo, exec_lo, s4
	s_cbranch_vccz .LBB23_850
; %bb.810:
	v_cmp_lt_i16_e32 vcc_lo, 22, v4
	s_mov_b32 s4, -1
	s_cbranch_vccz .LBB23_842
; %bb.811:
	v_cmp_gt_i16_e32 vcc_lo, 24, v4
	s_mov_b32 s3, -1
	s_cbranch_vccnz .LBB23_831
; %bb.812:
	v_cmp_lt_i16_e32 vcc_lo, 24, v4
	s_cbranch_vccz .LBB23_820
; %bb.813:
	v_and_b32_e32 v1, 0x7fffffff, v0
	v_mov_b32_e32 v5, 0x80
	s_mov_b32 s3, exec_lo
	s_delay_alu instid0(VALU_DEP_2)
	v_cmpx_gt_u32_e32 0x47800000, v1
	s_cbranch_execz .LBB23_819
; %bb.814:
	v_cmp_lt_u32_e32 vcc_lo, 0x37ffffff, v1
	s_mov_b32 s4, 0
                                        ; implicit-def: $vgpr1
	s_and_saveexec_b32 s5, vcc_lo
	s_delay_alu instid0(SALU_CYCLE_1)
	s_xor_b32 s5, exec_lo, s5
	s_cbranch_execz .LBB23_883
; %bb.815:
	v_bfe_u32 v1, v0, 21, 1
	s_mov_b32 s4, exec_lo
	s_delay_alu instid0(VALU_DEP_1) | instskip(NEXT) | instid1(VALU_DEP_1)
	v_add3_u32 v1, v0, v1, 0x88fffff
	v_lshrrev_b32_e32 v1, 21, v1
	s_or_saveexec_b32 s5, s5
                                        ; implicit-def: $sgpr6
	s_delay_alu instid0(SALU_CYCLE_1)
	s_xor_b32 exec_lo, exec_lo, s5
	s_cbranch_execnz .LBB23_884
.LBB23_816:
	s_or_b32 exec_lo, exec_lo, s5
	v_mov_b32_e32 v5, s6
	s_and_saveexec_b32 s5, s4
.LBB23_817:
	v_lshrrev_b32_e32 v5, 24, v0
	s_delay_alu instid0(VALU_DEP_1)
	v_and_or_b32 v5, 0x80, v5, v1
.LBB23_818:
	s_or_b32 exec_lo, exec_lo, s5
.LBB23_819:
	s_delay_alu instid0(SALU_CYCLE_1)
	s_or_b32 exec_lo, exec_lo, s3
	s_mov_b32 s3, 0
	global_store_b8 v[2:3], v5, off
.LBB23_820:
	s_and_b32 vcc_lo, exec_lo, s3
	s_cbranch_vccz .LBB23_830
; %bb.821:
	v_and_b32_e32 v5, 0x7fffffff, v0
	s_mov_b32 s3, exec_lo
                                        ; implicit-def: $vgpr1
	s_delay_alu instid0(VALU_DEP_1)
	v_cmpx_gt_u32_e32 0x43f00000, v5
	s_xor_b32 s3, exec_lo, s3
	s_cbranch_execz .LBB23_827
; %bb.822:
	s_mov_b32 s4, exec_lo
                                        ; implicit-def: $vgpr1
	v_cmpx_lt_u32_e32 0x3c7fffff, v5
	s_xor_b32 s4, exec_lo, s4
; %bb.823:
	v_bfe_u32 v1, v0, 20, 1
	s_delay_alu instid0(VALU_DEP_1) | instskip(NEXT) | instid1(VALU_DEP_1)
	v_add3_u32 v1, v0, v1, 0x407ffff
	v_and_b32_e32 v5, 0xff00000, v1
	v_lshrrev_b32_e32 v1, 20, v1
	s_delay_alu instid0(VALU_DEP_2) | instskip(NEXT) | instid1(VALU_DEP_2)
	v_cmp_ne_u32_e32 vcc_lo, 0x7f00000, v5
	v_cndmask_b32_e32 v1, 0x7e, v1, vcc_lo
; %bb.824:
	s_and_not1_saveexec_b32 s4, s4
; %bb.825:
	v_add_f32_e64 v1, 0x46800000, |v0|
; %bb.826:
	s_or_b32 exec_lo, exec_lo, s4
                                        ; implicit-def: $vgpr5
.LBB23_827:
	s_and_not1_saveexec_b32 s3, s3
; %bb.828:
	v_mov_b32_e32 v1, 0x7f
	v_cmp_lt_u32_e32 vcc_lo, 0x7f800000, v5
	s_delay_alu instid0(VALU_DEP_2)
	v_cndmask_b32_e32 v1, 0x7e, v1, vcc_lo
; %bb.829:
	s_or_b32 exec_lo, exec_lo, s3
	v_lshrrev_b32_e32 v5, 24, v0
	s_delay_alu instid0(VALU_DEP_1)
	v_and_or_b32 v1, 0x80, v5, v1
	global_store_b8 v[2:3], v1, off
.LBB23_830:
	s_mov_b32 s3, 0
.LBB23_831:
	s_delay_alu instid0(SALU_CYCLE_1)
	s_and_not1_b32 vcc_lo, exec_lo, s3
	s_cbranch_vccnz .LBB23_841
; %bb.832:
	v_and_b32_e32 v5, 0x7fffffff, v0
	s_mov_b32 s3, exec_lo
                                        ; implicit-def: $vgpr1
	s_delay_alu instid0(VALU_DEP_1)
	v_cmpx_gt_u32_e32 0x47800000, v5
	s_xor_b32 s3, exec_lo, s3
	s_cbranch_execz .LBB23_838
; %bb.833:
	s_mov_b32 s4, exec_lo
                                        ; implicit-def: $vgpr1
	v_cmpx_lt_u32_e32 0x387fffff, v5
	s_xor_b32 s4, exec_lo, s4
; %bb.834:
	v_bfe_u32 v1, v0, 21, 1
	s_delay_alu instid0(VALU_DEP_1) | instskip(NEXT) | instid1(VALU_DEP_1)
	v_add3_u32 v1, v0, v1, 0x80fffff
	v_lshrrev_b32_e32 v1, 21, v1
; %bb.835:
	s_and_not1_saveexec_b32 s4, s4
; %bb.836:
	v_add_f32_e64 v1, 0x43000000, |v0|
; %bb.837:
	s_or_b32 exec_lo, exec_lo, s4
                                        ; implicit-def: $vgpr5
.LBB23_838:
	s_and_not1_saveexec_b32 s3, s3
; %bb.839:
	v_mov_b32_e32 v1, 0x7f
	v_cmp_lt_u32_e32 vcc_lo, 0x7f800000, v5
	s_delay_alu instid0(VALU_DEP_2)
	v_cndmask_b32_e32 v1, 0x7c, v1, vcc_lo
; %bb.840:
	s_or_b32 exec_lo, exec_lo, s3
	v_lshrrev_b32_e32 v5, 24, v0
	s_delay_alu instid0(VALU_DEP_1)
	v_and_or_b32 v1, 0x80, v5, v1
	global_store_b8 v[2:3], v1, off
.LBB23_841:
	s_mov_b32 s4, 0
	s_mov_b32 s3, -1
.LBB23_842:
	s_and_not1_b32 vcc_lo, exec_lo, s4
	s_cbranch_vccnz .LBB23_850
; %bb.843:
	v_cmp_lt_i16_e32 vcc_lo, 14, v4
	s_mov_b32 s4, -1
	s_cbranch_vccz .LBB23_847
; %bb.844:
	v_cmp_eq_u16_e32 vcc_lo, 15, v4
	s_mov_b32 s2, -1
	s_cbranch_vccz .LBB23_846
; %bb.845:
	v_bfe_u32 v1, v0, 16, 1
	v_cmp_o_f32_e32 vcc_lo, v0, v0
	s_mov_b32 s3, -1
	s_mov_b32 s2, 0
	s_delay_alu instid0(VALU_DEP_2) | instskip(NEXT) | instid1(VALU_DEP_1)
	v_add3_u32 v1, v0, v1, 0x7fff
	v_lshrrev_b32_e32 v1, 16, v1
	s_delay_alu instid0(VALU_DEP_1)
	v_cndmask_b32_e32 v1, 0x7fc0, v1, vcc_lo
	global_store_b16 v[2:3], v1, off
.LBB23_846:
	s_mov_b32 s4, 0
.LBB23_847:
	s_delay_alu instid0(SALU_CYCLE_1)
	s_and_b32 vcc_lo, exec_lo, s4
	s_cbranch_vccz .LBB23_850
; %bb.848:
	v_cmp_eq_u16_e32 vcc_lo, 11, v4
	s_mov_b32 s2, -1
	s_cbranch_vccz .LBB23_850
; %bb.849:
	v_cmp_neq_f32_e32 vcc_lo, 0, v0
	s_mov_b32 s2, 0
	s_mov_b32 s3, -1
	v_cndmask_b32_e64 v1, 0, 1, vcc_lo
	global_store_b8 v[2:3], v1, off
.LBB23_850:
.LBB23_851:
	s_and_not1_b32 vcc_lo, exec_lo, s3
	s_cbranch_vccnz .LBB23_776
.LBB23_852:
	v_add_nc_u32_e32 v46, 0x80, v46
	s_mov_b32 s3, -1
.LBB23_853:
	s_and_not1_b32 s4, s68, exec_lo
	s_and_b32 s2, s2, exec_lo
	s_and_not1_b32 s5, s67, exec_lo
	s_and_b32 s6, s71, exec_lo
	s_or_b32 s7, s4, s2
	s_or_b32 s6, s5, s6
	s_or_not1_b32 s5, s3, exec_lo
.LBB23_854:
	s_or_b32 exec_lo, exec_lo, s70
	s_mov_b32 s2, 0
	s_mov_b32 s3, 0
	;; [unrolled: 1-line block ×3, first 2 shown]
                                        ; implicit-def: $vgpr0_vgpr1
                                        ; implicit-def: $vgpr42
                                        ; implicit-def: $vgpr41
	s_and_saveexec_b32 s8, s5
	s_cbranch_execz .LBB23_952
; %bb.855:
	s_mov_b32 s10, s6
	s_mov_b32 s5, 0
	s_mov_b32 s9, exec_lo
                                        ; implicit-def: $vgpr0_vgpr1
                                        ; implicit-def: $vgpr42
                                        ; implicit-def: $vgpr41
	v_cmpx_gt_i32_e64 s61, v46
	s_cbranch_execz .LBB23_951
; %bb.856:
	s_and_not1_b32 vcc_lo, exec_lo, s58
	s_cbranch_vccnz .LBB23_861
; %bb.857:
	v_mov_b32_e32 v42, 0
	v_mov_b32_e32 v0, 0
	s_and_not1_b32 vcc_lo, exec_lo, s63
	s_mov_b32 s10, 0
	s_cbranch_vccnz .LBB23_866
; %bb.858:
	v_mov_b32_e32 v42, 0
	s_add_i32 s62, s62, 1
	s_cmp_eq_u32 s56, 2
	s_cbranch_scc1 .LBB23_862
; %bb.859:
	v_dual_mov_b32 v0, 0 :: v_dual_mov_b32 v1, v46
	v_mov_b32_e32 v42, 0
	s_and_b32 s4, s62, 28
	s_mov_b64 s[2:3], s[48:49]
.LBB23_860:                             ; =>This Inner Loop Header: Depth=1
	s_clause 0x1
	s_load_b256 s[12:19], s[2:3], 0x4
	s_load_b128 s[28:31], s[2:3], 0x24
	s_load_b256 s[20:27], s[52:53], 0x0
	s_add_u32 s2, s2, 48
	s_addc_u32 s3, s3, 0
	s_add_i32 s5, s5, 4
	s_add_u32 s52, s52, 32
	s_addc_u32 s53, s53, 0
	s_cmp_eq_u32 s4, s5
	s_waitcnt lgkmcnt(0)
	v_mul_hi_u32 v2, s13, v1
	s_delay_alu instid0(VALU_DEP_1) | instskip(NEXT) | instid1(VALU_DEP_1)
	v_add_nc_u32_e32 v2, v1, v2
	v_lshrrev_b32_e32 v2, s14, v2
	s_delay_alu instid0(VALU_DEP_1) | instskip(SKIP_1) | instid1(VALU_DEP_2)
	v_mul_hi_u32 v3, s16, v2
	v_mul_lo_u32 v5, v2, s12
	v_add_nc_u32_e32 v3, v2, v3
	s_delay_alu instid0(VALU_DEP_2) | instskip(NEXT) | instid1(VALU_DEP_2)
	v_sub_nc_u32_e32 v1, v1, v5
	v_lshrrev_b32_e32 v3, s17, v3
	s_delay_alu instid0(VALU_DEP_2) | instskip(SKIP_1) | instid1(VALU_DEP_3)
	v_mul_lo_u32 v5, v1, s20
	v_mul_lo_u32 v7, v1, s21
	v_mul_hi_u32 v4, s19, v3
	s_delay_alu instid0(VALU_DEP_1) | instskip(NEXT) | instid1(VALU_DEP_1)
	v_add_nc_u32_e32 v4, v3, v4
	v_lshrrev_b32_e32 v4, s28, v4
	s_delay_alu instid0(VALU_DEP_1) | instskip(SKIP_1) | instid1(VALU_DEP_2)
	v_mul_hi_u32 v6, s30, v4
	v_mul_lo_u32 v8, v4, s18
	v_add_nc_u32_e32 v1, v4, v6
	v_mul_lo_u32 v6, v3, s15
	s_delay_alu instid0(VALU_DEP_3) | instskip(NEXT) | instid1(VALU_DEP_3)
	v_sub_nc_u32_e32 v3, v3, v8
	v_lshrrev_b32_e32 v1, s31, v1
	s_delay_alu instid0(VALU_DEP_2) | instskip(SKIP_2) | instid1(VALU_DEP_4)
	v_mul_lo_u32 v8, v3, s24
	v_mul_lo_u32 v3, v3, s25
	v_sub_nc_u32_e32 v2, v2, v6
	v_mul_lo_u32 v9, v1, s29
	s_delay_alu instid0(VALU_DEP_2) | instskip(SKIP_1) | instid1(VALU_DEP_3)
	v_mul_lo_u32 v6, v2, s22
	v_mul_lo_u32 v2, v2, s23
	v_sub_nc_u32_e32 v4, v4, v9
	s_delay_alu instid0(VALU_DEP_3) | instskip(NEXT) | instid1(VALU_DEP_2)
	v_add3_u32 v5, v5, v42, v6
	v_mul_lo_u32 v9, v4, s26
	v_mul_lo_u32 v4, v4, s27
	v_add3_u32 v0, v7, v0, v2
	s_delay_alu instid0(VALU_DEP_3) | instskip(NEXT) | instid1(VALU_DEP_2)
	v_add3_u32 v42, v8, v5, v9
	v_add3_u32 v0, v3, v0, v4
	s_cbranch_scc0 .LBB23_860
	s_branch .LBB23_863
.LBB23_861:
	s_mov_b32 s10, -1
                                        ; implicit-def: $vgpr42
                                        ; implicit-def: $vgpr0
	s_branch .LBB23_866
.LBB23_862:
	v_dual_mov_b32 v1, v46 :: v_dual_mov_b32 v0, 0
.LBB23_863:
	s_and_b32 s11, s62, 3
	s_delay_alu instid0(SALU_CYCLE_1)
	s_cmp_eq_u32 s11, 0
	s_cbranch_scc1 .LBB23_866
; %bb.864:
	s_lshl_b32 s2, s4, 3
	s_mul_i32 s4, s4, 12
	s_add_u32 s2, s2, s48
	s_addc_u32 s3, s49, 0
	s_add_u32 s2, s2, 0xc4
	s_addc_u32 s3, s3, 0
	;; [unrolled: 2-line block ×3, first 2 shown]
.LBB23_865:                             ; =>This Inner Loop Header: Depth=1
	s_clause 0x1
	s_load_b64 s[12:13], s[4:5], 0x4
	s_load_b32 s16, s[4:5], 0xc
	s_load_b64 s[14:15], s[2:3], 0x0
	s_add_u32 s4, s4, 12
	s_addc_u32 s5, s5, 0
	s_add_u32 s2, s2, 8
	s_addc_u32 s3, s3, 0
	s_add_i32 s11, s11, -1
	s_delay_alu instid0(SALU_CYCLE_1) | instskip(SKIP_2) | instid1(VALU_DEP_1)
	s_cmp_lg_u32 s11, 0
	s_waitcnt lgkmcnt(0)
	v_mul_hi_u32 v2, s13, v1
	v_add_nc_u32_e32 v2, v1, v2
	s_delay_alu instid0(VALU_DEP_1) | instskip(NEXT) | instid1(VALU_DEP_1)
	v_lshrrev_b32_e32 v5, s16, v2
	v_mul_lo_u32 v2, v5, s12
	s_delay_alu instid0(VALU_DEP_1) | instskip(NEXT) | instid1(VALU_DEP_1)
	v_sub_nc_u32_e32 v1, v1, v2
	v_mad_u64_u32 v[2:3], null, v1, s14, v[42:43]
	v_mad_u64_u32 v[3:4], null, v1, s15, v[0:1]
	s_delay_alu instid0(VALU_DEP_2) | instskip(NEXT) | instid1(VALU_DEP_2)
	v_dual_mov_b32 v1, v5 :: v_dual_mov_b32 v42, v2
	v_mov_b32_e32 v0, v3
	s_cbranch_scc1 .LBB23_865
.LBB23_866:
	s_and_not1_b32 vcc_lo, exec_lo, s10
	s_cbranch_vccnz .LBB23_869
; %bb.867:
	s_waitcnt lgkmcnt(0)
	v_mul_hi_u32 v0, s45, v46
	s_and_not1_b32 vcc_lo, exec_lo, s60
	s_delay_alu instid0(VALU_DEP_1) | instskip(NEXT) | instid1(VALU_DEP_1)
	v_add_nc_u32_e32 v0, v46, v0
	v_lshrrev_b32_e32 v1, s46, v0
	s_delay_alu instid0(VALU_DEP_1) | instskip(NEXT) | instid1(VALU_DEP_1)
	v_mul_lo_u32 v0, v1, s44
	v_sub_nc_u32_e32 v0, v46, v0
	s_delay_alu instid0(VALU_DEP_1)
	v_mul_lo_u32 v42, v0, s40
	v_mul_lo_u32 v0, v0, s41
	s_cbranch_vccnz .LBB23_869
; %bb.868:
	v_mul_hi_u32 v2, s50, v1
	s_delay_alu instid0(VALU_DEP_1) | instskip(NEXT) | instid1(VALU_DEP_1)
	v_add_nc_u32_e32 v2, v1, v2
	v_lshrrev_b32_e32 v2, s51, v2
	s_delay_alu instid0(VALU_DEP_1) | instskip(NEXT) | instid1(VALU_DEP_1)
	v_mul_lo_u32 v2, v2, s47
	v_sub_nc_u32_e32 v4, v1, v2
	s_delay_alu instid0(VALU_DEP_1) | instskip(NEXT) | instid1(VALU_DEP_1)
	v_mad_u64_u32 v[1:2], null, v4, s42, v[42:43]
	v_mad_u64_u32 v[2:3], null, v4, s43, v[0:1]
	v_mov_b32_e32 v42, v1
	s_delay_alu instid0(VALU_DEP_2)
	v_mov_b32_e32 v0, v2
.LBB23_869:
	v_cmp_gt_i16_e32 vcc_lo, 11, v44
	s_waitcnt lgkmcnt(0)
	s_delay_alu instid0(VALU_DEP_2) | instskip(NEXT) | instid1(VALU_DEP_1)
	v_add_co_u32 v0, s2, s38, v0
	v_add_co_ci_u32_e64 v1, null, s39, 0, s2
	s_mov_b32 s4, 0
	s_cbranch_vccnz .LBB23_876
; %bb.870:
	v_cmp_lt_i16_e32 vcc_lo, 25, v44
	s_mov_b32 s3, 0
	s_cbranch_vccz .LBB23_877
; %bb.871:
	v_cmp_lt_i16_e32 vcc_lo, 28, v44
	s_cbranch_vccz .LBB23_878
; %bb.872:
	v_cmp_lt_i16_e32 vcc_lo, 43, v44
	;; [unrolled: 3-line block ×3, first 2 shown]
	s_cbranch_vccz .LBB23_882
; %bb.874:
	v_cmp_eq_u16_e32 vcc_lo, 46, v44
	s_mov_b32 s5, 0
	s_cbranch_vccz .LBB23_885
; %bb.875:
	global_load_b32 v2, v[0:1], off
	s_mov_b32 s2, 0
	s_mov_b32 s4, -1
	s_waitcnt vmcnt(0)
	v_lshlrev_b32_e32 v41, 16, v2
	s_branch .LBB23_887
.LBB23_876:
	s_mov_b32 s5, -1
	s_mov_b32 s3, 0
	s_mov_b32 s2, s6
                                        ; implicit-def: $vgpr41
	s_branch .LBB23_950
.LBB23_877:
	s_mov_b32 s5, -1
	s_mov_b32 s2, s6
                                        ; implicit-def: $vgpr41
	s_branch .LBB23_916
.LBB23_878:
	s_mov_b32 s5, -1
	s_mov_b32 s2, s6
                                        ; implicit-def: $vgpr41
	s_branch .LBB23_897
.LBB23_879:
	s_mov_b32 s5, -1
	s_mov_b32 s2, s6
                                        ; implicit-def: $vgpr41
	s_branch .LBB23_892
.LBB23_880:
	s_or_saveexec_b32 s5, s5
                                        ; implicit-def: $sgpr6
	s_delay_alu instid0(SALU_CYCLE_1)
	s_xor_b32 exec_lo, exec_lo, s5
	s_cbranch_execz .LBB23_803
.LBB23_881:
	v_add_f32_e64 v1, 0x46000000, |v0|
	s_and_not1_b32 s4, s4, exec_lo
	s_mov_b32 s6, 0
	s_delay_alu instid0(VALU_DEP_1) | instskip(NEXT) | instid1(VALU_DEP_1)
	v_and_b32_e32 v1, 0xff, v1
	v_cmp_ne_u32_e32 vcc_lo, 0, v1
	s_and_b32 s7, vcc_lo, exec_lo
	s_delay_alu instid0(SALU_CYCLE_1)
	s_or_b32 s4, s4, s7
	s_or_b32 exec_lo, exec_lo, s5
	v_mov_b32_e32 v5, s6
	s_and_saveexec_b32 s5, s4
	s_cbranch_execnz .LBB23_804
	s_branch .LBB23_805
.LBB23_882:
	s_mov_b32 s5, -1
	s_mov_b32 s2, s6
	s_branch .LBB23_886
.LBB23_883:
	s_or_saveexec_b32 s5, s5
                                        ; implicit-def: $sgpr6
	s_delay_alu instid0(SALU_CYCLE_1)
	s_xor_b32 exec_lo, exec_lo, s5
	s_cbranch_execz .LBB23_816
.LBB23_884:
	v_add_f32_e64 v1, 0x42800000, |v0|
	s_and_not1_b32 s4, s4, exec_lo
	s_mov_b32 s6, 0
	s_delay_alu instid0(VALU_DEP_1) | instskip(NEXT) | instid1(VALU_DEP_1)
	v_and_b32_e32 v1, 0xff, v1
	v_cmp_ne_u32_e32 vcc_lo, 0, v1
	s_and_b32 s7, vcc_lo, exec_lo
	s_delay_alu instid0(SALU_CYCLE_1)
	s_or_b32 s4, s4, s7
	s_or_b32 exec_lo, exec_lo, s5
	v_mov_b32_e32 v5, s6
	s_and_saveexec_b32 s5, s4
	s_cbranch_execnz .LBB23_817
	s_branch .LBB23_818
.LBB23_885:
	s_mov_b32 s2, -1
.LBB23_886:
                                        ; implicit-def: $vgpr41
.LBB23_887:
	s_and_b32 vcc_lo, exec_lo, s5
	s_cbranch_vccz .LBB23_891
; %bb.888:
	v_cmp_eq_u16_e32 vcc_lo, 44, v44
	s_cbranch_vccz .LBB23_890
; %bb.889:
	global_load_u8 v2, v[0:1], off
	s_mov_b32 s2, 0
	s_mov_b32 s4, -1
	s_waitcnt vmcnt(0)
	v_lshlrev_b32_e32 v3, 23, v2
	v_cmp_ne_u32_e32 vcc_lo, 0xff, v2
	s_delay_alu instid0(VALU_DEP_2) | instskip(SKIP_1) | instid1(VALU_DEP_2)
	v_cndmask_b32_e32 v3, 0x7f800001, v3, vcc_lo
	v_cmp_ne_u32_e32 vcc_lo, 0, v2
	v_cndmask_b32_e32 v41, 0x400000, v3, vcc_lo
	s_branch .LBB23_891
.LBB23_890:
	s_mov_b32 s2, -1
                                        ; implicit-def: $vgpr41
.LBB23_891:
	s_mov_b32 s5, 0
.LBB23_892:
	s_delay_alu instid0(SALU_CYCLE_1)
	s_and_b32 vcc_lo, exec_lo, s5
	s_cbranch_vccz .LBB23_896
; %bb.893:
	v_cmp_eq_u16_e32 vcc_lo, 29, v44
	s_cbranch_vccz .LBB23_895
; %bb.894:
	global_load_b64 v[2:3], v[0:1], off
	s_mov_b32 s2, 0
	s_mov_b32 s4, -1
	s_mov_b32 s5, 0
	s_waitcnt vmcnt(0)
	v_clz_i32_u32_e32 v4, v3
	s_delay_alu instid0(VALU_DEP_1) | instskip(NEXT) | instid1(VALU_DEP_1)
	v_min_u32_e32 v4, 32, v4
	v_lshlrev_b64 v[2:3], v4, v[2:3]
	s_delay_alu instid0(VALU_DEP_1) | instskip(NEXT) | instid1(VALU_DEP_1)
	v_min_u32_e32 v2, 1, v2
	v_or_b32_e32 v2, v3, v2
	v_sub_nc_u32_e32 v3, 32, v4
	s_delay_alu instid0(VALU_DEP_2) | instskip(NEXT) | instid1(VALU_DEP_1)
	v_cvt_f32_u32_e32 v2, v2
	v_ldexp_f32 v41, v2, v3
	s_branch .LBB23_897
.LBB23_895:
	s_mov_b32 s2, -1
                                        ; implicit-def: $vgpr41
.LBB23_896:
	s_mov_b32 s5, 0
.LBB23_897:
	s_delay_alu instid0(SALU_CYCLE_1)
	s_and_b32 vcc_lo, exec_lo, s5
	s_cbranch_vccz .LBB23_915
; %bb.898:
	v_cmp_gt_i16_e32 vcc_lo, 27, v44
	s_cbranch_vccnz .LBB23_901
; %bb.899:
	v_cmp_lt_i16_e32 vcc_lo, 27, v44
	s_cbranch_vccz .LBB23_902
; %bb.900:
	global_load_b32 v2, v[0:1], off
	s_mov_b32 s4, 0
	s_waitcnt vmcnt(0)
	v_cvt_f32_u32_e32 v41, v2
	s_branch .LBB23_903
.LBB23_901:
	s_mov_b32 s4, -1
                                        ; implicit-def: $vgpr41
	s_branch .LBB23_906
.LBB23_902:
	s_mov_b32 s4, -1
                                        ; implicit-def: $vgpr41
.LBB23_903:
	s_delay_alu instid0(SALU_CYCLE_1)
	s_and_not1_b32 vcc_lo, exec_lo, s4
	s_cbranch_vccnz .LBB23_905
; %bb.904:
	global_load_u16 v2, v[0:1], off
	s_waitcnt vmcnt(0)
	v_cvt_f32_u32_e32 v41, v2
.LBB23_905:
	s_mov_b32 s4, 0
.LBB23_906:
	s_delay_alu instid0(SALU_CYCLE_1)
	s_and_not1_b32 vcc_lo, exec_lo, s4
	s_cbranch_vccnz .LBB23_914
; %bb.907:
	global_load_u8 v2, v[0:1], off
	s_mov_b32 s4, 0
	s_mov_b32 s10, exec_lo
                                        ; implicit-def: $sgpr5
	s_waitcnt vmcnt(0)
	v_cmpx_lt_i16_e32 0x7f, v2
	s_xor_b32 s10, exec_lo, s10
	s_cbranch_execz .LBB23_928
; %bb.908:
	s_mov_b32 s4, -1
	s_mov_b32 s11, exec_lo
                                        ; implicit-def: $sgpr5
	v_cmpx_eq_u16_e32 0x80, v2
; %bb.909:
	s_mov_b32 s5, 0x7f800001
	s_xor_b32 s4, exec_lo, -1
; %bb.910:
	s_or_b32 exec_lo, exec_lo, s11
	s_delay_alu instid0(SALU_CYCLE_1)
	s_and_b32 s4, s4, exec_lo
	s_or_saveexec_b32 s10, s10
	v_mov_b32_e32 v41, s5
	s_xor_b32 exec_lo, exec_lo, s10
	s_cbranch_execnz .LBB23_929
.LBB23_911:
	s_or_b32 exec_lo, exec_lo, s10
	s_and_saveexec_b32 s5, s4
	s_cbranch_execz .LBB23_913
.LBB23_912:
	v_and_b32_e32 v3, 0xffff, v2
	v_lshlrev_b32_e32 v2, 24, v2
	s_delay_alu instid0(VALU_DEP_2) | instskip(NEXT) | instid1(VALU_DEP_2)
	v_and_b32_e32 v4, 7, v3
	v_and_b32_e32 v2, 0x80000000, v2
	s_delay_alu instid0(VALU_DEP_2) | instskip(NEXT) | instid1(VALU_DEP_1)
	v_clz_i32_u32_e32 v5, v4
	v_min_u32_e32 v5, 32, v5
	s_delay_alu instid0(VALU_DEP_1) | instskip(SKIP_1) | instid1(VALU_DEP_2)
	v_subrev_nc_u32_e32 v6, 28, v5
	v_sub_nc_u32_e32 v5, 29, v5
	v_lshlrev_b32_e32 v6, v6, v3
	v_bfe_u32 v3, v3, 3, 4
	s_delay_alu instid0(VALU_DEP_2) | instskip(NEXT) | instid1(VALU_DEP_2)
	v_and_b32_e32 v6, 7, v6
	v_cmp_eq_u32_e32 vcc_lo, 0, v3
	s_delay_alu instid0(VALU_DEP_2) | instskip(NEXT) | instid1(VALU_DEP_1)
	v_dual_cndmask_b32 v3, v3, v5 :: v_dual_cndmask_b32 v4, v4, v6
	v_lshl_add_u32 v3, v3, 23, 0x3b800000
	s_delay_alu instid0(VALU_DEP_2) | instskip(NEXT) | instid1(VALU_DEP_1)
	v_lshlrev_b32_e32 v4, 20, v4
	v_or3_b32 v41, v2, v3, v4
.LBB23_913:
	s_or_b32 exec_lo, exec_lo, s5
.LBB23_914:
	s_mov_b32 s4, -1
.LBB23_915:
	s_mov_b32 s5, 0
.LBB23_916:
	s_delay_alu instid0(SALU_CYCLE_1)
	s_and_b32 vcc_lo, exec_lo, s5
	s_cbranch_vccz .LBB23_949
; %bb.917:
	v_cmp_lt_i16_e32 vcc_lo, 22, v44
	s_cbranch_vccz .LBB23_927
; %bb.918:
	v_cmp_gt_i16_e32 vcc_lo, 24, v44
	s_cbranch_vccnz .LBB23_930
; %bb.919:
	v_cmp_lt_i16_e32 vcc_lo, 24, v44
	s_cbranch_vccz .LBB23_931
; %bb.920:
	global_load_u8 v2, v[0:1], off
	s_mov_b32 s5, exec_lo
                                        ; implicit-def: $sgpr4
	s_waitcnt vmcnt(0)
	v_cmpx_lt_i16_e32 0x7f, v2
	s_xor_b32 s5, exec_lo, s5
	s_cbranch_execz .LBB23_943
; %bb.921:
	s_mov_b32 s3, -1
	s_mov_b32 s10, exec_lo
                                        ; implicit-def: $sgpr4
	v_cmpx_eq_u16_e32 0x80, v2
; %bb.922:
	s_mov_b32 s4, 0x7f800001
	s_xor_b32 s3, exec_lo, -1
; %bb.923:
	s_or_b32 exec_lo, exec_lo, s10
	s_delay_alu instid0(SALU_CYCLE_1)
	s_and_b32 s3, s3, exec_lo
	s_or_saveexec_b32 s5, s5
	v_mov_b32_e32 v41, s4
	s_xor_b32 exec_lo, exec_lo, s5
	s_cbranch_execnz .LBB23_944
.LBB23_924:
	s_or_b32 exec_lo, exec_lo, s5
	s_and_saveexec_b32 s4, s3
	s_cbranch_execz .LBB23_926
.LBB23_925:
	v_and_b32_e32 v3, 0xffff, v2
	v_lshlrev_b32_e32 v2, 24, v2
	s_delay_alu instid0(VALU_DEP_2) | instskip(NEXT) | instid1(VALU_DEP_2)
	v_and_b32_e32 v4, 3, v3
	v_and_b32_e32 v2, 0x80000000, v2
	s_delay_alu instid0(VALU_DEP_2) | instskip(NEXT) | instid1(VALU_DEP_1)
	v_clz_i32_u32_e32 v5, v4
	v_min_u32_e32 v5, 32, v5
	s_delay_alu instid0(VALU_DEP_1) | instskip(SKIP_1) | instid1(VALU_DEP_2)
	v_subrev_nc_u32_e32 v6, 29, v5
	v_sub_nc_u32_e32 v5, 30, v5
	v_lshlrev_b32_e32 v6, v6, v3
	v_bfe_u32 v3, v3, 2, 5
	s_delay_alu instid0(VALU_DEP_2) | instskip(NEXT) | instid1(VALU_DEP_2)
	v_and_b32_e32 v6, 3, v6
	v_cmp_eq_u32_e32 vcc_lo, 0, v3
	s_delay_alu instid0(VALU_DEP_2) | instskip(NEXT) | instid1(VALU_DEP_1)
	v_dual_cndmask_b32 v3, v3, v5 :: v_dual_cndmask_b32 v4, v4, v6
	v_lshl_add_u32 v3, v3, 23, 0x37800000
	s_delay_alu instid0(VALU_DEP_2) | instskip(NEXT) | instid1(VALU_DEP_1)
	v_lshlrev_b32_e32 v4, 21, v4
	v_or3_b32 v41, v2, v3, v4
.LBB23_926:
	s_or_b32 exec_lo, exec_lo, s4
	s_mov_b32 s3, 0
	s_branch .LBB23_932
.LBB23_927:
	s_mov_b32 s3, -1
                                        ; implicit-def: $vgpr41
	s_branch .LBB23_938
.LBB23_928:
	s_or_saveexec_b32 s10, s10
	v_mov_b32_e32 v41, s5
	s_xor_b32 exec_lo, exec_lo, s10
	s_cbranch_execz .LBB23_911
.LBB23_929:
	v_cmp_ne_u16_e32 vcc_lo, 0, v2
	v_mov_b32_e32 v41, 0
	s_and_not1_b32 s4, s4, exec_lo
	s_and_b32 s5, vcc_lo, exec_lo
	s_delay_alu instid0(SALU_CYCLE_1)
	s_or_b32 s4, s4, s5
	s_or_b32 exec_lo, exec_lo, s10
	s_and_saveexec_b32 s5, s4
	s_cbranch_execnz .LBB23_912
	s_branch .LBB23_913
.LBB23_930:
	s_mov_b32 s3, -1
                                        ; implicit-def: $vgpr41
	s_branch .LBB23_935
.LBB23_931:
	s_mov_b32 s3, -1
                                        ; implicit-def: $vgpr41
.LBB23_932:
	s_delay_alu instid0(SALU_CYCLE_1)
	s_and_b32 vcc_lo, exec_lo, s3
	s_cbranch_vccz .LBB23_934
; %bb.933:
	global_load_u8 v2, v[0:1], off
	s_waitcnt vmcnt(0)
	v_lshlrev_b32_e32 v2, 24, v2
	s_delay_alu instid0(VALU_DEP_1) | instskip(NEXT) | instid1(VALU_DEP_1)
	v_and_b32_e32 v3, 0x7f000000, v2
	v_clz_i32_u32_e32 v4, v3
	v_add_nc_u32_e32 v6, 0x1000000, v3
	v_cmp_ne_u32_e32 vcc_lo, 0, v3
	s_delay_alu instid0(VALU_DEP_3) | instskip(NEXT) | instid1(VALU_DEP_1)
	v_min_u32_e32 v4, 32, v4
	v_sub_nc_u32_e64 v4, v4, 4 clamp
	s_delay_alu instid0(VALU_DEP_1) | instskip(SKIP_1) | instid1(VALU_DEP_2)
	v_lshlrev_b32_e32 v5, v4, v3
	v_lshlrev_b32_e32 v4, 23, v4
	v_lshrrev_b32_e32 v5, 4, v5
	s_delay_alu instid0(VALU_DEP_1) | instskip(SKIP_1) | instid1(VALU_DEP_2)
	v_sub_nc_u32_e32 v4, v5, v4
	v_ashrrev_i32_e32 v5, 8, v6
	v_add_nc_u32_e32 v4, 0x3c000000, v4
	s_delay_alu instid0(VALU_DEP_1) | instskip(NEXT) | instid1(VALU_DEP_1)
	v_and_or_b32 v4, 0x7f800000, v5, v4
	v_cndmask_b32_e32 v3, 0, v4, vcc_lo
	s_delay_alu instid0(VALU_DEP_1)
	v_and_or_b32 v41, 0x80000000, v2, v3
.LBB23_934:
	s_mov_b32 s3, 0
.LBB23_935:
	s_delay_alu instid0(SALU_CYCLE_1)
	s_and_not1_b32 vcc_lo, exec_lo, s3
	s_cbranch_vccnz .LBB23_937
; %bb.936:
	global_load_u8 v2, v[0:1], off
	s_waitcnt vmcnt(0)
	v_lshlrev_b32_e32 v3, 25, v2
	v_lshlrev_b16 v2, 8, v2
	s_delay_alu instid0(VALU_DEP_2) | instskip(NEXT) | instid1(VALU_DEP_2)
	v_lshrrev_b32_e32 v4, 4, v3
	v_and_or_b32 v5, 0x7f00, v2, 0.5
	v_bfe_i32 v2, v2, 0, 16
	s_delay_alu instid0(VALU_DEP_3) | instskip(NEXT) | instid1(VALU_DEP_1)
	v_or_b32_e32 v4, 0x70000000, v4
	v_dual_add_f32 v5, -0.5, v5 :: v_dual_mul_f32 v4, 0x7800000, v4
	v_cmp_gt_u32_e32 vcc_lo, 0x8000000, v3
	s_delay_alu instid0(VALU_DEP_2) | instskip(NEXT) | instid1(VALU_DEP_1)
	v_cndmask_b32_e32 v3, v4, v5, vcc_lo
	v_and_or_b32 v41, 0x80000000, v2, v3
.LBB23_937:
	s_mov_b32 s3, 0
	s_mov_b32 s4, -1
.LBB23_938:
	s_and_not1_b32 vcc_lo, exec_lo, s3
	s_mov_b32 s3, 0
	s_cbranch_vccnz .LBB23_949
; %bb.939:
	v_cmp_lt_i16_e32 vcc_lo, 14, v44
	s_cbranch_vccz .LBB23_942
; %bb.940:
	v_cmp_eq_u16_e32 vcc_lo, 15, v44
	s_cbranch_vccz .LBB23_945
; %bb.941:
	global_load_u16 v2, v[0:1], off
	s_mov_b32 s2, 0
	s_mov_b32 s4, -1
	s_waitcnt vmcnt(0)
	v_lshlrev_b32_e32 v41, 16, v2
	s_branch .LBB23_947
.LBB23_942:
	s_mov_b32 s3, -1
	s_branch .LBB23_946
.LBB23_943:
	s_or_saveexec_b32 s5, s5
	v_mov_b32_e32 v41, s4
	s_xor_b32 exec_lo, exec_lo, s5
	s_cbranch_execz .LBB23_924
.LBB23_944:
	v_cmp_ne_u16_e32 vcc_lo, 0, v2
	v_mov_b32_e32 v41, 0
	s_and_not1_b32 s3, s3, exec_lo
	s_and_b32 s4, vcc_lo, exec_lo
	s_delay_alu instid0(SALU_CYCLE_1)
	s_or_b32 s3, s3, s4
	s_or_b32 exec_lo, exec_lo, s5
	s_and_saveexec_b32 s4, s3
	s_cbranch_execnz .LBB23_925
	s_branch .LBB23_926
.LBB23_945:
	s_mov_b32 s2, -1
.LBB23_946:
                                        ; implicit-def: $vgpr41
.LBB23_947:
	s_and_b32 vcc_lo, exec_lo, s3
	s_mov_b32 s3, 0
	s_cbranch_vccz .LBB23_949
; %bb.948:
	v_cmp_ne_u16_e32 vcc_lo, 11, v44
	s_and_not1_b32 s2, s2, exec_lo
	s_mov_b32 s3, -1
                                        ; implicit-def: $vgpr41
	s_and_b32 s5, vcc_lo, exec_lo
	s_delay_alu instid0(SALU_CYCLE_1)
	s_or_b32 s2, s2, s5
.LBB23_949:
	s_mov_b32 s5, 0
.LBB23_950:
	s_and_not1_b32 s10, s6, exec_lo
	s_and_b32 s11, s2, exec_lo
	s_and_b32 s4, s4, exec_lo
	;; [unrolled: 1-line block ×4, first 2 shown]
	s_or_b32 s10, s10, s11
.LBB23_951:
	s_or_b32 exec_lo, exec_lo, s9
	s_delay_alu instid0(SALU_CYCLE_1)
	s_and_b32 s3, s5, exec_lo
	s_and_not1_b32 s5, s6, exec_lo
	s_and_b32 s6, s10, exec_lo
	s_and_b32 s4, s4, exec_lo
	s_and_b32 s2, s2, exec_lo
	s_or_b32 s6, s5, s6
.LBB23_952:
	s_or_b32 exec_lo, exec_lo, s8
	s_delay_alu instid0(SALU_CYCLE_1)
	s_and_not1_b32 s5, s68, exec_lo
	s_and_b32 s7, s7, exec_lo
	s_and_b32 s6, s6, exec_lo
	s_or_b32 s68, s5, s7
	s_and_not1_b32 s7, s67, exec_lo
	s_and_b32 s5, s4, exec_lo
	s_and_b32 s4, s3, exec_lo
	;; [unrolled: 1-line block ×3, first 2 shown]
	s_or_b32 s67, s7, s6
.LBB23_953:
	s_or_b32 exec_lo, exec_lo, s69
	s_delay_alu instid0(SALU_CYCLE_1)
	s_and_not1_b32 s2, s64, exec_lo
	s_and_b32 s6, s68, exec_lo
	s_and_b32 s4, s4, exec_lo
	s_or_b32 s64, s2, s6
	s_and_b32 s2, s5, exec_lo
	s_and_not1_b32 s5, s65, exec_lo
	s_and_b32 s6, s67, exec_lo
	s_and_b32 s67, s3, exec_lo
	s_or_b32 s65, s5, s6
.LBB23_954:
	s_or_b32 exec_lo, exec_lo, s66
	s_waitcnt lgkmcnt(0)
	s_mov_b32 s40, 0
	s_and_saveexec_b32 s3, s65
	s_cbranch_execnz .LBB23_966
; %bb.955:
	s_or_b32 exec_lo, exec_lo, s3
	s_and_saveexec_b32 s3, s67
	s_delay_alu instid0(SALU_CYCLE_1)
	s_xor_b32 s3, exec_lo, s3
	s_cbranch_execz .LBB23_957
.LBB23_956:
	global_load_u8 v2, v[0:1], off
	s_or_b32 s2, s2, exec_lo
	s_waitcnt vmcnt(0)
	v_cmp_ne_u16_e32 vcc_lo, 0, v2
	v_cndmask_b32_e64 v41, 0, 1.0, vcc_lo
.LBB23_957:
	s_or_b32 exec_lo, exec_lo, s3
	s_and_saveexec_b32 s3, s4
	s_cbranch_execz .LBB23_1005
; %bb.958:
	v_cmp_gt_i16_e32 vcc_lo, 5, v44
	s_cbranch_vccnz .LBB23_963
; %bb.959:
	v_cmp_gt_i16_e32 vcc_lo, 8, v44
	s_cbranch_vccnz .LBB23_964
	;; [unrolled: 3-line block ×3, first 2 shown]
; %bb.961:
	v_cmp_lt_i16_e32 vcc_lo, 9, v44
	s_cbranch_vccz .LBB23_968
; %bb.962:
	global_load_b64 v[2:3], v[0:1], off
	s_mov_b32 s4, 0
	s_waitcnt vmcnt(0)
	v_cvt_f32_f64_e32 v41, v[2:3]
	s_branch .LBB23_969
.LBB23_963:
                                        ; implicit-def: $vgpr41
	s_branch .LBB23_986
.LBB23_964:
                                        ; implicit-def: $vgpr41
	s_branch .LBB23_975
.LBB23_965:
	s_mov_b32 s4, -1
                                        ; implicit-def: $vgpr41
	s_branch .LBB23_972
.LBB23_966:
	s_cbranch_execnz .LBB23_1252
; %bb.967:
	s_mov_b32 s40, exec_lo
	s_and_not1_b32 s67, s67, exec_lo
                                        ; implicit-def: $vgpr41
	s_or_b32 exec_lo, exec_lo, s3
	s_and_saveexec_b32 s3, s67
	s_delay_alu instid0(SALU_CYCLE_1)
	s_xor_b32 s3, exec_lo, s3
	s_cbranch_execnz .LBB23_956
	s_branch .LBB23_957
.LBB23_968:
	s_mov_b32 s4, -1
                                        ; implicit-def: $vgpr41
.LBB23_969:
	s_delay_alu instid0(SALU_CYCLE_1)
	s_and_not1_b32 vcc_lo, exec_lo, s4
	s_cbranch_vccnz .LBB23_971
; %bb.970:
	global_load_b32 v41, v[0:1], off
.LBB23_971:
	s_mov_b32 s4, 0
.LBB23_972:
	s_delay_alu instid0(SALU_CYCLE_1)
	s_and_not1_b32 vcc_lo, exec_lo, s4
	s_cbranch_vccnz .LBB23_974
; %bb.973:
	global_load_b32 v2, v[0:1], off
	s_waitcnt vmcnt(0)
	v_cvt_f32_f16_e32 v41, v2
.LBB23_974:
	s_cbranch_execnz .LBB23_985
.LBB23_975:
	v_cmp_gt_i16_e32 vcc_lo, 6, v44
	s_cbranch_vccnz .LBB23_978
; %bb.976:
	v_cmp_lt_i16_e32 vcc_lo, 6, v44
	s_cbranch_vccz .LBB23_979
; %bb.977:
	global_load_b64 v[2:3], v[0:1], off
	s_mov_b32 s4, 0
	s_waitcnt vmcnt(0)
	v_cvt_f32_f64_e32 v41, v[2:3]
	s_branch .LBB23_980
.LBB23_978:
	s_mov_b32 s4, -1
                                        ; implicit-def: $vgpr41
	s_branch .LBB23_983
.LBB23_979:
	s_mov_b32 s4, -1
                                        ; implicit-def: $vgpr41
.LBB23_980:
	s_delay_alu instid0(SALU_CYCLE_1)
	s_and_not1_b32 vcc_lo, exec_lo, s4
	s_cbranch_vccnz .LBB23_982
; %bb.981:
	global_load_b32 v41, v[0:1], off
.LBB23_982:
	s_mov_b32 s4, 0
.LBB23_983:
	s_delay_alu instid0(SALU_CYCLE_1)
	s_and_not1_b32 vcc_lo, exec_lo, s4
	s_cbranch_vccnz .LBB23_985
; %bb.984:
	global_load_u16 v2, v[0:1], off
	s_waitcnt vmcnt(0)
	v_cvt_f32_f16_e32 v41, v2
.LBB23_985:
	s_cbranch_execnz .LBB23_1004
.LBB23_986:
	v_cmp_gt_i16_e32 vcc_lo, 2, v44
	s_cbranch_vccnz .LBB23_990
; %bb.987:
	v_cmp_gt_i16_e32 vcc_lo, 3, v44
	s_cbranch_vccnz .LBB23_991
; %bb.988:
	v_cmp_lt_i16_e32 vcc_lo, 3, v44
	s_cbranch_vccz .LBB23_992
; %bb.989:
	global_load_b64 v[2:3], v[0:1], off
	s_mov_b32 s4, 0
	s_waitcnt vmcnt(0)
	v_xor_b32_e32 v4, v2, v3
	v_cls_i32_e32 v5, v3
	s_delay_alu instid0(VALU_DEP_2) | instskip(NEXT) | instid1(VALU_DEP_2)
	v_ashrrev_i32_e32 v4, 31, v4
	v_add_nc_u32_e32 v5, -1, v5
	s_delay_alu instid0(VALU_DEP_2) | instskip(NEXT) | instid1(VALU_DEP_1)
	v_add_nc_u32_e32 v4, 32, v4
	v_min_u32_e32 v4, v5, v4
	s_delay_alu instid0(VALU_DEP_1) | instskip(NEXT) | instid1(VALU_DEP_1)
	v_lshlrev_b64 v[2:3], v4, v[2:3]
	v_min_u32_e32 v2, 1, v2
	s_delay_alu instid0(VALU_DEP_1) | instskip(SKIP_1) | instid1(VALU_DEP_2)
	v_or_b32_e32 v2, v3, v2
	v_sub_nc_u32_e32 v3, 32, v4
	v_cvt_f32_i32_e32 v2, v2
	s_delay_alu instid0(VALU_DEP_1)
	v_ldexp_f32 v41, v2, v3
	s_branch .LBB23_993
.LBB23_990:
                                        ; implicit-def: $vgpr41
	s_branch .LBB23_999
.LBB23_991:
	s_mov_b32 s4, -1
                                        ; implicit-def: $vgpr41
	s_branch .LBB23_996
.LBB23_992:
	s_mov_b32 s4, -1
                                        ; implicit-def: $vgpr41
.LBB23_993:
	s_delay_alu instid0(SALU_CYCLE_1)
	s_and_not1_b32 vcc_lo, exec_lo, s4
	s_cbranch_vccnz .LBB23_995
; %bb.994:
	global_load_b32 v2, v[0:1], off
	s_waitcnt vmcnt(0)
	v_cvt_f32_i32_e32 v41, v2
.LBB23_995:
	s_mov_b32 s4, 0
.LBB23_996:
	s_delay_alu instid0(SALU_CYCLE_1)
	s_and_not1_b32 vcc_lo, exec_lo, s4
	s_cbranch_vccnz .LBB23_998
; %bb.997:
	global_load_i16 v2, v[0:1], off
	s_waitcnt vmcnt(0)
	v_cvt_f32_i32_e32 v41, v2
.LBB23_998:
	s_cbranch_execnz .LBB23_1004
.LBB23_999:
	v_cmp_lt_i16_e32 vcc_lo, 0, v44
	s_mov_b32 s4, 0
	s_cbranch_vccz .LBB23_1001
; %bb.1000:
	global_load_i8 v2, v[0:1], off
	s_waitcnt vmcnt(0)
	v_cvt_f32_i32_e32 v41, v2
	s_branch .LBB23_1002
.LBB23_1001:
	s_mov_b32 s4, -1
                                        ; implicit-def: $vgpr41
.LBB23_1002:
	s_delay_alu instid0(SALU_CYCLE_1)
	s_and_not1_b32 vcc_lo, exec_lo, s4
	s_cbranch_vccnz .LBB23_1004
; %bb.1003:
	global_load_u8 v0, v[0:1], off
	s_waitcnt vmcnt(0)
	v_cvt_f32_ubyte0_e32 v41, v0
.LBB23_1004:
	s_or_b32 s2, s2, exec_lo
.LBB23_1005:
	s_or_b32 exec_lo, exec_lo, s3
	s_mov_b32 s4, 0
	s_mov_b32 s3, 0
                                        ; implicit-def: $vgpr4
                                        ; implicit-def: $vgpr2_vgpr3
                                        ; implicit-def: $vgpr0
	s_and_saveexec_b32 s41, s2
	s_cbranch_execz .LBB23_1098
; %bb.1006:
                                        ; implicit-def: $vgpr0
	s_mov_b32 s2, exec_lo
	s_waitcnt vmcnt(0)
	s_delay_alu instid0(VALU_DEP_1)
	v_cmpx_ge_f32_e32 0x40a00000, v41
	s_xor_b32 s42, exec_lo, s2
	s_cbranch_execz .LBB23_1012
; %bb.1007:
	v_mov_b32_e32 v0, 0xff800000
	s_mov_b32 s43, exec_lo
	v_cmpx_neq_f32_e32 0, v41
	s_cbranch_execz .LBB23_1011
; %bb.1008:
	v_mov_b32_e32 v0, 0x7fc00000
	s_mov_b32 s44, exec_lo
	v_cmpx_nge_f32_e32 0, v41
	s_cbranch_execz .LBB23_1010
; %bb.1009:
	v_mul_f32_e32 v0, v41, v41
	s_getpc_b64 s[2:3]
	s_add_u32 s2, s2, _Z17bessel_j1_forwardIfET_S0_@rel32@lo+4
	s_addc_u32 s3, s3, _Z17bessel_j1_forwardIfET_S0_@rel32@hi+12
	s_mov_b64 s[38:39], s[0:1]
	v_fmaak_f32 v1, 0, v0, 0x4414934d
	v_fmaak_f32 v2, 0, v0, 0x4e9695f3
	s_delay_alu instid0(VALU_DEP_2) | instskip(NEXT) | instid1(VALU_DEP_2)
	v_fmaak_f32 v1, v0, v1, 0x48660b06
	v_fmaak_f32 v2, v0, v2, 0xd316b96b
	s_delay_alu instid0(VALU_DEP_2) | instskip(NEXT) | instid1(VALU_DEP_2)
	;; [unrolled: 3-line block ×5, first 2 shown]
	v_fmaak_f32 v1, v0, v1, 0x580d1937
	v_fmaak_f32 v2, v0, v2, 0xdd2cf20b
	s_delay_alu instid0(VALU_DEP_2) | instskip(NEXT) | instid1(VALU_DEP_1)
	v_fmaak_f32 v1, v0, v1, 0x5b741f1e
	v_fmaak_f32 v0, v0, v1, 0x5e5c878d
	s_delay_alu instid0(VALU_DEP_1) | instskip(SKIP_1) | instid1(VALU_DEP_2)
	v_div_scale_f32 v1, null, v0, v0, v2
	v_div_scale_f32 v5, vcc_lo, v2, v0, v2
	v_rcp_f32_e32 v3, v1
	s_waitcnt_depctr 0xfff
	v_fma_f32 v4, -v1, v3, 1.0
	s_delay_alu instid0(VALU_DEP_1) | instskip(NEXT) | instid1(VALU_DEP_1)
	v_fmac_f32_e32 v3, v4, v3
	v_mul_f32_e32 v4, v5, v3
	s_delay_alu instid0(VALU_DEP_1) | instskip(NEXT) | instid1(VALU_DEP_1)
	v_fma_f32 v6, -v1, v4, v5
	v_fmac_f32_e32 v4, v6, v3
	s_delay_alu instid0(VALU_DEP_1) | instskip(NEXT) | instid1(VALU_DEP_1)
	v_fma_f32 v1, -v1, v4, v5
	v_div_fmas_f32 v1, v1, v3, v4
	s_delay_alu instid0(VALU_DEP_1)
	v_div_fixup_f32 v44, v1, v0, v2
	v_mov_b32_e32 v0, v41
	s_swappc_b64 s[30:31], s[2:3]
	v_div_scale_f32 v1, null, v41, v41, -1.0
	v_cmp_gt_f32_e32 vcc_lo, 0x800000, v41
	v_div_scale_f32 v5, s2, -1.0, v41, -1.0
	s_delay_alu instid0(VALU_DEP_3) | instskip(SKIP_4) | instid1(VALU_DEP_1)
	v_rcp_f32_e32 v3, v1
	s_mov_b64 s[0:1], s[38:39]
	v_cndmask_b32_e64 v2, 1.0, 0x4f800000, vcc_lo
	s_waitcnt_depctr 0xfff
	v_fma_f32 v4, -v1, v3, 1.0
	v_dual_mul_f32 v2, v41, v2 :: v_dual_fmac_f32 v3, v4, v3
	s_delay_alu instid0(VALU_DEP_1) | instskip(SKIP_3) | instid1(VALU_DEP_2)
	v_log_f32_e32 v2, v2
	s_waitcnt_depctr 0xfff
	v_mul_f32_e32 v4, 0x3f317217, v2
	v_cmp_gt_f32_e64 s3, 0x7f800000, |v2|
	v_fma_f32 v7, 0x3f317217, v2, -v4
	s_delay_alu instid0(VALU_DEP_1) | instskip(NEXT) | instid1(VALU_DEP_1)
	v_dual_mul_f32 v6, v5, v3 :: v_dual_fmamk_f32 v7, v2, 0x3377d1cf, v7
	v_fma_f32 v8, -v1, v6, v5
	s_delay_alu instid0(VALU_DEP_2) | instskip(NEXT) | instid1(VALU_DEP_2)
	v_add_f32_e32 v4, v4, v7
	v_fmac_f32_e32 v6, v8, v3
	s_delay_alu instid0(VALU_DEP_2) | instskip(NEXT) | instid1(VALU_DEP_2)
	v_cndmask_b32_e64 v2, v2, v4, s3
	v_fma_f32 v1, -v1, v6, v5
	v_cndmask_b32_e64 v4, 0, 0x41b17218, vcc_lo
	s_mov_b32 vcc_lo, s2
	s_delay_alu instid0(VALU_DEP_2) | instskip(NEXT) | instid1(VALU_DEP_2)
	v_div_fmas_f32 v1, v1, v3, v6
	v_sub_f32_e32 v2, v2, v4
	s_delay_alu instid0(VALU_DEP_2) | instskip(NEXT) | instid1(VALU_DEP_1)
	v_div_fixup_f32 v1, v1, v41, -1.0
	v_fmac_f32_e32 v1, v2, v0
	s_delay_alu instid0(VALU_DEP_1) | instskip(NEXT) | instid1(VALU_DEP_1)
	v_mul_f32_e32 v0, 0x3f22f983, v1
	v_fmac_f32_e32 v0, v41, v44
.LBB23_1010:
	s_or_b32 exec_lo, exec_lo, s44
.LBB23_1011:
	s_delay_alu instid0(SALU_CYCLE_1)
	s_or_b32 exec_lo, exec_lo, s43
                                        ; implicit-def: $vgpr41
.LBB23_1012:
	s_and_not1_saveexec_b32 s5, s42
	s_cbranch_execz .LBB23_1022
; %bb.1013:
	v_add_f32_e32 v0, 0xc016cbe4, v41
                                        ; implicit-def: $vgpr3
                                        ; implicit-def: $vgpr2
	s_delay_alu instid0(VALU_DEP_1) | instskip(SKIP_1) | instid1(VALU_DEP_2)
	v_and_b32_e32 v1, 0x7fffffff, v0
	v_cmp_ngt_f32_e64 s6, 0x48000000, |v0|
	v_lshrrev_b32_e32 v5, 23, v1
	s_delay_alu instid0(VALU_DEP_2) | instskip(NEXT) | instid1(SALU_CYCLE_1)
	s_and_saveexec_b32 s2, s6
	s_xor_b32 s7, exec_lo, s2
	s_cbranch_execz .LBB23_1015
; %bb.1014:
	s_mov_b32 s2, 0x7fffff
	v_mov_b32_e32 v4, 0
	v_and_or_b32 v13, v1, s2, 0x800000
	v_add_nc_u32_e32 v11, 0xffffff88, v5
	s_delay_alu instid0(VALU_DEP_2) | instskip(NEXT) | instid1(VALU_DEP_2)
	v_mad_u64_u32 v[2:3], null, 0xfe5163ab, v13, 0
	v_cmp_lt_u32_e32 vcc_lo, 63, v11
	v_cndmask_b32_e64 v12, 0, 0xffffffc0, vcc_lo
	s_delay_alu instid0(VALU_DEP_3) | instskip(NEXT) | instid1(VALU_DEP_1)
	v_mad_u64_u32 v[6:7], null, 0x3c439041, v13, v[3:4]
	v_dual_mov_b32 v3, v7 :: v_dual_add_nc_u32 v12, v12, v11
	s_delay_alu instid0(VALU_DEP_1) | instskip(NEXT) | instid1(VALU_DEP_2)
	v_cmp_lt_u32_e64 s2, 31, v12
	v_mad_u64_u32 v[7:8], null, 0xdb629599, v13, v[3:4]
	s_delay_alu instid0(VALU_DEP_2) | instskip(NEXT) | instid1(VALU_DEP_1)
	v_cndmask_b32_e64 v14, 0, 0xffffffe0, s2
	v_dual_mov_b32 v3, v8 :: v_dual_add_nc_u32 v14, v14, v12
	s_delay_alu instid0(VALU_DEP_3) | instskip(NEXT) | instid1(VALU_DEP_2)
	v_cndmask_b32_e32 v2, v7, v2, vcc_lo
	v_cmp_lt_u32_e64 s3, 31, v14
	s_delay_alu instid0(VALU_DEP_3) | instskip(NEXT) | instid1(VALU_DEP_1)
	v_mad_u64_u32 v[8:9], null, 0xf534ddc0, v13, v[3:4]
	v_dual_mov_b32 v3, v9 :: v_dual_cndmask_b32 v6, v8, v6
	s_delay_alu instid0(VALU_DEP_1) | instskip(NEXT) | instid1(VALU_DEP_2)
	v_mad_u64_u32 v[9:10], null, 0xfc2757d1, v13, v[3:4]
	v_cndmask_b32_e64 v2, v6, v2, s2
	s_delay_alu instid0(VALU_DEP_2) | instskip(NEXT) | instid1(VALU_DEP_1)
	v_mov_b32_e32 v3, v10
	v_mad_u64_u32 v[10:11], null, 0x4e441529, v13, v[3:4]
	s_delay_alu instid0(VALU_DEP_1) | instskip(NEXT) | instid1(VALU_DEP_1)
	v_mov_b32_e32 v3, v11
	v_mad_u64_u32 v[11:12], null, 0xa2f9836e, v13, v[3:4]
	v_cndmask_b32_e64 v3, 0, 0xffffffe0, s3
	s_delay_alu instid0(VALU_DEP_1) | instskip(NEXT) | instid1(VALU_DEP_3)
	v_dual_cndmask_b32 v4, v10, v8 :: v_dual_add_nc_u32 v3, v3, v14
	v_dual_cndmask_b32 v11, v11, v9 :: v_dual_cndmask_b32 v10, v12, v10
	v_cndmask_b32_e32 v9, v9, v7, vcc_lo
	s_delay_alu instid0(VALU_DEP_3) | instskip(NEXT) | instid1(VALU_DEP_3)
	v_cmp_eq_u32_e64 s4, 0, v3
	v_cndmask_b32_e64 v8, v11, v4, s2
	s_delay_alu instid0(VALU_DEP_4) | instskip(NEXT) | instid1(VALU_DEP_4)
	v_cndmask_b32_e64 v10, v10, v11, s2
	v_cndmask_b32_e64 v4, v4, v9, s2
	v_sub_nc_u32_e32 v11, 32, v3
	v_cndmask_b32_e64 v9, v9, v6, s2
	s_delay_alu instid0(VALU_DEP_4) | instskip(NEXT) | instid1(VALU_DEP_4)
	v_cndmask_b32_e64 v10, v10, v8, s3
	v_cndmask_b32_e64 v8, v8, v4, s3
	s_delay_alu instid0(VALU_DEP_3) | instskip(SKIP_1) | instid1(VALU_DEP_3)
	v_cndmask_b32_e64 v4, v4, v9, s3
	v_cndmask_b32_e64 v2, v9, v2, s3
	v_alignbit_b32 v12, v10, v8, v11
	s_delay_alu instid0(VALU_DEP_3) | instskip(NEXT) | instid1(VALU_DEP_3)
	v_alignbit_b32 v13, v8, v4, v11
	v_alignbit_b32 v11, v4, v2, v11
	s_delay_alu instid0(VALU_DEP_3) | instskip(NEXT) | instid1(VALU_DEP_3)
	v_cndmask_b32_e64 v3, v12, v10, s4
	v_cndmask_b32_e64 v7, v13, v8, s4
	s_delay_alu instid0(VALU_DEP_3) | instskip(NEXT) | instid1(VALU_DEP_3)
	v_cndmask_b32_e64 v4, v11, v4, s4
	v_bfe_u32 v8, v3, 29, 1
	s_delay_alu instid0(VALU_DEP_3) | instskip(NEXT) | instid1(VALU_DEP_3)
	v_alignbit_b32 v6, v3, v7, 30
	v_alignbit_b32 v7, v7, v4, 30
	;; [unrolled: 1-line block ×3, first 2 shown]
	s_delay_alu instid0(VALU_DEP_4) | instskip(NEXT) | instid1(VALU_DEP_1)
	v_sub_nc_u32_e32 v10, 0, v8
	v_xor_b32_e32 v9, v6, v10
	v_cmp_ne_u32_e32 vcc_lo, v6, v10
	v_xor_b32_e32 v4, v7, v10
	v_xor_b32_e32 v2, v2, v10
	s_delay_alu instid0(VALU_DEP_4) | instskip(NEXT) | instid1(VALU_DEP_1)
	v_clz_i32_u32_e32 v12, v9
	v_add_nc_u32_e32 v11, 1, v12
	s_delay_alu instid0(VALU_DEP_1) | instskip(NEXT) | instid1(VALU_DEP_1)
	v_cndmask_b32_e32 v6, 33, v11, vcc_lo
	v_sub_nc_u32_e32 v7, 32, v6
	s_delay_alu instid0(VALU_DEP_1) | instskip(SKIP_3) | instid1(VALU_DEP_3)
	v_alignbit_b32 v9, v9, v4, v7
	v_alignbit_b32 v2, v4, v2, v7
	v_lshrrev_b32_e32 v4, 29, v3
	v_lshrrev_b32_e32 v3, 30, v3
	v_alignbit_b32 v7, v9, v2, 9
	s_delay_alu instid0(VALU_DEP_3) | instskip(SKIP_1) | instid1(VALU_DEP_4)
	v_lshlrev_b32_e32 v4, 31, v4
	v_alignbit_b32 v9, v6, v9, 9
	v_add_nc_u32_e32 v3, v8, v3
	s_delay_alu instid0(VALU_DEP_4) | instskip(NEXT) | instid1(VALU_DEP_3)
	v_clz_i32_u32_e32 v10, v7
	v_or_b32_e32 v9, v9, v4
	v_or_b32_e32 v4, 0x33800000, v4
	s_delay_alu instid0(VALU_DEP_3) | instskip(NEXT) | instid1(VALU_DEP_3)
	v_min_u32_e32 v10, 32, v10
	v_xor_b32_e32 v9, 1.0, v9
	s_delay_alu instid0(VALU_DEP_2) | instskip(SKIP_1) | instid1(VALU_DEP_3)
	v_sub_nc_u32_e32 v11, 31, v10
	v_add_lshl_u32 v6, v10, v6, 23
	v_mul_f32_e32 v10, 0x3fc90fda, v9
	s_delay_alu instid0(VALU_DEP_3) | instskip(NEXT) | instid1(VALU_DEP_3)
	v_alignbit_b32 v2, v7, v2, v11
	v_sub_nc_u32_e32 v4, v4, v6
	s_delay_alu instid0(VALU_DEP_3) | instskip(NEXT) | instid1(VALU_DEP_3)
	v_fma_f32 v6, 0x3fc90fda, v9, -v10
	v_lshrrev_b32_e32 v2, 9, v2
	s_delay_alu instid0(VALU_DEP_2) | instskip(NEXT) | instid1(VALU_DEP_2)
	v_fmamk_f32 v6, v9, 0x33a22168, v6
	v_or_b32_e32 v2, v4, v2
	s_delay_alu instid0(VALU_DEP_1) | instskip(NEXT) | instid1(VALU_DEP_1)
	v_fmac_f32_e32 v6, 0x3fc90fda, v2
	v_add_f32_e32 v2, v10, v6
	s_or_saveexec_b32 s2, s7
	v_mul_f32_e64 v7, 0x3f22f983, |v0|
	s_xor_b32 exec_lo, exec_lo, s2
	s_branch .LBB23_1016
.LBB23_1015:
	s_or_saveexec_b32 s2, s7
	v_mul_f32_e64 v7, 0x3f22f983, |v0|
	s_xor_b32 exec_lo, exec_lo, s2
.LBB23_1016:
	s_delay_alu instid0(VALU_DEP_1) | instskip(NEXT) | instid1(VALU_DEP_1)
	v_rndne_f32_e32 v3, v7
	v_fma_f32 v2, 0xbfc90fda, v3, |v0|
	s_delay_alu instid0(VALU_DEP_1) | instskip(NEXT) | instid1(VALU_DEP_1)
	v_fmamk_f32 v2, v3, 0xb3a22168, v2
	v_fmamk_f32 v2, v3, 0xa7c234c4, v2
	v_cvt_i32_f32_e32 v3, v3
; %bb.1017:
	s_or_b32 exec_lo, exec_lo, s2
                                        ; implicit-def: $vgpr6
                                        ; implicit-def: $vgpr4
	s_and_saveexec_b32 s2, s6
	s_delay_alu instid0(SALU_CYCLE_1)
	s_xor_b32 s6, exec_lo, s2
	s_cbranch_execz .LBB23_1019
; %bb.1018:
	s_mov_b32 s2, 0x7fffff
	v_mov_b32_e32 v8, 0
	v_and_or_b32 v15, v1, s2, 0x800000
	s_delay_alu instid0(VALU_DEP_1) | instskip(NEXT) | instid1(VALU_DEP_1)
	v_mad_u64_u32 v[6:7], null, 0xfe5163ab, v15, 0
	v_mad_u64_u32 v[9:10], null, 0x3c439041, v15, v[7:8]
	s_delay_alu instid0(VALU_DEP_1) | instskip(NEXT) | instid1(VALU_DEP_1)
	v_mov_b32_e32 v7, v10
	v_mad_u64_u32 v[10:11], null, 0xdb629599, v15, v[7:8]
	s_delay_alu instid0(VALU_DEP_1) | instskip(NEXT) | instid1(VALU_DEP_1)
	v_mov_b32_e32 v7, v11
	v_mad_u64_u32 v[11:12], null, 0xf534ddc0, v15, v[7:8]
	s_delay_alu instid0(VALU_DEP_1) | instskip(NEXT) | instid1(VALU_DEP_1)
	v_dual_mov_b32 v7, v12 :: v_dual_add_nc_u32 v12, 0xffffff88, v5
	v_mad_u64_u32 v[4:5], null, 0xfc2757d1, v15, v[7:8]
	s_delay_alu instid0(VALU_DEP_2) | instskip(SKIP_1) | instid1(VALU_DEP_3)
	v_cmp_lt_u32_e32 vcc_lo, 63, v12
	v_cndmask_b32_e64 v13, 0, 0xffffffc0, vcc_lo
	v_dual_mov_b32 v7, v5 :: v_dual_cndmask_b32 v6, v10, v6
	s_delay_alu instid0(VALU_DEP_2) | instskip(NEXT) | instid1(VALU_DEP_2)
	v_add_nc_u32_e32 v5, v13, v12
	v_mad_u64_u32 v[12:13], null, 0x4e441529, v15, v[7:8]
	s_delay_alu instid0(VALU_DEP_2) | instskip(NEXT) | instid1(VALU_DEP_2)
	v_cmp_lt_u32_e64 s2, 31, v5
	v_mov_b32_e32 v7, v13
	s_delay_alu instid0(VALU_DEP_2) | instskip(NEXT) | instid1(VALU_DEP_1)
	v_cndmask_b32_e64 v14, 0, 0xffffffe0, s2
	v_add_nc_u32_e32 v5, v14, v5
	s_delay_alu instid0(VALU_DEP_3) | instskip(SKIP_1) | instid1(VALU_DEP_3)
	v_mad_u64_u32 v[13:14], null, 0xa2f9836e, v15, v[7:8]
	v_cndmask_b32_e32 v8, v12, v11, vcc_lo
	v_cmp_lt_u32_e64 s3, 31, v5
	s_delay_alu instid0(VALU_DEP_3) | instskip(NEXT) | instid1(VALU_DEP_2)
	v_cndmask_b32_e32 v13, v13, v4, vcc_lo
	v_cndmask_b32_e64 v7, 0, 0xffffffe0, s3
	v_cndmask_b32_e32 v12, v14, v12, vcc_lo
	s_delay_alu instid0(VALU_DEP_2) | instskip(SKIP_2) | instid1(VALU_DEP_4)
	v_dual_cndmask_b32 v4, v4, v10 :: v_dual_add_nc_u32 v5, v7, v5
	v_cndmask_b32_e32 v7, v11, v9, vcc_lo
	v_cndmask_b32_e64 v9, v13, v8, s2
	v_cndmask_b32_e64 v11, v12, v13, s2
	s_delay_alu instid0(VALU_DEP_4)
	v_cndmask_b32_e64 v8, v8, v4, s2
	v_sub_nc_u32_e32 v12, 32, v5
	v_cndmask_b32_e64 v4, v4, v7, s2
	v_cmp_eq_u32_e64 s4, 0, v5
	v_cndmask_b32_e64 v11, v11, v9, s3
	v_cndmask_b32_e64 v9, v9, v8, s3
	;; [unrolled: 1-line block ×4, first 2 shown]
	s_delay_alu instid0(VALU_DEP_3) | instskip(NEXT) | instid1(VALU_DEP_3)
	v_alignbit_b32 v13, v11, v9, v12
	v_cndmask_b32_e64 v4, v4, v6, s3
	s_delay_alu instid0(VALU_DEP_3) | instskip(NEXT) | instid1(VALU_DEP_3)
	v_alignbit_b32 v14, v9, v8, v12
	v_cndmask_b32_e64 v5, v13, v11, s4
	;; [unrolled: 3-line block ×3, first 2 shown]
	s_delay_alu instid0(VALU_DEP_3) | instskip(NEXT) | instid1(VALU_DEP_3)
	v_bfe_u32 v10, v5, 29, 1
	v_cndmask_b32_e64 v8, v12, v8, s4
	s_delay_alu instid0(VALU_DEP_3) | instskip(NEXT) | instid1(VALU_DEP_3)
	v_alignbit_b32 v7, v5, v9, 30
	v_sub_nc_u32_e32 v11, 0, v10
	s_delay_alu instid0(VALU_DEP_3) | instskip(SKIP_1) | instid1(VALU_DEP_3)
	v_alignbit_b32 v9, v9, v8, 30
	v_alignbit_b32 v4, v8, v4, 30
	v_xor_b32_e32 v6, v7, v11
	v_cmp_ne_u32_e32 vcc_lo, v7, v11
	s_delay_alu instid0(VALU_DEP_4) | instskip(NEXT) | instid1(VALU_DEP_4)
	v_xor_b32_e32 v8, v9, v11
	v_xor_b32_e32 v4, v4, v11
	s_delay_alu instid0(VALU_DEP_4) | instskip(NEXT) | instid1(VALU_DEP_1)
	v_clz_i32_u32_e32 v13, v6
	v_add_nc_u32_e32 v12, 1, v13
	s_delay_alu instid0(VALU_DEP_1) | instskip(NEXT) | instid1(VALU_DEP_1)
	v_cndmask_b32_e32 v7, 33, v12, vcc_lo
	v_sub_nc_u32_e32 v9, 32, v7
	s_delay_alu instid0(VALU_DEP_1) | instskip(SKIP_3) | instid1(VALU_DEP_3)
	v_alignbit_b32 v6, v6, v8, v9
	v_alignbit_b32 v4, v8, v4, v9
	v_lshrrev_b32_e32 v8, 29, v5
	v_lshrrev_b32_e32 v5, 30, v5
	v_alignbit_b32 v9, v6, v4, 9
	s_delay_alu instid0(VALU_DEP_3) | instskip(SKIP_1) | instid1(VALU_DEP_3)
	v_lshlrev_b32_e32 v8, 31, v8
	v_alignbit_b32 v6, v7, v6, 9
	v_clz_i32_u32_e32 v11, v9
	s_delay_alu instid0(VALU_DEP_2) | instskip(SKIP_1) | instid1(VALU_DEP_3)
	v_or_b32_e32 v6, v6, v8
	v_or_b32_e32 v8, 0x33800000, v8
	v_min_u32_e32 v11, 32, v11
	s_delay_alu instid0(VALU_DEP_3) | instskip(NEXT) | instid1(VALU_DEP_2)
	v_xor_b32_e32 v6, 1.0, v6
	v_sub_nc_u32_e32 v12, 31, v11
	v_add_lshl_u32 v7, v11, v7, 23
	s_delay_alu instid0(VALU_DEP_3) | instskip(NEXT) | instid1(VALU_DEP_3)
	v_mul_f32_e32 v11, 0x3fc90fda, v6
	v_alignbit_b32 v4, v9, v4, v12
	s_delay_alu instid0(VALU_DEP_3) | instskip(NEXT) | instid1(VALU_DEP_3)
	v_sub_nc_u32_e32 v7, v8, v7
	v_fma_f32 v8, 0x3fc90fda, v6, -v11
	s_delay_alu instid0(VALU_DEP_3) | instskip(NEXT) | instid1(VALU_DEP_2)
	v_lshrrev_b32_e32 v4, 9, v4
	v_fmamk_f32 v6, v6, 0x33a22168, v8
	s_delay_alu instid0(VALU_DEP_2) | instskip(NEXT) | instid1(VALU_DEP_1)
	v_or_b32_e32 v4, v7, v4
                                        ; implicit-def: $vgpr7
	v_fmac_f32_e32 v6, 0x3fc90fda, v4
	s_delay_alu instid0(VALU_DEP_1)
	v_add_f32_e32 v4, v11, v6
	v_add_nc_u32_e32 v6, v10, v5
	s_and_not1_saveexec_b32 s2, s6
	s_cbranch_execnz .LBB23_1020
	s_branch .LBB23_1021
.LBB23_1019:
	s_and_not1_saveexec_b32 s2, s6
.LBB23_1020:
	v_rndne_f32_e32 v5, v7
	s_delay_alu instid0(VALU_DEP_1) | instskip(SKIP_1) | instid1(VALU_DEP_2)
	v_fma_f32 v4, 0xbfc90fda, v5, |v0|
	v_cvt_i32_f32_e32 v6, v5
	v_fmamk_f32 v4, v5, 0xb3a22168, v4
	s_delay_alu instid0(VALU_DEP_1)
	v_fmamk_f32 v4, v5, 0xa7c234c4, v4
.LBB23_1021:
	s_or_b32 exec_lo, exec_lo, s2
	v_div_scale_f32 v5, null, v41, v41, 0x40a00000
	v_div_scale_f32 v9, vcc_lo, 0x40a00000, v41, 0x40a00000
	s_mov_b32 s2, 0xb94c1982
	s_delay_alu instid0(VALU_DEP_2) | instskip(SKIP_4) | instid1(VALU_DEP_1)
	v_rcp_f32_e32 v7, v5
	s_mov_b32 s3, 0x37d75334
	v_xor_b32_e32 v1, v1, v0
	s_waitcnt_depctr 0xfff
	v_fma_f32 v8, -v5, v7, 1.0
	v_fmac_f32_e32 v7, v8, v7
	s_delay_alu instid0(VALU_DEP_1) | instskip(NEXT) | instid1(VALU_DEP_1)
	v_mul_f32_e32 v8, v9, v7
	v_fma_f32 v10, -v5, v8, v9
	s_delay_alu instid0(VALU_DEP_1) | instskip(SKIP_1) | instid1(VALU_DEP_2)
	v_fmac_f32_e32 v8, v10, v7
	v_mul_f32_e32 v10, v4, v4
	v_fma_f32 v5, -v5, v8, v9
	s_delay_alu instid0(VALU_DEP_2) | instskip(SKIP_1) | instid1(VALU_DEP_3)
	v_fmaak_f32 v19, s2, v10, 0x3c0881c4
	v_fmaak_f32 v20, s3, v10, 0xbab64f3b
	v_div_fmas_f32 v5, v5, v7, v8
	v_mul_f32_e32 v7, v2, v2
	s_delay_alu instid0(VALU_DEP_4)
	v_fmaak_f32 v19, v10, v19, 0xbe2aaa9d
	v_mul_f32_e32 v16, 0x4f800000, v41
	v_fmaak_f32 v20, v10, v20, 0x3d2aabf7
	v_div_fixup_f32 v5, v5, v41, 0x40a00000
	v_fmaak_f32 v17, s2, v7, 0x3c0881c4
	v_cmp_gt_f32_e64 s2, 0xf800000, v41
	v_fmaak_f32 v18, s3, v7, 0xbab64f3b
	v_mul_f32_e32 v19, v10, v19
	v_dual_mul_f32 v9, v5, v5 :: v_dual_and_b32 v8, 1, v3
	v_lshlrev_b32_e32 v3, 30, v3
	v_and_b32_e32 v11, 1, v6
	v_cndmask_b32_e64 v16, v41, v16, s2
	s_delay_alu instid0(VALU_DEP_4) | instskip(SKIP_3) | instid1(VALU_DEP_4)
	v_fmaak_f32 v14, 0, v9, 0x3a47c962
	v_fmaak_f32 v13, 0, v9, 0x3a15c4d9
	;; [unrolled: 1-line block ×3, first 2 shown]
	v_dual_fmaak_f32 v15, 0, v9, 0x42947983 :: v_dual_lshlrev_b32 v6, 30, v6
	v_fmaak_f32 v14, v9, v14, 0x3d95ca45
	s_delay_alu instid0(VALU_DEP_4) | instskip(SKIP_2) | instid1(VALU_DEP_3)
	v_dual_fmaak_f32 v13, v9, v13, 0x3d8cfeeb :: v_dual_fmac_f32 v4, v4, v19
	v_sqrt_f32_e32 v24, v16
	v_fmaak_f32 v17, v7, v17, 0xbe2aaa9d
	v_fmaak_f32 v14, v9, v14, 0x3f9047f6
	s_delay_alu instid0(VALU_DEP_3)
	v_fmaak_f32 v13, v9, v13, 0x3f8d754e
	v_fmaak_f32 v12, v9, v12, 0x409f6dae
	;; [unrolled: 1-line block ×3, first 2 shown]
	v_mul_f32_e32 v17, v7, v17
	v_fmaak_f32 v15, v9, v15, 0x44840e5d
	v_fmaak_f32 v20, v10, v20, 0xbf000004
	v_cmp_eq_u32_e64 s4, 0, v8
	v_fmaak_f32 v18, v7, v18, 0xbf000004
	v_fmac_f32_e32 v2, v2, v17
	v_fmaak_f32 v13, v9, v13, 0x40a25d18
	v_fmaak_f32 v15, v9, v15, 0x459bd349
	v_fma_f32 v10, v10, v20, 1.0
	v_fma_f32 v7, v7, v18, 1.0
	v_and_b32_e32 v3, 0x80000000, v3
	v_dual_fmaak_f32 v14, v9, v14, 0x40a39628 :: v_dual_add_nc_u32 v19, -1, v24
	v_fmaak_f32 v13, v9, v13, 0x410665cf
	v_fmaak_f32 v15, v9, v15, 0x46156947
	v_cndmask_b32_e64 v2, v7, v2, s4
	v_cmp_eq_u32_e64 s4, 0, v11
	v_fmaak_f32 v14, v9, v14, 0x4106c8e4
	v_fmaak_f32 v13, v9, v13, 0x40a6b6ea
	;; [unrolled: 1-line block ×3, first 2 shown]
	v_fma_f32 v7, -v19, v24, v16
	v_cndmask_b32_e64 v4, -v4, v10, s4
	v_fmaak_f32 v14, v9, v14, 0x40a6dd51
	v_fma_f32 v13, v9, v13, 1.0
	v_fmaak_f32 v15, v9, v15, 0x4530a316
	v_xor3_b32 v1, v1, v3, v2
	v_and_b32_e32 v6, 0x80000000, v6
	v_fma_f32 v14, v9, v14, 1.0
	s_delay_alu instid0(VALU_DEP_4) | instskip(NEXT) | instid1(VALU_DEP_3)
	v_fmaak_f32 v15, v9, v15, 0x43a80bfb
	v_xor_b32_e32 v4, v6, v4
	s_delay_alu instid0(VALU_DEP_3) | instskip(SKIP_1) | instid1(VALU_DEP_1)
	v_div_scale_f32 v27, vcc_lo, v14, v13, v14
	v_fmaak_f32 v12, v9, v12, 0x4297a5cd
	v_fmaak_f32 v12, v9, v12, 0x43b763ca
	s_delay_alu instid0(VALU_DEP_1) | instskip(NEXT) | instid1(VALU_DEP_1)
	v_fmaak_f32 v12, v9, v12, 0x4431b6ce
	v_fmaak_f32 v12, v9, v12, 0x44155f56
	s_delay_alu instid0(VALU_DEP_1) | instskip(NEXT) | instid1(VALU_DEP_1)
	v_fmaak_f32 v12, v9, v12, 0x4353b052
	v_fmaak_f32 v9, v9, v12, 0x41c9a7fa
	v_div_scale_f32 v12, null, v13, v13, v14
	s_delay_alu instid0(VALU_DEP_2) | instskip(NEXT) | instid1(VALU_DEP_2)
	v_div_scale_f32 v21, null, v15, v15, v9
	v_rcp_f32_e32 v22, v12
	s_delay_alu instid0(VALU_DEP_1) | instskip(SKIP_3) | instid1(VALU_DEP_2)
	v_rcp_f32_e32 v23, v21
	s_waitcnt_depctr 0xfff
	v_fma_f32 v25, -v12, v22, 1.0
	v_fma_f32 v26, -v21, v23, 1.0
	v_fmac_f32_e32 v22, v25, v22
	v_div_scale_f32 v25, s3, v9, v15, v9
	s_delay_alu instid0(VALU_DEP_3) | instskip(NEXT) | instid1(VALU_DEP_1)
	v_dual_fmac_f32 v23, v26, v23 :: v_dual_add_nc_u32 v26, 1, v24
	v_dual_mul_f32 v17, v27, v22 :: v_dual_mul_f32 v18, v25, v23
	s_delay_alu instid0(VALU_DEP_2) | instskip(NEXT) | instid1(VALU_DEP_2)
	v_fma_f32 v8, -v26, v24, v16
	v_fma_f32 v20, -v12, v17, v27
	s_delay_alu instid0(VALU_DEP_3) | instskip(NEXT) | instid1(VALU_DEP_2)
	v_fma_f32 v28, -v21, v18, v25
	v_fmac_f32_e32 v17, v20, v22
	s_delay_alu instid0(VALU_DEP_2) | instskip(NEXT) | instid1(VALU_DEP_2)
	v_fmac_f32_e32 v18, v28, v23
	v_fma_f32 v10, -v12, v17, v27
	s_delay_alu instid0(VALU_DEP_2) | instskip(NEXT) | instid1(VALU_DEP_2)
	v_fma_f32 v2, -v21, v18, v25
	v_div_fmas_f32 v3, v10, v22, v17
	s_mov_b32 vcc_lo, s3
	v_cmp_lt_f32_e64 s3, 0, v8
	s_delay_alu instid0(VALU_DEP_3)
	v_div_fmas_f32 v2, v2, v23, v18
	v_cmp_ge_f32_e32 vcc_lo, 0, v7
	v_div_fixup_f32 v3, v3, v13, v14
	v_cndmask_b32_e32 v6, v24, v19, vcc_lo
	v_cmp_class_f32_e64 vcc_lo, v0, 0x1f8
	v_div_fixup_f32 v0, v2, v15, v9
	s_delay_alu instid0(VALU_DEP_3) | instskip(SKIP_1) | instid1(VALU_DEP_3)
	v_cndmask_b32_e64 v2, v6, v26, s3
	v_cndmask_b32_e32 v4, 0x7fc00000, v4, vcc_lo
	v_dual_mul_f32 v0, v5, v0 :: v_dual_cndmask_b32 v1, 0x7fc00000, v1
	v_cmp_class_f32_e64 vcc_lo, v16, 0x260
	s_delay_alu instid0(VALU_DEP_2) | instskip(NEXT) | instid1(VALU_DEP_1)
	v_dual_mul_f32 v5, 0x37800000, v2 :: v_dual_mul_f32 v0, v0, v4
	v_cndmask_b32_e64 v2, v2, v5, s2
	s_delay_alu instid0(VALU_DEP_1) | instskip(NEXT) | instid1(VALU_DEP_1)
	v_dual_fmac_f32 v0, v3, v1 :: v_dual_cndmask_b32 v1, v2, v16
	v_mul_f32_e32 v0, 0x3f4c422a, v0
	s_delay_alu instid0(VALU_DEP_1) | instskip(NEXT) | instid1(VALU_DEP_1)
	v_div_scale_f32 v2, null, v1, v1, v0
	v_rcp_f32_e32 v3, v2
	s_waitcnt_depctr 0xfff
	v_fma_f32 v4, -v2, v3, 1.0
	s_delay_alu instid0(VALU_DEP_1) | instskip(SKIP_1) | instid1(VALU_DEP_1)
	v_fmac_f32_e32 v3, v4, v3
	v_div_scale_f32 v4, vcc_lo, v0, v1, v0
	v_mul_f32_e32 v5, v4, v3
	s_delay_alu instid0(VALU_DEP_1) | instskip(NEXT) | instid1(VALU_DEP_1)
	v_fma_f32 v6, -v2, v5, v4
	v_fmac_f32_e32 v5, v6, v3
	s_delay_alu instid0(VALU_DEP_1) | instskip(NEXT) | instid1(VALU_DEP_1)
	v_fma_f32 v2, -v2, v5, v4
	v_div_fmas_f32 v2, v2, v3, v5
	s_delay_alu instid0(VALU_DEP_1)
	v_div_fixup_f32 v0, v2, v1, v0
.LBB23_1022:
	s_or_b32 exec_lo, exec_lo, s5
	v_and_b32_e32 v4, 0xff, v43
	v_add_co_u32 v2, s2, s36, v42
	s_delay_alu instid0(VALU_DEP_1) | instskip(NEXT) | instid1(VALU_DEP_3)
	v_add_co_ci_u32_e64 v3, null, s37, 0, s2
	v_cmp_gt_i16_e32 vcc_lo, 11, v4
	s_mov_b32 s4, 0
	s_mov_b32 s3, -1
	s_mov_b32 s2, s64
	s_cbranch_vccnz .LBB23_1097
; %bb.1023:
	v_cmp_lt_i16_e32 vcc_lo, 25, v4
	s_mov_b32 s2, s64
	s_cbranch_vccz .LBB23_1056
; %bb.1024:
	v_cmp_lt_i16_e32 vcc_lo, 28, v4
	s_mov_b32 s2, s64
	s_cbranch_vccz .LBB23_1040
; %bb.1025:
	v_cmp_lt_i16_e32 vcc_lo, 43, v4
	s_mov_b32 s2, s64
	s_cbranch_vccz .LBB23_1036
; %bb.1026:
	v_cmp_lt_i16_e32 vcc_lo, 45, v4
	s_mov_b32 s2, s64
	s_cbranch_vccz .LBB23_1030
; %bb.1027:
	v_cmp_eq_u16_e32 vcc_lo, 46, v4
	s_mov_b32 s2, -1
	s_cbranch_vccz .LBB23_1029
; %bb.1028:
	v_bfe_u32 v1, v0, 16, 1
	v_cmp_o_f32_e32 vcc_lo, v0, v0
	s_mov_b32 s2, 0
	s_delay_alu instid0(VALU_DEP_2) | instskip(NEXT) | instid1(VALU_DEP_1)
	v_add3_u32 v1, v0, v1, 0x7fff
	v_lshrrev_b32_e32 v1, 16, v1
	s_delay_alu instid0(VALU_DEP_1)
	v_cndmask_b32_e32 v1, 0x7fc0, v1, vcc_lo
	global_store_b32 v[2:3], v1, off
.LBB23_1029:
	s_mov_b32 s3, 0
.LBB23_1030:
	s_delay_alu instid0(SALU_CYCLE_1)
	s_and_b32 vcc_lo, exec_lo, s3
	s_cbranch_vccz .LBB23_1035
; %bb.1031:
	v_cmp_eq_u16_e32 vcc_lo, 44, v4
	s_mov_b32 s2, -1
	s_cbranch_vccz .LBB23_1035
; %bb.1032:
	v_bfe_u32 v5, v0, 23, 8
	v_mov_b32_e32 v1, 0xff
	s_mov_b32 s3, exec_lo
	s_delay_alu instid0(VALU_DEP_2)
	v_cmpx_ne_u32_e32 0xff, v5
; %bb.1033:
	v_and_b32_e32 v1, 0x400000, v0
	v_and_or_b32 v5, 0x3fffff, v0, v5
	s_delay_alu instid0(VALU_DEP_2) | instskip(NEXT) | instid1(VALU_DEP_2)
	v_cmp_ne_u32_e32 vcc_lo, 0, v1
	v_cmp_ne_u32_e64 s2, 0, v5
	v_lshrrev_b32_e32 v1, 23, v0
	s_delay_alu instid0(VALU_DEP_2) | instskip(NEXT) | instid1(SALU_CYCLE_1)
	s_and_b32 s2, vcc_lo, s2
	v_cndmask_b32_e64 v5, 0, 1, s2
	s_delay_alu instid0(VALU_DEP_1)
	v_add_nc_u32_e32 v1, v1, v5
; %bb.1034:
	s_or_b32 exec_lo, exec_lo, s3
	s_mov_b32 s2, 0
	global_store_b8 v[2:3], v1, off
.LBB23_1035:
	s_mov_b32 s3, 0
.LBB23_1036:
	s_delay_alu instid0(SALU_CYCLE_1)
	s_and_b32 vcc_lo, exec_lo, s3
	s_cbranch_vccz .LBB23_1039
; %bb.1037:
	v_cmp_eq_u16_e32 vcc_lo, 29, v4
	s_mov_b32 s2, -1
	s_cbranch_vccz .LBB23_1039
; %bb.1038:
	v_trunc_f32_e32 v1, v0
	s_mov_b32 s2, 0
	s_delay_alu instid0(VALU_DEP_1) | instskip(NEXT) | instid1(VALU_DEP_1)
	v_mul_f32_e32 v5, 0x2f800000, v1
	v_floor_f32_e32 v5, v5
	s_delay_alu instid0(VALU_DEP_1) | instskip(SKIP_1) | instid1(VALU_DEP_2)
	v_fmamk_f32 v1, v5, 0xcf800000, v1
	v_cvt_u32_f32_e32 v6, v5
	v_cvt_u32_f32_e32 v5, v1
	global_store_b64 v[2:3], v[5:6], off
.LBB23_1039:
	s_mov_b32 s3, 0
.LBB23_1040:
	s_delay_alu instid0(SALU_CYCLE_1)
	s_and_b32 vcc_lo, exec_lo, s3
	s_cbranch_vccz .LBB23_1055
; %bb.1041:
	v_cmp_gt_i16_e32 vcc_lo, 27, v4
	s_mov_b32 s3, -1
	s_cbranch_vccnz .LBB23_1047
; %bb.1042:
	v_cmp_lt_i16_e32 vcc_lo, 27, v4
	v_cvt_u32_f32_e32 v1, v0
	s_cbranch_vccz .LBB23_1044
; %bb.1043:
	s_mov_b32 s3, 0
	global_store_b32 v[2:3], v1, off
.LBB23_1044:
	s_and_not1_b32 vcc_lo, exec_lo, s3
	s_cbranch_vccnz .LBB23_1046
; %bb.1045:
	global_store_b16 v[2:3], v1, off
.LBB23_1046:
	s_mov_b32 s3, 0
.LBB23_1047:
	s_delay_alu instid0(SALU_CYCLE_1)
	s_and_not1_b32 vcc_lo, exec_lo, s3
	s_cbranch_vccnz .LBB23_1055
; %bb.1048:
	v_and_b32_e32 v1, 0x7fffffff, v0
	v_mov_b32_e32 v5, 0x80
	s_mov_b32 s3, exec_lo
	s_delay_alu instid0(VALU_DEP_2)
	v_cmpx_gt_u32_e32 0x43800000, v1
	s_cbranch_execz .LBB23_1054
; %bb.1049:
	v_cmp_lt_u32_e32 vcc_lo, 0x3bffffff, v1
                                        ; implicit-def: $vgpr1
	s_and_saveexec_b32 s5, vcc_lo
	s_delay_alu instid0(SALU_CYCLE_1)
	s_xor_b32 s5, exec_lo, s5
	s_cbranch_execz .LBB23_1359
; %bb.1050:
	v_bfe_u32 v1, v0, 20, 1
	s_mov_b32 s4, exec_lo
	s_delay_alu instid0(VALU_DEP_1) | instskip(NEXT) | instid1(VALU_DEP_1)
	v_add3_u32 v1, v0, v1, 0x487ffff
	v_lshrrev_b32_e32 v1, 20, v1
	s_or_saveexec_b32 s5, s5
                                        ; implicit-def: $sgpr6
	s_delay_alu instid0(SALU_CYCLE_1)
	s_xor_b32 exec_lo, exec_lo, s5
	s_cbranch_execnz .LBB23_1360
.LBB23_1051:
	s_or_b32 exec_lo, exec_lo, s5
	v_mov_b32_e32 v5, s6
	s_and_saveexec_b32 s5, s4
.LBB23_1052:
	v_lshrrev_b32_e32 v5, 24, v0
	s_delay_alu instid0(VALU_DEP_1)
	v_and_or_b32 v5, 0x80, v5, v1
.LBB23_1053:
	s_or_b32 exec_lo, exec_lo, s5
.LBB23_1054:
	s_delay_alu instid0(SALU_CYCLE_1)
	s_or_b32 exec_lo, exec_lo, s3
	global_store_b8 v[2:3], v5, off
.LBB23_1055:
	s_mov_b32 s3, 0
.LBB23_1056:
	s_delay_alu instid0(SALU_CYCLE_1)
	s_and_b32 vcc_lo, exec_lo, s3
	s_mov_b32 s3, 0
	s_cbranch_vccz .LBB23_1096
; %bb.1057:
	v_cmp_lt_i16_e32 vcc_lo, 22, v4
	s_mov_b32 s4, -1
	s_cbranch_vccz .LBB23_1089
; %bb.1058:
	v_cmp_gt_i16_e32 vcc_lo, 24, v4
	s_cbranch_vccnz .LBB23_1078
; %bb.1059:
	v_cmp_lt_i16_e32 vcc_lo, 24, v4
	s_cbranch_vccz .LBB23_1067
; %bb.1060:
	v_and_b32_e32 v1, 0x7fffffff, v0
	v_mov_b32_e32 v5, 0x80
	s_mov_b32 s4, exec_lo
	s_delay_alu instid0(VALU_DEP_2)
	v_cmpx_gt_u32_e32 0x47800000, v1
	s_cbranch_execz .LBB23_1066
; %bb.1061:
	v_cmp_lt_u32_e32 vcc_lo, 0x37ffffff, v1
	s_mov_b32 s5, 0
                                        ; implicit-def: $vgpr1
	s_and_saveexec_b32 s6, vcc_lo
	s_delay_alu instid0(SALU_CYCLE_1)
	s_xor_b32 s6, exec_lo, s6
	s_cbranch_execz .LBB23_1403
; %bb.1062:
	v_bfe_u32 v1, v0, 21, 1
	s_mov_b32 s5, exec_lo
	s_delay_alu instid0(VALU_DEP_1) | instskip(NEXT) | instid1(VALU_DEP_1)
	v_add3_u32 v1, v0, v1, 0x88fffff
	v_lshrrev_b32_e32 v1, 21, v1
	s_or_saveexec_b32 s6, s6
                                        ; implicit-def: $sgpr7
	s_delay_alu instid0(SALU_CYCLE_1)
	s_xor_b32 exec_lo, exec_lo, s6
	s_cbranch_execnz .LBB23_1404
.LBB23_1063:
	s_or_b32 exec_lo, exec_lo, s6
	v_mov_b32_e32 v5, s7
	s_and_saveexec_b32 s6, s5
.LBB23_1064:
	v_lshrrev_b32_e32 v5, 24, v0
	s_delay_alu instid0(VALU_DEP_1)
	v_and_or_b32 v5, 0x80, v5, v1
.LBB23_1065:
	s_or_b32 exec_lo, exec_lo, s6
.LBB23_1066:
	s_delay_alu instid0(SALU_CYCLE_1)
	s_or_b32 exec_lo, exec_lo, s4
	s_mov_b32 s4, 0
	global_store_b8 v[2:3], v5, off
.LBB23_1067:
	s_and_b32 vcc_lo, exec_lo, s4
	s_cbranch_vccz .LBB23_1077
; %bb.1068:
	v_and_b32_e32 v5, 0x7fffffff, v0
	s_mov_b32 s4, exec_lo
                                        ; implicit-def: $vgpr1
	s_delay_alu instid0(VALU_DEP_1)
	v_cmpx_gt_u32_e32 0x43f00000, v5
	s_xor_b32 s4, exec_lo, s4
	s_cbranch_execz .LBB23_1074
; %bb.1069:
	s_mov_b32 s5, exec_lo
                                        ; implicit-def: $vgpr1
	v_cmpx_lt_u32_e32 0x3c7fffff, v5
	s_xor_b32 s5, exec_lo, s5
; %bb.1070:
	v_bfe_u32 v1, v0, 20, 1
	s_delay_alu instid0(VALU_DEP_1) | instskip(NEXT) | instid1(VALU_DEP_1)
	v_add3_u32 v1, v0, v1, 0x407ffff
	v_and_b32_e32 v5, 0xff00000, v1
	v_lshrrev_b32_e32 v1, 20, v1
	s_delay_alu instid0(VALU_DEP_2) | instskip(NEXT) | instid1(VALU_DEP_2)
	v_cmp_ne_u32_e32 vcc_lo, 0x7f00000, v5
	v_cndmask_b32_e32 v1, 0x7e, v1, vcc_lo
; %bb.1071:
	s_and_not1_saveexec_b32 s5, s5
; %bb.1072:
	v_add_f32_e64 v1, 0x46800000, |v0|
; %bb.1073:
	s_or_b32 exec_lo, exec_lo, s5
                                        ; implicit-def: $vgpr5
.LBB23_1074:
	s_and_not1_saveexec_b32 s4, s4
; %bb.1075:
	v_mov_b32_e32 v1, 0x7f
	v_cmp_lt_u32_e32 vcc_lo, 0x7f800000, v5
	s_delay_alu instid0(VALU_DEP_2)
	v_cndmask_b32_e32 v1, 0x7e, v1, vcc_lo
; %bb.1076:
	s_or_b32 exec_lo, exec_lo, s4
	v_lshrrev_b32_e32 v5, 24, v0
	s_delay_alu instid0(VALU_DEP_1)
	v_and_or_b32 v1, 0x80, v5, v1
	global_store_b8 v[2:3], v1, off
.LBB23_1077:
	s_mov_b32 s4, 0
.LBB23_1078:
	s_delay_alu instid0(SALU_CYCLE_1)
	s_and_not1_b32 vcc_lo, exec_lo, s4
	s_cbranch_vccnz .LBB23_1088
; %bb.1079:
	v_and_b32_e32 v5, 0x7fffffff, v0
	s_mov_b32 s4, exec_lo
                                        ; implicit-def: $vgpr1
	s_delay_alu instid0(VALU_DEP_1)
	v_cmpx_gt_u32_e32 0x47800000, v5
	s_xor_b32 s4, exec_lo, s4
	s_cbranch_execz .LBB23_1085
; %bb.1080:
	s_mov_b32 s5, exec_lo
                                        ; implicit-def: $vgpr1
	v_cmpx_lt_u32_e32 0x387fffff, v5
	s_xor_b32 s5, exec_lo, s5
; %bb.1081:
	v_bfe_u32 v1, v0, 21, 1
	s_delay_alu instid0(VALU_DEP_1) | instskip(NEXT) | instid1(VALU_DEP_1)
	v_add3_u32 v1, v0, v1, 0x80fffff
	v_lshrrev_b32_e32 v1, 21, v1
; %bb.1082:
	s_and_not1_saveexec_b32 s5, s5
; %bb.1083:
	v_add_f32_e64 v1, 0x43000000, |v0|
; %bb.1084:
	s_or_b32 exec_lo, exec_lo, s5
                                        ; implicit-def: $vgpr5
.LBB23_1085:
	s_and_not1_saveexec_b32 s4, s4
; %bb.1086:
	v_mov_b32_e32 v1, 0x7f
	v_cmp_lt_u32_e32 vcc_lo, 0x7f800000, v5
	s_delay_alu instid0(VALU_DEP_2)
	v_cndmask_b32_e32 v1, 0x7c, v1, vcc_lo
; %bb.1087:
	s_or_b32 exec_lo, exec_lo, s4
	v_lshrrev_b32_e32 v5, 24, v0
	s_delay_alu instid0(VALU_DEP_1)
	v_and_or_b32 v1, 0x80, v5, v1
	global_store_b8 v[2:3], v1, off
.LBB23_1088:
	s_mov_b32 s4, 0
.LBB23_1089:
	s_delay_alu instid0(SALU_CYCLE_1)
	s_and_not1_b32 vcc_lo, exec_lo, s4
	s_mov_b32 s4, 0
	s_cbranch_vccnz .LBB23_1097
; %bb.1090:
	v_cmp_lt_i16_e32 vcc_lo, 14, v4
	s_mov_b32 s4, -1
	s_cbranch_vccz .LBB23_1094
; %bb.1091:
	v_cmp_eq_u16_e32 vcc_lo, 15, v4
	s_mov_b32 s2, -1
	s_cbranch_vccz .LBB23_1093
; %bb.1092:
	v_bfe_u32 v1, v0, 16, 1
	v_cmp_o_f32_e32 vcc_lo, v0, v0
	s_mov_b32 s2, 0
	s_delay_alu instid0(VALU_DEP_2) | instskip(NEXT) | instid1(VALU_DEP_1)
	v_add3_u32 v1, v0, v1, 0x7fff
	v_lshrrev_b32_e32 v1, 16, v1
	s_delay_alu instid0(VALU_DEP_1)
	v_cndmask_b32_e32 v1, 0x7fc0, v1, vcc_lo
	global_store_b16 v[2:3], v1, off
.LBB23_1093:
	s_mov_b32 s4, 0
.LBB23_1094:
	s_delay_alu instid0(SALU_CYCLE_1)
	s_and_b32 vcc_lo, exec_lo, s4
	s_mov_b32 s4, 0
	s_cbranch_vccz .LBB23_1097
; %bb.1095:
	v_cmp_ne_u16_e32 vcc_lo, 11, v4
	s_and_not1_b32 s2, s2, exec_lo
	s_mov_b32 s4, -1
	s_and_b32 s5, vcc_lo, exec_lo
	s_delay_alu instid0(SALU_CYCLE_1)
	s_or_b32 s2, s2, s5
	s_branch .LBB23_1097
.LBB23_1096:
	s_mov_b32 s4, 0
.LBB23_1097:
	s_and_not1_b32 s5, s64, exec_lo
	s_and_b32 s2, s2, exec_lo
	s_and_b32 s3, s3, exec_lo
	;; [unrolled: 1-line block ×3, first 2 shown]
	s_or_b32 s64, s5, s2
.LBB23_1098:
	s_or_b32 exec_lo, exec_lo, s41
	s_and_saveexec_b32 s2, s64
	s_cbranch_execnz .LBB23_1212
; %bb.1099:
	s_or_b32 exec_lo, exec_lo, s2
	s_and_saveexec_b32 s2, s4
	s_delay_alu instid0(SALU_CYCLE_1)
	s_xor_b32 s2, exec_lo, s2
	s_cbranch_execz .LBB23_1101
.LBB23_1100:
	v_cmp_neq_f32_e32 vcc_lo, 0, v0
	v_cndmask_b32_e64 v1, 0, 1, vcc_lo
	global_store_b8 v[2:3], v1, off
.LBB23_1101:
	s_or_b32 exec_lo, exec_lo, s2
	s_and_saveexec_b32 s2, s3
	s_delay_alu instid0(SALU_CYCLE_1)
	s_xor_b32 s2, exec_lo, s2
	s_cbranch_execz .LBB23_1139
; %bb.1102:
	v_cmp_gt_i16_e32 vcc_lo, 5, v4
	s_mov_b32 s3, -1
	s_cbranch_vccnz .LBB23_1123
; %bb.1103:
	v_cmp_gt_i16_e32 vcc_lo, 8, v4
	s_cbranch_vccnz .LBB23_1113
; %bb.1104:
	v_cmp_gt_i16_e32 vcc_lo, 9, v4
	s_cbranch_vccnz .LBB23_1110
; %bb.1105:
	v_cmp_lt_i16_e32 vcc_lo, 9, v4
	s_cbranch_vccz .LBB23_1107
; %bb.1106:
	v_cvt_f64_f32_e32 v[5:6], v0
	v_mov_b32_e32 v7, 0
	s_mov_b32 s3, 0
	s_delay_alu instid0(VALU_DEP_1)
	v_mov_b32_e32 v8, v7
	global_store_b128 v[2:3], v[5:8], off
.LBB23_1107:
	s_and_not1_b32 vcc_lo, exec_lo, s3
	s_cbranch_vccnz .LBB23_1109
; %bb.1108:
	v_mov_b32_e32 v1, 0
	global_store_b64 v[2:3], v[0:1], off
.LBB23_1109:
	s_mov_b32 s3, 0
.LBB23_1110:
	s_delay_alu instid0(SALU_CYCLE_1)
	s_and_not1_b32 vcc_lo, exec_lo, s3
	s_cbranch_vccnz .LBB23_1112
; %bb.1111:
	v_cvt_f16_f32_e32 v1, v0
	s_delay_alu instid0(VALU_DEP_1)
	v_and_b32_e32 v1, 0xffff, v1
	global_store_b32 v[2:3], v1, off
.LBB23_1112:
	s_mov_b32 s3, 0
.LBB23_1113:
	s_delay_alu instid0(SALU_CYCLE_1)
	s_and_not1_b32 vcc_lo, exec_lo, s3
	s_cbranch_vccnz .LBB23_1122
; %bb.1114:
	v_cmp_gt_i16_e32 vcc_lo, 6, v4
	s_mov_b32 s3, -1
	s_cbranch_vccnz .LBB23_1120
; %bb.1115:
	v_cmp_lt_i16_e32 vcc_lo, 6, v4
	s_cbranch_vccz .LBB23_1117
; %bb.1116:
	v_cvt_f64_f32_e32 v[5:6], v0
	s_mov_b32 s3, 0
	global_store_b64 v[2:3], v[5:6], off
.LBB23_1117:
	s_and_not1_b32 vcc_lo, exec_lo, s3
	s_cbranch_vccnz .LBB23_1119
; %bb.1118:
	global_store_b32 v[2:3], v0, off
.LBB23_1119:
	s_mov_b32 s3, 0
.LBB23_1120:
	s_delay_alu instid0(SALU_CYCLE_1)
	s_and_not1_b32 vcc_lo, exec_lo, s3
	s_cbranch_vccnz .LBB23_1122
; %bb.1121:
	v_cvt_f16_f32_e32 v1, v0
	global_store_b16 v[2:3], v1, off
.LBB23_1122:
	s_mov_b32 s3, 0
.LBB23_1123:
	s_delay_alu instid0(SALU_CYCLE_1)
	s_and_not1_b32 vcc_lo, exec_lo, s3
	s_cbranch_vccnz .LBB23_1139
; %bb.1124:
	v_cmp_gt_i16_e32 vcc_lo, 2, v4
	s_mov_b32 s3, -1
	s_cbranch_vccnz .LBB23_1134
; %bb.1125:
	v_cmp_gt_i16_e32 vcc_lo, 3, v4
	s_cbranch_vccnz .LBB23_1131
; %bb.1126:
	v_cmp_lt_i16_e32 vcc_lo, 3, v4
	s_cbranch_vccz .LBB23_1128
; %bb.1127:
	v_trunc_f32_e32 v1, v0
	s_mov_b32 s3, 0
	s_delay_alu instid0(VALU_DEP_1) | instskip(NEXT) | instid1(VALU_DEP_1)
	v_mul_f32_e64 v5, 0x2f800000, |v1|
	v_floor_f32_e32 v5, v5
	s_delay_alu instid0(VALU_DEP_1) | instskip(SKIP_2) | instid1(VALU_DEP_3)
	v_fma_f32 v6, 0xcf800000, v5, |v1|
	v_ashrrev_i32_e32 v1, 31, v1
	v_cvt_u32_f32_e32 v5, v5
	v_cvt_u32_f32_e32 v6, v6
	s_delay_alu instid0(VALU_DEP_2) | instskip(NEXT) | instid1(VALU_DEP_2)
	v_xor_b32_e32 v7, v5, v1
	v_xor_b32_e32 v6, v6, v1
	s_delay_alu instid0(VALU_DEP_1) | instskip(NEXT) | instid1(VALU_DEP_3)
	v_sub_co_u32 v5, vcc_lo, v6, v1
	v_sub_co_ci_u32_e32 v6, vcc_lo, v7, v1, vcc_lo
	global_store_b64 v[2:3], v[5:6], off
.LBB23_1128:
	s_and_not1_b32 vcc_lo, exec_lo, s3
	s_cbranch_vccnz .LBB23_1130
; %bb.1129:
	v_cvt_i32_f32_e32 v1, v0
	global_store_b32 v[2:3], v1, off
.LBB23_1130:
	s_mov_b32 s3, 0
.LBB23_1131:
	s_delay_alu instid0(SALU_CYCLE_1)
	s_and_not1_b32 vcc_lo, exec_lo, s3
	s_cbranch_vccnz .LBB23_1133
; %bb.1132:
	v_cvt_i32_f32_e32 v1, v0
	global_store_b16 v[2:3], v1, off
.LBB23_1133:
	s_mov_b32 s3, 0
.LBB23_1134:
	s_delay_alu instid0(SALU_CYCLE_1)
	s_and_not1_b32 vcc_lo, exec_lo, s3
	s_cbranch_vccnz .LBB23_1139
; %bb.1135:
	v_cmp_lt_i16_e32 vcc_lo, 0, v4
	s_mov_b32 s3, -1
	s_cbranch_vccz .LBB23_1137
; %bb.1136:
	v_cvt_i32_f32_e32 v1, v0
	s_mov_b32 s3, 0
	global_store_b8 v[2:3], v1, off
.LBB23_1137:
	s_and_not1_b32 vcc_lo, exec_lo, s3
	s_cbranch_vccnz .LBB23_1139
; %bb.1138:
	v_trunc_f32_e32 v0, v0
	s_delay_alu instid0(VALU_DEP_1) | instskip(NEXT) | instid1(VALU_DEP_1)
	v_mul_f32_e64 v1, 0x2f800000, |v0|
	v_floor_f32_e32 v1, v1
	s_delay_alu instid0(VALU_DEP_1) | instskip(SKIP_1) | instid1(VALU_DEP_2)
	v_fma_f32 v1, 0xcf800000, v1, |v0|
	v_ashrrev_i32_e32 v0, 31, v0
	v_cvt_u32_f32_e32 v1, v1
	s_delay_alu instid0(VALU_DEP_1) | instskip(NEXT) | instid1(VALU_DEP_1)
	v_xor_b32_e32 v1, v1, v0
	v_sub_nc_u32_e32 v0, v1, v0
	global_store_b8 v[2:3], v0, off
.LBB23_1139:
	s_or_b32 exec_lo, exec_lo, s2
	s_delay_alu instid0(SALU_CYCLE_1)
	s_and_b32 s40, s40, exec_lo
                                        ; implicit-def: $vgpr1
                                        ; implicit-def: $vgpr46
.LBB23_1140:
	s_or_saveexec_b32 s41, s59
	s_mov_b32 s2, 0
                                        ; implicit-def: $vgpr2_vgpr3
                                        ; implicit-def: $vgpr4
                                        ; implicit-def: $vgpr0
	s_xor_b32 exec_lo, exec_lo, s41
	s_cbranch_execz .LBB23_1783
; %bb.1141:
	v_cndmask_b32_e64 v2, 0, 1, s58
	s_and_not1_b32 vcc_lo, exec_lo, s58
	s_cbranch_vccnz .LBB23_1147
; %bb.1142:
	v_dual_mov_b32 v45, 0 :: v_dual_mov_b32 v0, 0
	s_cmp_lg_u32 s35, 0
	s_mov_b32 s6, 0
	s_cbranch_scc0 .LBB23_1151
; %bb.1143:
	s_min_u32 s7, s56, 15
	v_mov_b32_e32 v45, 0
	s_add_i32 s7, s7, 1
	s_cmp_eq_u32 s56, 2
	s_mov_b32 s8, 0
	s_cbranch_scc1 .LBB23_1148
; %bb.1144:
	v_dual_mov_b32 v0, 0 :: v_dual_mov_b32 v45, 0
	v_mov_b32_e32 v3, v46
	s_add_u32 s2, s48, 0xc4
	s_addc_u32 s3, s49, 0
	s_and_b32 s8, s7, 28
	s_mov_b32 s9, 0
	s_mov_b64 s[4:5], s[48:49]
.LBB23_1145:                            ; =>This Inner Loop Header: Depth=1
	s_clause 0x1
	s_load_b256 s[12:19], s[4:5], 0x4
	s_load_b128 s[28:31], s[4:5], 0x24
	s_load_b256 s[20:27], s[2:3], 0x0
	s_add_u32 s4, s4, 48
	s_addc_u32 s5, s5, 0
	s_add_i32 s9, s9, 4
	s_add_u32 s2, s2, 32
	s_addc_u32 s3, s3, 0
	s_cmp_lg_u32 s8, s9
	s_waitcnt lgkmcnt(0)
	v_mul_hi_u32 v4, s13, v3
	s_delay_alu instid0(VALU_DEP_1) | instskip(NEXT) | instid1(VALU_DEP_1)
	v_add_nc_u32_e32 v4, v3, v4
	v_lshrrev_b32_e32 v4, s14, v4
	s_delay_alu instid0(VALU_DEP_1) | instskip(SKIP_1) | instid1(VALU_DEP_2)
	v_mul_hi_u32 v5, s16, v4
	v_mul_lo_u32 v7, v4, s12
	v_add_nc_u32_e32 v5, v4, v5
	s_delay_alu instid0(VALU_DEP_2) | instskip(NEXT) | instid1(VALU_DEP_2)
	v_sub_nc_u32_e32 v3, v3, v7
	v_lshrrev_b32_e32 v5, s17, v5
	s_delay_alu instid0(VALU_DEP_2) | instskip(SKIP_1) | instid1(VALU_DEP_3)
	v_mul_lo_u32 v7, v3, s20
	v_mul_lo_u32 v9, v3, s21
	v_mul_hi_u32 v6, s19, v5
	s_delay_alu instid0(VALU_DEP_1) | instskip(NEXT) | instid1(VALU_DEP_1)
	v_add_nc_u32_e32 v6, v5, v6
	v_lshrrev_b32_e32 v6, s28, v6
	s_delay_alu instid0(VALU_DEP_1) | instskip(SKIP_1) | instid1(VALU_DEP_2)
	v_mul_hi_u32 v8, s30, v6
	v_mul_lo_u32 v10, v6, s18
	v_add_nc_u32_e32 v3, v6, v8
	v_mul_lo_u32 v8, v5, s15
	s_delay_alu instid0(VALU_DEP_3) | instskip(NEXT) | instid1(VALU_DEP_3)
	v_sub_nc_u32_e32 v5, v5, v10
	v_lshrrev_b32_e32 v3, s31, v3
	s_delay_alu instid0(VALU_DEP_2) | instskip(SKIP_2) | instid1(VALU_DEP_4)
	v_mul_lo_u32 v10, v5, s24
	v_mul_lo_u32 v5, v5, s25
	v_sub_nc_u32_e32 v4, v4, v8
	v_mul_lo_u32 v11, v3, s29
	s_delay_alu instid0(VALU_DEP_2) | instskip(SKIP_1) | instid1(VALU_DEP_3)
	v_mul_lo_u32 v8, v4, s22
	v_mul_lo_u32 v4, v4, s23
	v_sub_nc_u32_e32 v6, v6, v11
	s_delay_alu instid0(VALU_DEP_3) | instskip(NEXT) | instid1(VALU_DEP_2)
	v_add3_u32 v7, v7, v45, v8
	v_mul_lo_u32 v11, v6, s26
	v_mul_lo_u32 v6, v6, s27
	v_add3_u32 v0, v9, v0, v4
	s_delay_alu instid0(VALU_DEP_3) | instskip(NEXT) | instid1(VALU_DEP_2)
	v_add3_u32 v45, v10, v7, v11
	v_add3_u32 v0, v5, v0, v6
	s_cbranch_scc1 .LBB23_1145
; %bb.1146:
	s_and_b32 s7, s7, 3
	s_delay_alu instid0(SALU_CYCLE_1)
	s_cmp_eq_u32 s7, 0
	s_cbranch_scc0 .LBB23_1149
	s_branch .LBB23_1151
.LBB23_1147:
	s_mov_b32 s6, -1
                                        ; implicit-def: $vgpr45
                                        ; implicit-def: $vgpr0
	s_branch .LBB23_1151
.LBB23_1148:
	v_dual_mov_b32 v3, v46 :: v_dual_mov_b32 v0, 0
	s_and_b32 s7, s7, 3
	s_delay_alu instid0(SALU_CYCLE_1)
	s_cmp_eq_u32 s7, 0
	s_cbranch_scc1 .LBB23_1151
.LBB23_1149:
	s_lshl_b32 s2, s8, 3
	s_mul_i32 s4, s8, 12
	s_add_u32 s2, s2, s48
	s_addc_u32 s3, 0, s49
	s_add_u32 s2, s2, 0xc4
	s_addc_u32 s3, s3, 0
	;; [unrolled: 2-line block ×3, first 2 shown]
	.p2align	6
.LBB23_1150:                            ; =>This Inner Loop Header: Depth=1
	s_clause 0x1
	s_load_b64 s[8:9], s[4:5], 0x4
	s_load_b32 s12, s[4:5], 0xc
	s_load_b64 s[10:11], s[2:3], 0x0
	s_add_u32 s4, s4, 12
	s_addc_u32 s5, s5, 0
	s_add_u32 s2, s2, 8
	s_addc_u32 s3, s3, 0
	s_add_i32 s7, s7, -1
	s_delay_alu instid0(SALU_CYCLE_1) | instskip(SKIP_2) | instid1(VALU_DEP_1)
	s_cmp_lg_u32 s7, 0
	s_waitcnt lgkmcnt(0)
	v_mul_hi_u32 v4, s9, v3
	v_add_nc_u32_e32 v4, v3, v4
	s_delay_alu instid0(VALU_DEP_1) | instskip(NEXT) | instid1(VALU_DEP_1)
	v_lshrrev_b32_e32 v7, s12, v4
	v_mul_lo_u32 v4, v7, s8
	s_delay_alu instid0(VALU_DEP_1) | instskip(NEXT) | instid1(VALU_DEP_1)
	v_sub_nc_u32_e32 v3, v3, v4
	v_mad_u64_u32 v[4:5], null, v3, s10, v[45:46]
	v_mad_u64_u32 v[5:6], null, v3, s11, v[0:1]
	v_mov_b32_e32 v3, v7
	s_delay_alu instid0(VALU_DEP_2)
	v_dual_mov_b32 v45, v4 :: v_dual_mov_b32 v0, v5
	s_cbranch_scc1 .LBB23_1150
.LBB23_1151:
	s_and_not1_b32 vcc_lo, exec_lo, s6
	s_cbranch_vccnz .LBB23_1154
; %bb.1152:
	s_clause 0x1
	s_load_b128 s[4:7], s[48:49], 0x4
	s_load_b64 s[2:3], s[48:49], 0xc4
	s_cmp_lt_u32 s35, 2
	s_waitcnt lgkmcnt(0)
	v_mul_hi_u32 v0, s5, v46
	s_delay_alu instid0(VALU_DEP_1) | instskip(NEXT) | instid1(VALU_DEP_1)
	v_add_nc_u32_e32 v0, v46, v0
	v_lshrrev_b32_e32 v3, s6, v0
	s_delay_alu instid0(VALU_DEP_1) | instskip(NEXT) | instid1(VALU_DEP_1)
	v_mul_lo_u32 v0, v3, s4
	v_sub_nc_u32_e32 v0, v46, v0
	s_delay_alu instid0(VALU_DEP_1)
	v_mul_lo_u32 v45, v0, s2
	v_mul_lo_u32 v0, v0, s3
	s_cbranch_scc1 .LBB23_1154
; %bb.1153:
	s_clause 0x1
	s_load_b128 s[4:7], s[48:49], 0x10
	s_load_b64 s[2:3], s[48:49], 0xcc
	s_waitcnt lgkmcnt(0)
	v_mul_hi_u32 v4, s5, v3
	s_delay_alu instid0(VALU_DEP_1) | instskip(NEXT) | instid1(VALU_DEP_1)
	v_add_nc_u32_e32 v4, v3, v4
	v_lshrrev_b32_e32 v4, s6, v4
	s_delay_alu instid0(VALU_DEP_1) | instskip(NEXT) | instid1(VALU_DEP_1)
	v_mul_lo_u32 v4, v4, s4
	v_sub_nc_u32_e32 v6, v3, v4
	s_delay_alu instid0(VALU_DEP_1) | instskip(SKIP_1) | instid1(VALU_DEP_1)
	v_mad_u64_u32 v[3:4], null, v6, s2, v[45:46]
	v_mad_u64_u32 v[4:5], null, v6, s3, v[0:1]
	v_dual_mov_b32 v45, v3 :: v_dual_mov_b32 v0, v4
.LBB23_1154:
	v_cmp_ne_u32_e32 vcc_lo, 1, v2
	v_add_nc_u32_e32 v3, 0x80, v46
	s_cbranch_vccnz .LBB23_1160
; %bb.1155:
	v_mov_b32_e32 v44, 0
	v_mov_b32_e32 v56, 0
	s_cmp_lg_u32 s35, 0
	s_mov_b32 s6, 0
	s_cbranch_scc0 .LBB23_1164
; %bb.1156:
	s_min_u32 s7, s56, 15
	v_mov_b32_e32 v44, 0
	s_add_i32 s7, s7, 1
	s_cmp_eq_u32 s56, 2
	s_mov_b32 s8, 0
	s_cbranch_scc1 .LBB23_1161
; %bb.1157:
	v_mov_b32_e32 v56, 0
	v_mov_b32_e32 v44, 0
	;; [unrolled: 1-line block ×3, first 2 shown]
	s_add_u32 s2, s48, 0xc4
	s_addc_u32 s3, s49, 0
	s_and_b32 s8, s7, 28
	s_mov_b32 s9, 0
	s_mov_b64 s[4:5], s[48:49]
.LBB23_1158:                            ; =>This Inner Loop Header: Depth=1
	s_clause 0x1
	s_load_b256 s[12:19], s[4:5], 0x4
	s_load_b128 s[28:31], s[4:5], 0x24
	s_load_b256 s[20:27], s[2:3], 0x0
	s_add_u32 s4, s4, 48
	s_addc_u32 s5, s5, 0
	s_add_i32 s9, s9, 4
	s_add_u32 s2, s2, 32
	s_addc_u32 s3, s3, 0
	s_cmp_lg_u32 s8, s9
	s_waitcnt lgkmcnt(0)
	v_mul_hi_u32 v5, s13, v4
	s_delay_alu instid0(VALU_DEP_1) | instskip(NEXT) | instid1(VALU_DEP_1)
	v_add_nc_u32_e32 v5, v4, v5
	v_lshrrev_b32_e32 v5, s14, v5
	s_delay_alu instid0(VALU_DEP_1) | instskip(SKIP_1) | instid1(VALU_DEP_2)
	v_mul_hi_u32 v6, s16, v5
	v_mul_lo_u32 v8, v5, s12
	v_add_nc_u32_e32 v6, v5, v6
	s_delay_alu instid0(VALU_DEP_2) | instskip(NEXT) | instid1(VALU_DEP_2)
	v_sub_nc_u32_e32 v4, v4, v8
	v_lshrrev_b32_e32 v6, s17, v6
	s_delay_alu instid0(VALU_DEP_2) | instskip(SKIP_1) | instid1(VALU_DEP_3)
	v_mul_lo_u32 v8, v4, s20
	v_mul_lo_u32 v10, v4, s21
	v_mul_hi_u32 v7, s19, v6
	s_delay_alu instid0(VALU_DEP_1) | instskip(NEXT) | instid1(VALU_DEP_1)
	v_add_nc_u32_e32 v7, v6, v7
	v_lshrrev_b32_e32 v7, s28, v7
	s_delay_alu instid0(VALU_DEP_1) | instskip(SKIP_1) | instid1(VALU_DEP_2)
	v_mul_hi_u32 v9, s30, v7
	v_mul_lo_u32 v11, v7, s18
	v_add_nc_u32_e32 v4, v7, v9
	v_mul_lo_u32 v9, v6, s15
	s_delay_alu instid0(VALU_DEP_3) | instskip(NEXT) | instid1(VALU_DEP_3)
	v_sub_nc_u32_e32 v6, v6, v11
	v_lshrrev_b32_e32 v4, s31, v4
	s_delay_alu instid0(VALU_DEP_2) | instskip(SKIP_2) | instid1(VALU_DEP_4)
	v_mul_lo_u32 v11, v6, s24
	v_mul_lo_u32 v6, v6, s25
	v_sub_nc_u32_e32 v5, v5, v9
	v_mul_lo_u32 v12, v4, s29
	s_delay_alu instid0(VALU_DEP_2) | instskip(SKIP_1) | instid1(VALU_DEP_3)
	v_mul_lo_u32 v9, v5, s22
	v_mul_lo_u32 v5, v5, s23
	v_sub_nc_u32_e32 v7, v7, v12
	s_delay_alu instid0(VALU_DEP_3) | instskip(NEXT) | instid1(VALU_DEP_2)
	v_add3_u32 v8, v8, v44, v9
	v_mul_lo_u32 v12, v7, s26
	v_mul_lo_u32 v7, v7, s27
	v_add3_u32 v5, v10, v56, v5
	s_delay_alu instid0(VALU_DEP_3) | instskip(NEXT) | instid1(VALU_DEP_2)
	v_add3_u32 v44, v11, v8, v12
	v_add3_u32 v56, v6, v5, v7
	s_cbranch_scc1 .LBB23_1158
; %bb.1159:
	s_and_b32 s7, s7, 3
	s_delay_alu instid0(SALU_CYCLE_1)
	s_cmp_eq_u32 s7, 0
	s_cbranch_scc0 .LBB23_1162
	s_branch .LBB23_1164
.LBB23_1160:
	s_mov_b32 s6, -1
                                        ; implicit-def: $vgpr44
                                        ; implicit-def: $vgpr56
	s_branch .LBB23_1164
.LBB23_1161:
	v_mov_b32_e32 v4, v3
	v_mov_b32_e32 v56, 0
	s_and_b32 s7, s7, 3
	s_delay_alu instid0(SALU_CYCLE_1)
	s_cmp_eq_u32 s7, 0
	s_cbranch_scc1 .LBB23_1164
.LBB23_1162:
	s_lshl_b32 s2, s8, 3
	s_mul_i32 s4, s8, 12
	s_add_u32 s2, s2, s48
	s_addc_u32 s3, 0, s49
	s_add_u32 s2, s2, 0xc4
	s_addc_u32 s3, s3, 0
	;; [unrolled: 2-line block ×3, first 2 shown]
	.p2align	6
.LBB23_1163:                            ; =>This Inner Loop Header: Depth=1
	s_clause 0x1
	s_load_b64 s[8:9], s[4:5], 0x4
	s_load_b32 s12, s[4:5], 0xc
	s_load_b64 s[10:11], s[2:3], 0x0
	s_add_u32 s4, s4, 12
	s_addc_u32 s5, s5, 0
	s_add_u32 s2, s2, 8
	s_addc_u32 s3, s3, 0
	s_add_i32 s7, s7, -1
	s_delay_alu instid0(SALU_CYCLE_1) | instskip(SKIP_2) | instid1(VALU_DEP_1)
	s_cmp_lg_u32 s7, 0
	s_waitcnt lgkmcnt(0)
	v_mul_hi_u32 v5, s9, v4
	v_add_nc_u32_e32 v5, v4, v5
	s_delay_alu instid0(VALU_DEP_1) | instskip(NEXT) | instid1(VALU_DEP_1)
	v_lshrrev_b32_e32 v8, s12, v5
	v_mul_lo_u32 v5, v8, s8
	s_delay_alu instid0(VALU_DEP_1) | instskip(NEXT) | instid1(VALU_DEP_1)
	v_sub_nc_u32_e32 v4, v4, v5
	v_mad_u64_u32 v[5:6], null, v4, s10, v[44:45]
	v_mad_u64_u32 v[6:7], null, v4, s11, v[56:57]
	v_mov_b32_e32 v4, v8
	s_delay_alu instid0(VALU_DEP_3) | instskip(NEXT) | instid1(VALU_DEP_3)
	v_mov_b32_e32 v44, v5
	v_mov_b32_e32 v56, v6
	s_cbranch_scc1 .LBB23_1163
.LBB23_1164:
	s_and_not1_b32 vcc_lo, exec_lo, s6
	s_cbranch_vccnz .LBB23_1167
; %bb.1165:
	s_clause 0x1
	s_load_b128 s[4:7], s[48:49], 0x4
	s_load_b64 s[2:3], s[48:49], 0xc4
	s_cmp_lt_u32 s35, 2
	s_waitcnt lgkmcnt(0)
	v_mul_hi_u32 v4, s5, v3
	s_delay_alu instid0(VALU_DEP_1) | instskip(NEXT) | instid1(VALU_DEP_1)
	v_add_nc_u32_e32 v4, v3, v4
	v_lshrrev_b32_e32 v4, s6, v4
	s_delay_alu instid0(VALU_DEP_1) | instskip(NEXT) | instid1(VALU_DEP_1)
	v_mul_lo_u32 v5, v4, s4
	v_sub_nc_u32_e32 v3, v3, v5
	s_delay_alu instid0(VALU_DEP_1)
	v_mul_lo_u32 v44, v3, s2
	v_mul_lo_u32 v56, v3, s3
	s_cbranch_scc1 .LBB23_1167
; %bb.1166:
	s_clause 0x1
	s_load_b128 s[4:7], s[48:49], 0x10
	s_load_b64 s[2:3], s[48:49], 0xcc
	s_waitcnt lgkmcnt(0)
	v_mul_hi_u32 v3, s5, v4
	s_delay_alu instid0(VALU_DEP_1) | instskip(NEXT) | instid1(VALU_DEP_1)
	v_add_nc_u32_e32 v3, v4, v3
	v_lshrrev_b32_e32 v3, s6, v3
	s_delay_alu instid0(VALU_DEP_1) | instskip(NEXT) | instid1(VALU_DEP_1)
	v_mul_lo_u32 v3, v3, s4
	v_sub_nc_u32_e32 v6, v4, v3
	s_delay_alu instid0(VALU_DEP_1) | instskip(SKIP_1) | instid1(VALU_DEP_2)
	v_mad_u64_u32 v[3:4], null, v6, s2, v[44:45]
	v_mad_u64_u32 v[4:5], null, v6, s3, v[56:57]
	v_mov_b32_e32 v44, v3
	s_delay_alu instid0(VALU_DEP_2)
	v_mov_b32_e32 v56, v4
.LBB23_1167:
	v_cmp_ne_u32_e32 vcc_lo, 1, v2
	v_add_nc_u32_e32 v3, 0x100, v46
	s_cbranch_vccnz .LBB23_1173
; %bb.1168:
	v_dual_mov_b32 v43, 0 :: v_dual_mov_b32 v58, 0
	s_cmp_lg_u32 s35, 0
	s_mov_b32 s6, 0
	s_cbranch_scc0 .LBB23_1177
; %bb.1169:
	s_min_u32 s7, s56, 15
	v_mov_b32_e32 v43, 0
	s_add_i32 s7, s7, 1
	s_cmp_eq_u32 s56, 2
	s_mov_b32 s8, 0
	s_cbranch_scc1 .LBB23_1174
; %bb.1170:
	v_dual_mov_b32 v58, 0 :: v_dual_mov_b32 v43, 0
	v_mov_b32_e32 v4, v3
	s_add_u32 s2, s48, 0xc4
	s_addc_u32 s3, s49, 0
	s_and_b32 s8, s7, 28
	s_mov_b32 s9, 0
	s_mov_b64 s[4:5], s[48:49]
.LBB23_1171:                            ; =>This Inner Loop Header: Depth=1
	s_clause 0x1
	s_load_b256 s[12:19], s[4:5], 0x4
	s_load_b128 s[28:31], s[4:5], 0x24
	s_load_b256 s[20:27], s[2:3], 0x0
	s_add_u32 s4, s4, 48
	s_addc_u32 s5, s5, 0
	s_add_i32 s9, s9, 4
	s_add_u32 s2, s2, 32
	s_addc_u32 s3, s3, 0
	s_cmp_lg_u32 s8, s9
	s_waitcnt lgkmcnt(0)
	v_mul_hi_u32 v5, s13, v4
	s_delay_alu instid0(VALU_DEP_1) | instskip(NEXT) | instid1(VALU_DEP_1)
	v_add_nc_u32_e32 v5, v4, v5
	v_lshrrev_b32_e32 v5, s14, v5
	s_delay_alu instid0(VALU_DEP_1) | instskip(SKIP_1) | instid1(VALU_DEP_2)
	v_mul_hi_u32 v6, s16, v5
	v_mul_lo_u32 v8, v5, s12
	v_add_nc_u32_e32 v6, v5, v6
	s_delay_alu instid0(VALU_DEP_2) | instskip(NEXT) | instid1(VALU_DEP_2)
	v_sub_nc_u32_e32 v4, v4, v8
	v_lshrrev_b32_e32 v6, s17, v6
	s_delay_alu instid0(VALU_DEP_2) | instskip(SKIP_1) | instid1(VALU_DEP_3)
	v_mul_lo_u32 v8, v4, s20
	v_mul_lo_u32 v10, v4, s21
	v_mul_hi_u32 v7, s19, v6
	s_delay_alu instid0(VALU_DEP_1) | instskip(NEXT) | instid1(VALU_DEP_1)
	v_add_nc_u32_e32 v7, v6, v7
	v_lshrrev_b32_e32 v7, s28, v7
	s_delay_alu instid0(VALU_DEP_1) | instskip(SKIP_1) | instid1(VALU_DEP_2)
	v_mul_hi_u32 v9, s30, v7
	v_mul_lo_u32 v11, v7, s18
	v_add_nc_u32_e32 v4, v7, v9
	v_mul_lo_u32 v9, v6, s15
	s_delay_alu instid0(VALU_DEP_3) | instskip(NEXT) | instid1(VALU_DEP_3)
	v_sub_nc_u32_e32 v6, v6, v11
	v_lshrrev_b32_e32 v4, s31, v4
	s_delay_alu instid0(VALU_DEP_2) | instskip(SKIP_2) | instid1(VALU_DEP_4)
	v_mul_lo_u32 v11, v6, s24
	v_mul_lo_u32 v6, v6, s25
	v_sub_nc_u32_e32 v5, v5, v9
	v_mul_lo_u32 v12, v4, s29
	s_delay_alu instid0(VALU_DEP_2) | instskip(SKIP_1) | instid1(VALU_DEP_3)
	v_mul_lo_u32 v9, v5, s22
	v_mul_lo_u32 v5, v5, s23
	v_sub_nc_u32_e32 v7, v7, v12
	s_delay_alu instid0(VALU_DEP_3) | instskip(NEXT) | instid1(VALU_DEP_2)
	v_add3_u32 v8, v8, v43, v9
	v_mul_lo_u32 v12, v7, s26
	v_mul_lo_u32 v7, v7, s27
	v_add3_u32 v5, v10, v58, v5
	s_delay_alu instid0(VALU_DEP_3) | instskip(NEXT) | instid1(VALU_DEP_2)
	v_add3_u32 v43, v11, v8, v12
	v_add3_u32 v58, v6, v5, v7
	s_cbranch_scc1 .LBB23_1171
; %bb.1172:
	s_and_b32 s7, s7, 3
	s_delay_alu instid0(SALU_CYCLE_1)
	s_cmp_eq_u32 s7, 0
	s_cbranch_scc0 .LBB23_1175
	s_branch .LBB23_1177
.LBB23_1173:
	s_mov_b32 s6, -1
                                        ; implicit-def: $vgpr43
                                        ; implicit-def: $vgpr58
	s_branch .LBB23_1177
.LBB23_1174:
	v_mov_b32_e32 v4, v3
	v_mov_b32_e32 v58, 0
	s_and_b32 s7, s7, 3
	s_delay_alu instid0(SALU_CYCLE_1)
	s_cmp_eq_u32 s7, 0
	s_cbranch_scc1 .LBB23_1177
.LBB23_1175:
	s_lshl_b32 s2, s8, 3
	s_mul_i32 s4, s8, 12
	s_add_u32 s2, s2, s48
	s_addc_u32 s3, 0, s49
	s_add_u32 s2, s2, 0xc4
	s_addc_u32 s3, s3, 0
	;; [unrolled: 2-line block ×3, first 2 shown]
	.p2align	6
.LBB23_1176:                            ; =>This Inner Loop Header: Depth=1
	s_clause 0x1
	s_load_b64 s[8:9], s[4:5], 0x4
	s_load_b32 s12, s[4:5], 0xc
	s_load_b64 s[10:11], s[2:3], 0x0
	s_add_u32 s4, s4, 12
	s_addc_u32 s5, s5, 0
	s_add_u32 s2, s2, 8
	s_addc_u32 s3, s3, 0
	s_add_i32 s7, s7, -1
	s_delay_alu instid0(SALU_CYCLE_1) | instskip(SKIP_2) | instid1(VALU_DEP_1)
	s_cmp_lg_u32 s7, 0
	s_waitcnt lgkmcnt(0)
	v_mul_hi_u32 v5, s9, v4
	v_add_nc_u32_e32 v5, v4, v5
	s_delay_alu instid0(VALU_DEP_1) | instskip(NEXT) | instid1(VALU_DEP_1)
	v_lshrrev_b32_e32 v8, s12, v5
	v_mul_lo_u32 v5, v8, s8
	s_delay_alu instid0(VALU_DEP_1) | instskip(NEXT) | instid1(VALU_DEP_1)
	v_sub_nc_u32_e32 v4, v4, v5
	v_mad_u64_u32 v[5:6], null, v4, s10, v[43:44]
	v_mad_u64_u32 v[6:7], null, v4, s11, v[58:59]
	s_delay_alu instid0(VALU_DEP_2) | instskip(NEXT) | instid1(VALU_DEP_2)
	v_dual_mov_b32 v4, v8 :: v_dual_mov_b32 v43, v5
	v_mov_b32_e32 v58, v6
	s_cbranch_scc1 .LBB23_1176
.LBB23_1177:
	s_and_not1_b32 vcc_lo, exec_lo, s6
	s_cbranch_vccnz .LBB23_1180
; %bb.1178:
	s_clause 0x1
	s_load_b128 s[4:7], s[48:49], 0x4
	s_load_b64 s[2:3], s[48:49], 0xc4
	s_cmp_lt_u32 s35, 2
	s_waitcnt lgkmcnt(0)
	v_mul_hi_u32 v4, s5, v3
	s_delay_alu instid0(VALU_DEP_1) | instskip(NEXT) | instid1(VALU_DEP_1)
	v_add_nc_u32_e32 v4, v3, v4
	v_lshrrev_b32_e32 v4, s6, v4
	s_delay_alu instid0(VALU_DEP_1) | instskip(NEXT) | instid1(VALU_DEP_1)
	v_mul_lo_u32 v5, v4, s4
	v_sub_nc_u32_e32 v3, v3, v5
	s_delay_alu instid0(VALU_DEP_1)
	v_mul_lo_u32 v43, v3, s2
	v_mul_lo_u32 v58, v3, s3
	s_cbranch_scc1 .LBB23_1180
; %bb.1179:
	s_clause 0x1
	s_load_b128 s[4:7], s[48:49], 0x10
	s_load_b64 s[2:3], s[48:49], 0xcc
	s_waitcnt lgkmcnt(0)
	v_mul_hi_u32 v3, s5, v4
	s_delay_alu instid0(VALU_DEP_1) | instskip(NEXT) | instid1(VALU_DEP_1)
	v_add_nc_u32_e32 v3, v4, v3
	v_lshrrev_b32_e32 v3, s6, v3
	s_delay_alu instid0(VALU_DEP_1) | instskip(NEXT) | instid1(VALU_DEP_1)
	v_mul_lo_u32 v3, v3, s4
	v_sub_nc_u32_e32 v6, v4, v3
	s_delay_alu instid0(VALU_DEP_1) | instskip(SKIP_1) | instid1(VALU_DEP_1)
	v_mad_u64_u32 v[3:4], null, v6, s2, v[43:44]
	v_mad_u64_u32 v[4:5], null, v6, s3, v[58:59]
	v_dual_mov_b32 v43, v3 :: v_dual_mov_b32 v58, v4
.LBB23_1180:
	v_cmp_ne_u32_e32 vcc_lo, 1, v2
	s_cbranch_vccnz .LBB23_1186
; %bb.1181:
	v_dual_mov_b32 v42, 0 :: v_dual_mov_b32 v57, 0
	s_cmp_lg_u32 s35, 0
	s_mov_b32 s6, 0
	s_cbranch_scc0 .LBB23_1190
; %bb.1182:
	s_min_u32 s7, s56, 15
	v_mov_b32_e32 v42, 0
	s_add_i32 s7, s7, 1
	s_cmp_eq_u32 s56, 2
	s_mov_b32 s8, 0
	s_cbranch_scc1 .LBB23_1187
; %bb.1183:
	v_dual_mov_b32 v57, 0 :: v_dual_mov_b32 v42, 0
	v_mov_b32_e32 v2, v1
	s_add_u32 s2, s48, 0xc4
	s_addc_u32 s3, s49, 0
	s_and_b32 s8, s7, 28
	s_mov_b32 s9, 0
	s_mov_b64 s[4:5], s[48:49]
.LBB23_1184:                            ; =>This Inner Loop Header: Depth=1
	s_clause 0x1
	s_load_b256 s[12:19], s[4:5], 0x4
	s_load_b128 s[28:31], s[4:5], 0x24
	s_load_b256 s[20:27], s[2:3], 0x0
	s_add_u32 s4, s4, 48
	s_addc_u32 s5, s5, 0
	s_add_i32 s9, s9, 4
	s_add_u32 s2, s2, 32
	s_addc_u32 s3, s3, 0
	s_cmp_lg_u32 s8, s9
	s_waitcnt lgkmcnt(0)
	v_mul_hi_u32 v3, s13, v2
	s_delay_alu instid0(VALU_DEP_1) | instskip(NEXT) | instid1(VALU_DEP_1)
	v_add_nc_u32_e32 v3, v2, v3
	v_lshrrev_b32_e32 v3, s14, v3
	s_delay_alu instid0(VALU_DEP_1) | instskip(SKIP_1) | instid1(VALU_DEP_2)
	v_mul_hi_u32 v4, s16, v3
	v_mul_lo_u32 v6, v3, s12
	v_add_nc_u32_e32 v4, v3, v4
	s_delay_alu instid0(VALU_DEP_2) | instskip(NEXT) | instid1(VALU_DEP_2)
	v_sub_nc_u32_e32 v2, v2, v6
	v_lshrrev_b32_e32 v4, s17, v4
	s_delay_alu instid0(VALU_DEP_2) | instskip(SKIP_1) | instid1(VALU_DEP_3)
	v_mul_lo_u32 v6, v2, s20
	v_mul_lo_u32 v8, v2, s21
	v_mul_hi_u32 v5, s19, v4
	s_delay_alu instid0(VALU_DEP_1) | instskip(NEXT) | instid1(VALU_DEP_1)
	v_add_nc_u32_e32 v5, v4, v5
	v_lshrrev_b32_e32 v5, s28, v5
	s_delay_alu instid0(VALU_DEP_1) | instskip(SKIP_1) | instid1(VALU_DEP_2)
	v_mul_hi_u32 v7, s30, v5
	v_mul_lo_u32 v9, v5, s18
	v_add_nc_u32_e32 v2, v5, v7
	v_mul_lo_u32 v7, v4, s15
	s_delay_alu instid0(VALU_DEP_3) | instskip(NEXT) | instid1(VALU_DEP_3)
	v_sub_nc_u32_e32 v4, v4, v9
	v_lshrrev_b32_e32 v2, s31, v2
	s_delay_alu instid0(VALU_DEP_2) | instskip(SKIP_2) | instid1(VALU_DEP_4)
	v_mul_lo_u32 v9, v4, s24
	v_mul_lo_u32 v4, v4, s25
	v_sub_nc_u32_e32 v3, v3, v7
	v_mul_lo_u32 v10, v2, s29
	s_delay_alu instid0(VALU_DEP_2) | instskip(SKIP_1) | instid1(VALU_DEP_3)
	v_mul_lo_u32 v7, v3, s22
	v_mul_lo_u32 v3, v3, s23
	v_sub_nc_u32_e32 v5, v5, v10
	s_delay_alu instid0(VALU_DEP_3) | instskip(NEXT) | instid1(VALU_DEP_2)
	v_add3_u32 v6, v6, v42, v7
	v_mul_lo_u32 v10, v5, s26
	v_mul_lo_u32 v5, v5, s27
	v_add3_u32 v3, v8, v57, v3
	s_delay_alu instid0(VALU_DEP_3) | instskip(NEXT) | instid1(VALU_DEP_2)
	v_add3_u32 v42, v9, v6, v10
	v_add3_u32 v57, v4, v3, v5
	s_cbranch_scc1 .LBB23_1184
; %bb.1185:
	s_and_b32 s7, s7, 3
	s_delay_alu instid0(SALU_CYCLE_1)
	s_cmp_eq_u32 s7, 0
	s_cbranch_scc0 .LBB23_1188
	s_branch .LBB23_1190
.LBB23_1186:
	s_mov_b32 s6, -1
                                        ; implicit-def: $vgpr42
                                        ; implicit-def: $vgpr57
	s_branch .LBB23_1190
.LBB23_1187:
	v_dual_mov_b32 v2, v1 :: v_dual_mov_b32 v57, 0
	s_and_b32 s7, s7, 3
	s_delay_alu instid0(SALU_CYCLE_1)
	s_cmp_eq_u32 s7, 0
	s_cbranch_scc1 .LBB23_1190
.LBB23_1188:
	s_lshl_b32 s2, s8, 3
	s_mul_i32 s4, s8, 12
	s_add_u32 s2, s2, s48
	s_addc_u32 s3, 0, s49
	s_add_u32 s2, s2, 0xc4
	s_addc_u32 s3, s3, 0
	;; [unrolled: 2-line block ×3, first 2 shown]
	.p2align	6
.LBB23_1189:                            ; =>This Inner Loop Header: Depth=1
	s_clause 0x1
	s_load_b64 s[8:9], s[4:5], 0x4
	s_load_b32 s12, s[4:5], 0xc
	s_load_b64 s[10:11], s[2:3], 0x0
	s_add_u32 s4, s4, 12
	s_addc_u32 s5, s5, 0
	s_add_u32 s2, s2, 8
	s_addc_u32 s3, s3, 0
	s_add_i32 s7, s7, -1
	s_delay_alu instid0(SALU_CYCLE_1) | instskip(SKIP_2) | instid1(VALU_DEP_1)
	s_cmp_lg_u32 s7, 0
	s_waitcnt lgkmcnt(0)
	v_mul_hi_u32 v3, s9, v2
	v_add_nc_u32_e32 v3, v2, v3
	s_delay_alu instid0(VALU_DEP_1) | instskip(NEXT) | instid1(VALU_DEP_1)
	v_lshrrev_b32_e32 v6, s12, v3
	v_mul_lo_u32 v3, v6, s8
	s_delay_alu instid0(VALU_DEP_1) | instskip(NEXT) | instid1(VALU_DEP_1)
	v_sub_nc_u32_e32 v2, v2, v3
	v_mad_u64_u32 v[3:4], null, v2, s10, v[42:43]
	v_mad_u64_u32 v[4:5], null, v2, s11, v[57:58]
	v_mov_b32_e32 v2, v6
	s_delay_alu instid0(VALU_DEP_2)
	v_dual_mov_b32 v42, v3 :: v_dual_mov_b32 v57, v4
	s_cbranch_scc1 .LBB23_1189
.LBB23_1190:
	s_and_not1_b32 vcc_lo, exec_lo, s6
	s_cbranch_vccnz .LBB23_1193
; %bb.1191:
	s_clause 0x1
	s_load_b128 s[4:7], s[48:49], 0x4
	s_load_b64 s[2:3], s[48:49], 0xc4
	s_cmp_lt_u32 s35, 2
	s_waitcnt lgkmcnt(0)
	v_mul_hi_u32 v2, s5, v1
	s_delay_alu instid0(VALU_DEP_1) | instskip(NEXT) | instid1(VALU_DEP_1)
	v_add_nc_u32_e32 v2, v1, v2
	v_lshrrev_b32_e32 v2, s6, v2
	s_delay_alu instid0(VALU_DEP_1) | instskip(NEXT) | instid1(VALU_DEP_1)
	v_mul_lo_u32 v3, v2, s4
	v_sub_nc_u32_e32 v1, v1, v3
	s_delay_alu instid0(VALU_DEP_1)
	v_mul_lo_u32 v42, v1, s2
	v_mul_lo_u32 v57, v1, s3
	s_cbranch_scc1 .LBB23_1193
; %bb.1192:
	s_clause 0x1
	s_load_b128 s[4:7], s[48:49], 0x10
	s_load_b64 s[2:3], s[48:49], 0xcc
	s_waitcnt lgkmcnt(0)
	v_mul_hi_u32 v1, s5, v2
	s_delay_alu instid0(VALU_DEP_1) | instskip(NEXT) | instid1(VALU_DEP_1)
	v_add_nc_u32_e32 v1, v2, v1
	v_lshrrev_b32_e32 v1, s6, v1
	s_delay_alu instid0(VALU_DEP_1) | instskip(NEXT) | instid1(VALU_DEP_1)
	v_mul_lo_u32 v1, v1, s4
	v_sub_nc_u32_e32 v4, v2, v1
	s_delay_alu instid0(VALU_DEP_1) | instskip(SKIP_1) | instid1(VALU_DEP_1)
	v_mad_u64_u32 v[1:2], null, v4, s2, v[42:43]
	v_mad_u64_u32 v[2:3], null, v4, s3, v[57:58]
	v_dual_mov_b32 v42, v1 :: v_dual_mov_b32 v57, v2
.LBB23_1193:
	s_clause 0x1
	s_load_b32 s42, s[0:1], 0x160
	s_load_b128 s[36:39], s[48:49], 0x148
	s_mov_b32 s2, 0
	s_waitcnt lgkmcnt(0)
	s_lshr_b32 s0, s42, 16
	s_delay_alu instid0(SALU_CYCLE_1) | instskip(SKIP_1) | instid1(VALU_DEP_1)
	v_and_b32_e64 v47, 0xff, s0
	v_add_co_u32 v0, s0, s38, v0
	v_add_co_ci_u32_e64 v1, null, s39, 0, s0
	s_delay_alu instid0(VALU_DEP_3)
	v_cmp_gt_i16_e32 vcc_lo, 11, v47
	s_cbranch_vccnz .LBB23_1200
; %bb.1194:
	v_cmp_lt_i16_e32 vcc_lo, 25, v47
	s_mov_b32 s1, 0
	s_cbranch_vccz .LBB23_1206
; %bb.1195:
	v_cmp_lt_i16_e32 vcc_lo, 28, v47
	s_cbranch_vccz .LBB23_1208
; %bb.1196:
	v_cmp_lt_i16_e32 vcc_lo, 43, v47
	;; [unrolled: 3-line block ×3, first 2 shown]
	s_cbranch_vccz .LBB23_1214
; %bb.1198:
	v_cmp_eq_u16_e32 vcc_lo, 46, v47
	s_mov_b32 s3, 0
	s_cbranch_vccz .LBB23_1256
; %bb.1199:
	global_load_b32 v2, v[0:1], off
	s_mov_b32 s0, 0
	s_mov_b32 s2, -1
	s_waitcnt vmcnt(0)
	v_lshlrev_b32_e32 v41, 16, v2
	s_branch .LBB23_1258
.LBB23_1200:
	s_mov_b32 s35, s40
                                        ; implicit-def: $vgpr41
	s_cbranch_execz .LBB23_1321
; %bb.1201:
	v_cmp_gt_i16_e32 vcc_lo, 5, v47
	s_cbranch_vccnz .LBB23_1207
; %bb.1202:
	v_cmp_gt_i16_e32 vcc_lo, 8, v47
	s_cbranch_vccnz .LBB23_1209
	;; [unrolled: 3-line block ×3, first 2 shown]
; %bb.1204:
	v_cmp_lt_i16_e32 vcc_lo, 9, v47
	s_cbranch_vccz .LBB23_1215
; %bb.1205:
	global_load_b64 v[2:3], v[0:1], off
	s_mov_b32 s0, 0
	s_waitcnt vmcnt(0)
	v_cvt_f32_f64_e32 v41, v[2:3]
	s_branch .LBB23_1216
.LBB23_1206:
	s_mov_b32 s0, 0
                                        ; implicit-def: $vgpr41
	s_cbranch_execnz .LBB23_1286
	s_branch .LBB23_1317
.LBB23_1207:
                                        ; implicit-def: $vgpr41
	s_branch .LBB23_1233
.LBB23_1208:
	s_mov_b32 s3, -1
	s_mov_b32 s0, 0
                                        ; implicit-def: $vgpr41
	s_branch .LBB23_1267
.LBB23_1209:
                                        ; implicit-def: $vgpr41
	s_branch .LBB23_1222
.LBB23_1210:
	s_mov_b32 s0, 0
                                        ; implicit-def: $vgpr41
	s_cbranch_execnz .LBB23_1263
	s_branch .LBB23_1266
.LBB23_1211:
	s_mov_b32 s0, -1
                                        ; implicit-def: $vgpr41
	s_branch .LBB23_1219
.LBB23_1212:
	s_cbranch_execnz .LBB23_1254
; %bb.1213:
	s_or_b32 s40, s40, exec_lo
	s_and_not1_b32 s4, s4, exec_lo
	s_or_b32 exec_lo, exec_lo, s2
	s_and_saveexec_b32 s2, s4
	s_delay_alu instid0(SALU_CYCLE_1)
	s_xor_b32 s2, exec_lo, s2
	s_cbranch_execnz .LBB23_1100
	s_branch .LBB23_1101
.LBB23_1214:
	s_mov_b32 s3, -1
	s_mov_b32 s0, 0
	s_branch .LBB23_1257
.LBB23_1215:
	s_mov_b32 s0, -1
                                        ; implicit-def: $vgpr41
.LBB23_1216:
	s_delay_alu instid0(SALU_CYCLE_1)
	s_and_not1_b32 vcc_lo, exec_lo, s0
	s_cbranch_vccnz .LBB23_1218
; %bb.1217:
	global_load_b32 v41, v[0:1], off
.LBB23_1218:
	s_mov_b32 s0, 0
.LBB23_1219:
	s_delay_alu instid0(SALU_CYCLE_1)
	s_and_not1_b32 vcc_lo, exec_lo, s0
	s_cbranch_vccnz .LBB23_1221
; %bb.1220:
	global_load_b32 v2, v[0:1], off
	s_waitcnt vmcnt(0)
	v_cvt_f32_f16_e32 v41, v2
.LBB23_1221:
	s_cbranch_execnz .LBB23_1232
.LBB23_1222:
	v_cmp_gt_i16_e32 vcc_lo, 6, v47
	s_cbranch_vccnz .LBB23_1225
; %bb.1223:
	v_cmp_lt_i16_e32 vcc_lo, 6, v47
	s_cbranch_vccz .LBB23_1226
; %bb.1224:
	global_load_b64 v[2:3], v[0:1], off
	s_mov_b32 s0, 0
	s_waitcnt vmcnt(0)
	v_cvt_f32_f64_e32 v41, v[2:3]
	s_branch .LBB23_1227
.LBB23_1225:
	s_mov_b32 s0, -1
                                        ; implicit-def: $vgpr41
	s_branch .LBB23_1230
.LBB23_1226:
	s_mov_b32 s0, -1
                                        ; implicit-def: $vgpr41
.LBB23_1227:
	s_delay_alu instid0(SALU_CYCLE_1)
	s_and_not1_b32 vcc_lo, exec_lo, s0
	s_cbranch_vccnz .LBB23_1229
; %bb.1228:
	global_load_b32 v41, v[0:1], off
.LBB23_1229:
	s_mov_b32 s0, 0
.LBB23_1230:
	s_delay_alu instid0(SALU_CYCLE_1)
	s_and_not1_b32 vcc_lo, exec_lo, s0
	s_cbranch_vccnz .LBB23_1232
; %bb.1231:
	global_load_u16 v2, v[0:1], off
	s_waitcnt vmcnt(0)
	v_cvt_f32_f16_e32 v41, v2
.LBB23_1232:
	s_cbranch_execnz .LBB23_1251
.LBB23_1233:
	v_cmp_gt_i16_e32 vcc_lo, 2, v47
	s_cbranch_vccnz .LBB23_1237
; %bb.1234:
	v_cmp_gt_i16_e32 vcc_lo, 3, v47
	s_cbranch_vccnz .LBB23_1238
; %bb.1235:
	v_cmp_lt_i16_e32 vcc_lo, 3, v47
	s_cbranch_vccz .LBB23_1239
; %bb.1236:
	global_load_b64 v[2:3], v[0:1], off
	s_mov_b32 s0, 0
	s_waitcnt vmcnt(0)
	v_xor_b32_e32 v4, v2, v3
	v_cls_i32_e32 v5, v3
	s_delay_alu instid0(VALU_DEP_2) | instskip(NEXT) | instid1(VALU_DEP_2)
	v_ashrrev_i32_e32 v4, 31, v4
	v_add_nc_u32_e32 v5, -1, v5
	s_delay_alu instid0(VALU_DEP_2) | instskip(NEXT) | instid1(VALU_DEP_1)
	v_add_nc_u32_e32 v4, 32, v4
	v_min_u32_e32 v4, v5, v4
	s_delay_alu instid0(VALU_DEP_1) | instskip(NEXT) | instid1(VALU_DEP_1)
	v_lshlrev_b64 v[2:3], v4, v[2:3]
	v_min_u32_e32 v2, 1, v2
	s_delay_alu instid0(VALU_DEP_1) | instskip(SKIP_1) | instid1(VALU_DEP_2)
	v_or_b32_e32 v2, v3, v2
	v_sub_nc_u32_e32 v3, 32, v4
	v_cvt_f32_i32_e32 v2, v2
	s_delay_alu instid0(VALU_DEP_1)
	v_ldexp_f32 v41, v2, v3
	s_branch .LBB23_1240
.LBB23_1237:
                                        ; implicit-def: $vgpr41
	s_branch .LBB23_1246
.LBB23_1238:
	s_mov_b32 s0, -1
                                        ; implicit-def: $vgpr41
	s_branch .LBB23_1243
.LBB23_1239:
	s_mov_b32 s0, -1
                                        ; implicit-def: $vgpr41
.LBB23_1240:
	s_delay_alu instid0(SALU_CYCLE_1)
	s_and_not1_b32 vcc_lo, exec_lo, s0
	s_cbranch_vccnz .LBB23_1242
; %bb.1241:
	global_load_b32 v2, v[0:1], off
	s_waitcnt vmcnt(0)
	v_cvt_f32_i32_e32 v41, v2
.LBB23_1242:
	s_mov_b32 s0, 0
.LBB23_1243:
	s_delay_alu instid0(SALU_CYCLE_1)
	s_and_not1_b32 vcc_lo, exec_lo, s0
	s_cbranch_vccnz .LBB23_1245
; %bb.1244:
	global_load_i16 v2, v[0:1], off
	s_waitcnt vmcnt(0)
	v_cvt_f32_i32_e32 v41, v2
.LBB23_1245:
	s_cbranch_execnz .LBB23_1251
.LBB23_1246:
	v_cmp_lt_i16_e32 vcc_lo, 0, v47
	s_mov_b32 s0, 0
	s_cbranch_vccz .LBB23_1248
; %bb.1247:
	global_load_i8 v2, v[0:1], off
	s_waitcnt vmcnt(0)
	v_cvt_f32_i32_e32 v41, v2
	s_branch .LBB23_1249
.LBB23_1248:
	s_mov_b32 s0, -1
                                        ; implicit-def: $vgpr41
.LBB23_1249:
	s_delay_alu instid0(SALU_CYCLE_1)
	s_and_not1_b32 vcc_lo, exec_lo, s0
	s_cbranch_vccnz .LBB23_1251
; %bb.1250:
	global_load_u8 v0, v[0:1], off
	s_waitcnt vmcnt(0)
	v_cvt_f32_ubyte0_e32 v41, v0
.LBB23_1251:
	s_branch .LBB23_1322
.LBB23_1252:
	s_trap 2
	s_sendmsg_rtn_b32 s0, sendmsg(MSG_RTN_GET_DOORBELL)
	s_mov_b32 ttmp2, m0
	s_waitcnt lgkmcnt(0)
	s_and_b32 s0, s0, 0x3ff
	s_delay_alu instid0(SALU_CYCLE_1) | instskip(NEXT) | instid1(SALU_CYCLE_1)
	s_bitset1_b32 s0, 10
	s_mov_b32 m0, s0
	s_sendmsg sendmsg(MSG_INTERRUPT)
	s_mov_b32 m0, ttmp2
.LBB23_1253:                            ; =>This Inner Loop Header: Depth=1
	s_sethalt 5
	s_branch .LBB23_1253
.LBB23_1254:
	s_trap 2
	s_sendmsg_rtn_b32 s0, sendmsg(MSG_RTN_GET_DOORBELL)
	s_mov_b32 ttmp2, m0
	s_waitcnt lgkmcnt(0)
	s_and_b32 s0, s0, 0x3ff
	s_delay_alu instid0(SALU_CYCLE_1) | instskip(NEXT) | instid1(SALU_CYCLE_1)
	s_bitset1_b32 s0, 10
	s_mov_b32 m0, s0
	s_sendmsg sendmsg(MSG_INTERRUPT)
	s_mov_b32 m0, ttmp2
.LBB23_1255:                            ; =>This Inner Loop Header: Depth=1
	s_sethalt 5
	s_branch .LBB23_1255
.LBB23_1256:
	s_mov_b32 s0, -1
.LBB23_1257:
                                        ; implicit-def: $vgpr41
.LBB23_1258:
	s_and_b32 vcc_lo, exec_lo, s3
	s_cbranch_vccz .LBB23_1261
; %bb.1259:
	v_cmp_eq_u16_e32 vcc_lo, 44, v47
	s_cbranch_vccz .LBB23_1262
; %bb.1260:
	global_load_u8 v2, v[0:1], off
	s_mov_b32 s0, 0
	s_mov_b32 s2, -1
	s_waitcnt vmcnt(0)
	v_lshlrev_b32_e32 v3, 23, v2
	v_cmp_ne_u32_e32 vcc_lo, 0xff, v2
	s_delay_alu instid0(VALU_DEP_2) | instskip(SKIP_1) | instid1(VALU_DEP_2)
	v_cndmask_b32_e32 v3, 0x7f800001, v3, vcc_lo
	v_cmp_ne_u32_e32 vcc_lo, 0, v2
	v_cndmask_b32_e32 v41, 0x400000, v3, vcc_lo
.LBB23_1261:
	s_branch .LBB23_1266
.LBB23_1262:
	s_mov_b32 s0, -1
                                        ; implicit-def: $vgpr41
	s_branch .LBB23_1266
.LBB23_1263:
	v_cmp_eq_u16_e32 vcc_lo, 29, v47
	s_cbranch_vccz .LBB23_1265
; %bb.1264:
	global_load_b64 v[2:3], v[0:1], off
	s_mov_b32 s0, 0
	s_mov_b32 s2, -1
	s_mov_b32 s3, 0
	s_waitcnt vmcnt(0)
	v_clz_i32_u32_e32 v4, v3
	s_delay_alu instid0(VALU_DEP_1) | instskip(NEXT) | instid1(VALU_DEP_1)
	v_min_u32_e32 v4, 32, v4
	v_lshlrev_b64 v[2:3], v4, v[2:3]
	s_delay_alu instid0(VALU_DEP_1) | instskip(NEXT) | instid1(VALU_DEP_1)
	v_min_u32_e32 v2, 1, v2
	v_or_b32_e32 v2, v3, v2
	v_sub_nc_u32_e32 v3, 32, v4
	s_delay_alu instid0(VALU_DEP_2) | instskip(NEXT) | instid1(VALU_DEP_1)
	v_cvt_f32_u32_e32 v2, v2
	v_ldexp_f32 v41, v2, v3
	s_branch .LBB23_1267
.LBB23_1265:
	s_mov_b32 s0, -1
                                        ; implicit-def: $vgpr41
.LBB23_1266:
	s_mov_b32 s3, 0
.LBB23_1267:
	s_delay_alu instid0(SALU_CYCLE_1)
	s_and_b32 vcc_lo, exec_lo, s3
	s_cbranch_vccz .LBB23_1285
; %bb.1268:
	v_cmp_gt_i16_e32 vcc_lo, 27, v47
	s_cbranch_vccnz .LBB23_1271
; %bb.1269:
	v_cmp_lt_i16_e32 vcc_lo, 27, v47
	s_cbranch_vccz .LBB23_1272
; %bb.1270:
	global_load_b32 v2, v[0:1], off
	s_mov_b32 s2, 0
	s_waitcnt vmcnt(0)
	v_cvt_f32_u32_e32 v41, v2
	s_branch .LBB23_1273
.LBB23_1271:
	s_mov_b32 s2, -1
                                        ; implicit-def: $vgpr41
	s_branch .LBB23_1276
.LBB23_1272:
	s_mov_b32 s2, -1
                                        ; implicit-def: $vgpr41
.LBB23_1273:
	s_delay_alu instid0(SALU_CYCLE_1)
	s_and_not1_b32 vcc_lo, exec_lo, s2
	s_cbranch_vccnz .LBB23_1275
; %bb.1274:
	global_load_u16 v2, v[0:1], off
	s_waitcnt vmcnt(0)
	v_cvt_f32_u32_e32 v41, v2
.LBB23_1275:
	s_mov_b32 s2, 0
.LBB23_1276:
	s_delay_alu instid0(SALU_CYCLE_1)
	s_and_not1_b32 vcc_lo, exec_lo, s2
	s_cbranch_vccnz .LBB23_1284
; %bb.1277:
	global_load_u8 v2, v[0:1], off
	s_mov_b32 s2, 0
	s_mov_b32 s4, exec_lo
                                        ; implicit-def: $sgpr3
	s_waitcnt vmcnt(0)
	v_cmpx_lt_i16_e32 0x7f, v2
	s_xor_b32 s4, exec_lo, s4
	s_cbranch_execz .LBB23_1297
; %bb.1278:
	s_mov_b32 s2, -1
	s_mov_b32 s5, exec_lo
                                        ; implicit-def: $sgpr3
	v_cmpx_eq_u16_e32 0x80, v2
; %bb.1279:
	s_mov_b32 s3, 0x7f800001
	s_xor_b32 s2, exec_lo, -1
; %bb.1280:
	s_or_b32 exec_lo, exec_lo, s5
	s_delay_alu instid0(SALU_CYCLE_1)
	s_and_b32 s2, s2, exec_lo
	s_or_saveexec_b32 s4, s4
	v_mov_b32_e32 v41, s3
	s_xor_b32 exec_lo, exec_lo, s4
	s_cbranch_execnz .LBB23_1298
.LBB23_1281:
	s_or_b32 exec_lo, exec_lo, s4
	s_and_saveexec_b32 s3, s2
	s_cbranch_execz .LBB23_1283
.LBB23_1282:
	v_and_b32_e32 v3, 0xffff, v2
	v_lshlrev_b32_e32 v2, 24, v2
	s_delay_alu instid0(VALU_DEP_2) | instskip(NEXT) | instid1(VALU_DEP_2)
	v_and_b32_e32 v4, 7, v3
	v_and_b32_e32 v2, 0x80000000, v2
	s_delay_alu instid0(VALU_DEP_2) | instskip(NEXT) | instid1(VALU_DEP_1)
	v_clz_i32_u32_e32 v5, v4
	v_min_u32_e32 v5, 32, v5
	s_delay_alu instid0(VALU_DEP_1) | instskip(SKIP_1) | instid1(VALU_DEP_2)
	v_subrev_nc_u32_e32 v6, 28, v5
	v_sub_nc_u32_e32 v5, 29, v5
	v_lshlrev_b32_e32 v6, v6, v3
	v_bfe_u32 v3, v3, 3, 4
	s_delay_alu instid0(VALU_DEP_2) | instskip(NEXT) | instid1(VALU_DEP_2)
	v_and_b32_e32 v6, 7, v6
	v_cmp_eq_u32_e32 vcc_lo, 0, v3
	s_delay_alu instid0(VALU_DEP_2) | instskip(NEXT) | instid1(VALU_DEP_1)
	v_dual_cndmask_b32 v3, v3, v5 :: v_dual_cndmask_b32 v4, v4, v6
	v_lshl_add_u32 v3, v3, 23, 0x3b800000
	s_delay_alu instid0(VALU_DEP_2) | instskip(NEXT) | instid1(VALU_DEP_1)
	v_lshlrev_b32_e32 v4, 20, v4
	v_or3_b32 v41, v2, v3, v4
.LBB23_1283:
	s_or_b32 exec_lo, exec_lo, s3
.LBB23_1284:
	s_mov_b32 s2, -1
.LBB23_1285:
	s_branch .LBB23_1317
.LBB23_1286:
	v_cmp_lt_i16_e32 vcc_lo, 22, v47
	s_cbranch_vccz .LBB23_1296
; %bb.1287:
	v_cmp_gt_i16_e32 vcc_lo, 24, v47
	s_cbranch_vccnz .LBB23_1299
; %bb.1288:
	v_cmp_lt_i16_e32 vcc_lo, 24, v47
	s_cbranch_vccz .LBB23_1300
; %bb.1289:
	global_load_u8 v2, v[0:1], off
	s_mov_b32 s3, exec_lo
                                        ; implicit-def: $sgpr2
	s_waitcnt vmcnt(0)
	v_cmpx_lt_i16_e32 0x7f, v2
	s_xor_b32 s3, exec_lo, s3
	s_cbranch_execz .LBB23_1311
; %bb.1290:
	s_mov_b32 s1, -1
	s_mov_b32 s4, exec_lo
                                        ; implicit-def: $sgpr2
	v_cmpx_eq_u16_e32 0x80, v2
; %bb.1291:
	s_mov_b32 s2, 0x7f800001
	s_xor_b32 s1, exec_lo, -1
; %bb.1292:
	s_or_b32 exec_lo, exec_lo, s4
	s_delay_alu instid0(SALU_CYCLE_1)
	s_and_b32 s1, s1, exec_lo
	s_or_saveexec_b32 s3, s3
	v_mov_b32_e32 v41, s2
	s_xor_b32 exec_lo, exec_lo, s3
	s_cbranch_execnz .LBB23_1312
.LBB23_1293:
	s_or_b32 exec_lo, exec_lo, s3
	s_and_saveexec_b32 s2, s1
	s_cbranch_execz .LBB23_1295
.LBB23_1294:
	v_and_b32_e32 v3, 0xffff, v2
	v_lshlrev_b32_e32 v2, 24, v2
	s_delay_alu instid0(VALU_DEP_2) | instskip(NEXT) | instid1(VALU_DEP_2)
	v_and_b32_e32 v4, 3, v3
	v_and_b32_e32 v2, 0x80000000, v2
	s_delay_alu instid0(VALU_DEP_2) | instskip(NEXT) | instid1(VALU_DEP_1)
	v_clz_i32_u32_e32 v5, v4
	v_min_u32_e32 v5, 32, v5
	s_delay_alu instid0(VALU_DEP_1) | instskip(SKIP_1) | instid1(VALU_DEP_2)
	v_subrev_nc_u32_e32 v6, 29, v5
	v_sub_nc_u32_e32 v5, 30, v5
	v_lshlrev_b32_e32 v6, v6, v3
	v_bfe_u32 v3, v3, 2, 5
	s_delay_alu instid0(VALU_DEP_2) | instskip(NEXT) | instid1(VALU_DEP_2)
	v_and_b32_e32 v6, 3, v6
	v_cmp_eq_u32_e32 vcc_lo, 0, v3
	s_delay_alu instid0(VALU_DEP_2) | instskip(NEXT) | instid1(VALU_DEP_1)
	v_dual_cndmask_b32 v3, v3, v5 :: v_dual_cndmask_b32 v4, v4, v6
	v_lshl_add_u32 v3, v3, 23, 0x37800000
	s_delay_alu instid0(VALU_DEP_2) | instskip(NEXT) | instid1(VALU_DEP_1)
	v_lshlrev_b32_e32 v4, 21, v4
	v_or3_b32 v41, v2, v3, v4
.LBB23_1295:
	s_or_b32 exec_lo, exec_lo, s2
	s_mov_b32 s1, 0
	s_branch .LBB23_1301
.LBB23_1296:
                                        ; implicit-def: $vgpr41
	s_mov_b32 s1, 0
	s_branch .LBB23_1307
.LBB23_1297:
	s_or_saveexec_b32 s4, s4
	v_mov_b32_e32 v41, s3
	s_xor_b32 exec_lo, exec_lo, s4
	s_cbranch_execz .LBB23_1281
.LBB23_1298:
	v_cmp_ne_u16_e32 vcc_lo, 0, v2
	v_mov_b32_e32 v41, 0
	s_and_not1_b32 s2, s2, exec_lo
	s_and_b32 s3, vcc_lo, exec_lo
	s_delay_alu instid0(SALU_CYCLE_1)
	s_or_b32 s2, s2, s3
	s_or_b32 exec_lo, exec_lo, s4
	s_and_saveexec_b32 s3, s2
	s_cbranch_execnz .LBB23_1282
	s_branch .LBB23_1283
.LBB23_1299:
	s_mov_b32 s1, -1
                                        ; implicit-def: $vgpr41
	s_branch .LBB23_1304
.LBB23_1300:
	s_mov_b32 s1, -1
                                        ; implicit-def: $vgpr41
.LBB23_1301:
	s_delay_alu instid0(SALU_CYCLE_1)
	s_and_b32 vcc_lo, exec_lo, s1
	s_cbranch_vccz .LBB23_1303
; %bb.1302:
	global_load_u8 v2, v[0:1], off
	s_waitcnt vmcnt(0)
	v_lshlrev_b32_e32 v2, 24, v2
	s_delay_alu instid0(VALU_DEP_1) | instskip(NEXT) | instid1(VALU_DEP_1)
	v_and_b32_e32 v3, 0x7f000000, v2
	v_clz_i32_u32_e32 v4, v3
	v_add_nc_u32_e32 v6, 0x1000000, v3
	v_cmp_ne_u32_e32 vcc_lo, 0, v3
	s_delay_alu instid0(VALU_DEP_3) | instskip(NEXT) | instid1(VALU_DEP_1)
	v_min_u32_e32 v4, 32, v4
	v_sub_nc_u32_e64 v4, v4, 4 clamp
	s_delay_alu instid0(VALU_DEP_1) | instskip(SKIP_1) | instid1(VALU_DEP_2)
	v_lshlrev_b32_e32 v5, v4, v3
	v_lshlrev_b32_e32 v4, 23, v4
	v_lshrrev_b32_e32 v5, 4, v5
	s_delay_alu instid0(VALU_DEP_1) | instskip(SKIP_1) | instid1(VALU_DEP_2)
	v_sub_nc_u32_e32 v4, v5, v4
	v_ashrrev_i32_e32 v5, 8, v6
	v_add_nc_u32_e32 v4, 0x3c000000, v4
	s_delay_alu instid0(VALU_DEP_1) | instskip(NEXT) | instid1(VALU_DEP_1)
	v_and_or_b32 v4, 0x7f800000, v5, v4
	v_cndmask_b32_e32 v3, 0, v4, vcc_lo
	s_delay_alu instid0(VALU_DEP_1)
	v_and_or_b32 v41, 0x80000000, v2, v3
.LBB23_1303:
	s_mov_b32 s1, 0
.LBB23_1304:
	s_delay_alu instid0(SALU_CYCLE_1)
	s_and_not1_b32 vcc_lo, exec_lo, s1
	s_cbranch_vccnz .LBB23_1306
; %bb.1305:
	global_load_u8 v2, v[0:1], off
	s_waitcnt vmcnt(0)
	v_lshlrev_b32_e32 v3, 25, v2
	v_lshlrev_b16 v2, 8, v2
	s_delay_alu instid0(VALU_DEP_2) | instskip(NEXT) | instid1(VALU_DEP_2)
	v_lshrrev_b32_e32 v4, 4, v3
	v_and_or_b32 v5, 0x7f00, v2, 0.5
	v_bfe_i32 v2, v2, 0, 16
	s_delay_alu instid0(VALU_DEP_3) | instskip(NEXT) | instid1(VALU_DEP_1)
	v_or_b32_e32 v4, 0x70000000, v4
	v_dual_add_f32 v5, -0.5, v5 :: v_dual_mul_f32 v4, 0x7800000, v4
	v_cmp_gt_u32_e32 vcc_lo, 0x8000000, v3
	s_delay_alu instid0(VALU_DEP_2) | instskip(NEXT) | instid1(VALU_DEP_1)
	v_cndmask_b32_e32 v3, v4, v5, vcc_lo
	v_and_or_b32 v41, 0x80000000, v2, v3
.LBB23_1306:
	s_mov_b32 s2, -1
	s_mov_b32 s1, 0
	s_cbranch_execnz .LBB23_1317
.LBB23_1307:
	v_cmp_lt_i16_e32 vcc_lo, 14, v47
	s_cbranch_vccz .LBB23_1310
; %bb.1308:
	v_cmp_eq_u16_e32 vcc_lo, 15, v47
	s_cbranch_vccz .LBB23_1313
; %bb.1309:
	global_load_u16 v2, v[0:1], off
	s_mov_b32 s0, 0
	s_mov_b32 s2, -1
	s_waitcnt vmcnt(0)
	v_lshlrev_b32_e32 v41, 16, v2
	s_branch .LBB23_1315
.LBB23_1310:
	s_mov_b32 s1, -1
	s_branch .LBB23_1314
.LBB23_1311:
	s_or_saveexec_b32 s3, s3
	v_mov_b32_e32 v41, s2
	s_xor_b32 exec_lo, exec_lo, s3
	s_cbranch_execz .LBB23_1293
.LBB23_1312:
	v_cmp_ne_u16_e32 vcc_lo, 0, v2
	v_mov_b32_e32 v41, 0
	s_and_not1_b32 s1, s1, exec_lo
	s_and_b32 s2, vcc_lo, exec_lo
	s_delay_alu instid0(SALU_CYCLE_1)
	s_or_b32 s1, s1, s2
	s_or_b32 exec_lo, exec_lo, s3
	s_and_saveexec_b32 s2, s1
	s_cbranch_execnz .LBB23_1294
	s_branch .LBB23_1295
.LBB23_1313:
	s_mov_b32 s0, -1
.LBB23_1314:
                                        ; implicit-def: $vgpr41
.LBB23_1315:
	s_and_b32 vcc_lo, exec_lo, s1
	s_mov_b32 s1, 0
	s_cbranch_vccz .LBB23_1317
; %bb.1316:
	v_cmp_ne_u16_e64 s0, 11, v47
	s_mov_b32 s1, -1
                                        ; implicit-def: $vgpr41
.LBB23_1317:
	s_delay_alu instid0(VALU_DEP_1)
	s_and_b32 vcc_lo, exec_lo, s0
	s_mov_b32 s35, s40
	s_cbranch_vccnz .LBB23_1357
; %bb.1318:
	s_and_not1_b32 vcc_lo, exec_lo, s1
	s_cbranch_vccnz .LBB23_1320
.LBB23_1319:
	global_load_u8 v2, v[0:1], off
	s_mov_b32 s2, -1
	s_waitcnt vmcnt(0)
	v_cmp_ne_u16_e32 vcc_lo, 0, v2
	v_cndmask_b32_e64 v41, 0, 1.0, vcc_lo
.LBB23_1320:
.LBB23_1321:
	s_and_not1_b32 vcc_lo, exec_lo, s2
	s_cbranch_vccnz .LBB23_1781
.LBB23_1322:
                                        ; implicit-def: $vgpr46
	s_mov_b32 s0, exec_lo
	s_waitcnt vmcnt(0)
	s_delay_alu instid0(VALU_DEP_1)
	v_cmpx_ge_f32_e32 0x40a00000, v41
	s_xor_b32 s43, exec_lo, s0
	s_cbranch_execz .LBB23_1328
; %bb.1323:
	v_mov_b32_e32 v46, 0xff800000
	s_mov_b32 s44, exec_lo
	v_cmpx_neq_f32_e32 0, v41
	s_cbranch_execz .LBB23_1327
; %bb.1324:
	v_mov_b32_e32 v46, 0x7fc00000
	s_mov_b32 s45, exec_lo
	v_cmpx_nge_f32_e32 0, v41
	s_cbranch_execz .LBB23_1326
; %bb.1325:
	v_mul_f32_e32 v0, v41, v41
	s_getpc_b64 s[0:1]
	s_add_u32 s0, s0, _Z17bessel_j1_forwardIfET_S0_@rel32@lo+4
	s_addc_u32 s1, s1, _Z17bessel_j1_forwardIfET_S0_@rel32@hi+12
	s_delay_alu instid0(VALU_DEP_1) | instskip(SKIP_1) | instid1(VALU_DEP_2)
	v_fmaak_f32 v1, 0, v0, 0x4414934d
	v_fmaak_f32 v2, 0, v0, 0x4e9695f3
	v_fmaak_f32 v1, v0, v1, 0x48660b06
	s_delay_alu instid0(VALU_DEP_2) | instskip(NEXT) | instid1(VALU_DEP_2)
	v_fmaak_f32 v2, v0, v2, 0xd316b96b
	v_fmaak_f32 v1, v0, v1, 0x4c8c277d
	s_delay_alu instid0(VALU_DEP_2) | instskip(NEXT) | instid1(VALU_DEP_2)
	v_fmaak_f32 v2, v0, v2, 0x56d04aa6
	v_fmaak_f32 v1, v0, v1, 0x508bc61d
	;; [unrolled: 3-line block ×5, first 2 shown]
	s_delay_alu instid0(VALU_DEP_1) | instskip(NEXT) | instid1(VALU_DEP_1)
	v_fmaak_f32 v0, v0, v1, 0x5e5c878d
	v_div_scale_f32 v1, null, v0, v0, v2
	v_div_scale_f32 v5, vcc_lo, v2, v0, v2
	s_delay_alu instid0(VALU_DEP_2) | instskip(SKIP_2) | instid1(VALU_DEP_1)
	v_rcp_f32_e32 v3, v1
	s_waitcnt_depctr 0xfff
	v_fma_f32 v4, -v1, v3, 1.0
	v_fmac_f32_e32 v3, v4, v3
	s_delay_alu instid0(VALU_DEP_1) | instskip(NEXT) | instid1(VALU_DEP_1)
	v_mul_f32_e32 v4, v5, v3
	v_fma_f32 v6, -v1, v4, v5
	s_delay_alu instid0(VALU_DEP_1) | instskip(NEXT) | instid1(VALU_DEP_1)
	v_fmac_f32_e32 v4, v6, v3
	v_fma_f32 v1, -v1, v4, v5
	s_delay_alu instid0(VALU_DEP_1) | instskip(NEXT) | instid1(VALU_DEP_1)
	v_div_fmas_f32 v1, v1, v3, v4
	v_div_fixup_f32 v59, v1, v0, v2
	v_mov_b32_e32 v0, v41
	s_swappc_b64 s[30:31], s[0:1]
	v_div_scale_f32 v1, null, v41, v41, -1.0
	v_cmp_gt_f32_e32 vcc_lo, 0x800000, v41
	v_div_scale_f32 v5, s0, -1.0, v41, -1.0
	s_delay_alu instid0(VALU_DEP_3) | instskip(SKIP_3) | instid1(VALU_DEP_1)
	v_rcp_f32_e32 v3, v1
	v_cndmask_b32_e64 v2, 1.0, 0x4f800000, vcc_lo
	s_waitcnt_depctr 0xfff
	v_fma_f32 v4, -v1, v3, 1.0
	v_dual_mul_f32 v2, v41, v2 :: v_dual_fmac_f32 v3, v4, v3
	s_delay_alu instid0(VALU_DEP_1) | instskip(SKIP_3) | instid1(VALU_DEP_2)
	v_log_f32_e32 v2, v2
	s_waitcnt_depctr 0xfff
	v_mul_f32_e32 v4, 0x3f317217, v2
	v_cmp_gt_f32_e64 s1, 0x7f800000, |v2|
	v_fma_f32 v7, 0x3f317217, v2, -v4
	s_delay_alu instid0(VALU_DEP_1) | instskip(NEXT) | instid1(VALU_DEP_1)
	v_dual_mul_f32 v6, v5, v3 :: v_dual_fmamk_f32 v7, v2, 0x3377d1cf, v7
	v_fma_f32 v8, -v1, v6, v5
	s_delay_alu instid0(VALU_DEP_2) | instskip(NEXT) | instid1(VALU_DEP_2)
	v_add_f32_e32 v4, v4, v7
	v_fmac_f32_e32 v6, v8, v3
	s_delay_alu instid0(VALU_DEP_2) | instskip(NEXT) | instid1(VALU_DEP_2)
	v_cndmask_b32_e64 v2, v2, v4, s1
	v_fma_f32 v1, -v1, v6, v5
	v_cndmask_b32_e64 v4, 0, 0x41b17218, vcc_lo
	s_mov_b32 vcc_lo, s0
	s_delay_alu instid0(VALU_DEP_2) | instskip(NEXT) | instid1(VALU_DEP_2)
	v_div_fmas_f32 v1, v1, v3, v6
	v_sub_f32_e32 v2, v2, v4
	s_delay_alu instid0(VALU_DEP_2) | instskip(NEXT) | instid1(VALU_DEP_1)
	v_div_fixup_f32 v1, v1, v41, -1.0
	v_fmac_f32_e32 v1, v2, v0
	s_delay_alu instid0(VALU_DEP_1) | instskip(NEXT) | instid1(VALU_DEP_1)
	v_mul_f32_e32 v46, 0x3f22f983, v1
	v_fmac_f32_e32 v46, v41, v59
.LBB23_1326:
	s_or_b32 exec_lo, exec_lo, s45
.LBB23_1327:
	s_delay_alu instid0(SALU_CYCLE_1)
	s_or_b32 exec_lo, exec_lo, s44
                                        ; implicit-def: $vgpr41
.LBB23_1328:
	s_and_not1_saveexec_b32 s3, s43
	s_cbranch_execz .LBB23_1338
; %bb.1329:
	v_add_f32_e32 v0, 0xc016cbe4, v41
                                        ; implicit-def: $vgpr3
                                        ; implicit-def: $vgpr2
	s_delay_alu instid0(VALU_DEP_1) | instskip(SKIP_1) | instid1(VALU_DEP_2)
	v_and_b32_e32 v1, 0x7fffffff, v0
	v_cmp_ngt_f32_e64 s4, 0x48000000, |v0|
	v_lshrrev_b32_e32 v5, 23, v1
	s_delay_alu instid0(VALU_DEP_2) | instskip(NEXT) | instid1(SALU_CYCLE_1)
	s_and_saveexec_b32 s0, s4
	s_xor_b32 s5, exec_lo, s0
	s_cbranch_execz .LBB23_1331
; %bb.1330:
	s_mov_b32 s0, 0x7fffff
	v_mov_b32_e32 v4, 0
	v_and_or_b32 v13, v1, s0, 0x800000
	v_add_nc_u32_e32 v11, 0xffffff88, v5
	s_delay_alu instid0(VALU_DEP_2) | instskip(NEXT) | instid1(VALU_DEP_2)
	v_mad_u64_u32 v[2:3], null, 0xfe5163ab, v13, 0
	v_cmp_lt_u32_e32 vcc_lo, 63, v11
	v_cndmask_b32_e64 v12, 0, 0xffffffc0, vcc_lo
	s_delay_alu instid0(VALU_DEP_3) | instskip(NEXT) | instid1(VALU_DEP_1)
	v_mad_u64_u32 v[6:7], null, 0x3c439041, v13, v[3:4]
	v_dual_mov_b32 v3, v7 :: v_dual_add_nc_u32 v12, v12, v11
	s_delay_alu instid0(VALU_DEP_1) | instskip(NEXT) | instid1(VALU_DEP_2)
	v_cmp_lt_u32_e64 s0, 31, v12
	v_mad_u64_u32 v[7:8], null, 0xdb629599, v13, v[3:4]
	s_delay_alu instid0(VALU_DEP_2) | instskip(NEXT) | instid1(VALU_DEP_1)
	v_cndmask_b32_e64 v14, 0, 0xffffffe0, s0
	v_dual_mov_b32 v3, v8 :: v_dual_add_nc_u32 v14, v14, v12
	s_delay_alu instid0(VALU_DEP_3) | instskip(NEXT) | instid1(VALU_DEP_2)
	v_cndmask_b32_e32 v2, v7, v2, vcc_lo
	v_cmp_lt_u32_e64 s1, 31, v14
	s_delay_alu instid0(VALU_DEP_3) | instskip(NEXT) | instid1(VALU_DEP_1)
	v_mad_u64_u32 v[8:9], null, 0xf534ddc0, v13, v[3:4]
	v_dual_mov_b32 v3, v9 :: v_dual_cndmask_b32 v6, v8, v6
	s_delay_alu instid0(VALU_DEP_1) | instskip(NEXT) | instid1(VALU_DEP_2)
	v_mad_u64_u32 v[9:10], null, 0xfc2757d1, v13, v[3:4]
	v_cndmask_b32_e64 v2, v6, v2, s0
	s_delay_alu instid0(VALU_DEP_2) | instskip(NEXT) | instid1(VALU_DEP_1)
	v_mov_b32_e32 v3, v10
	v_mad_u64_u32 v[10:11], null, 0x4e441529, v13, v[3:4]
	s_delay_alu instid0(VALU_DEP_1) | instskip(NEXT) | instid1(VALU_DEP_1)
	v_mov_b32_e32 v3, v11
	v_mad_u64_u32 v[11:12], null, 0xa2f9836e, v13, v[3:4]
	v_cndmask_b32_e64 v3, 0, 0xffffffe0, s1
	s_delay_alu instid0(VALU_DEP_1) | instskip(NEXT) | instid1(VALU_DEP_3)
	v_dual_cndmask_b32 v4, v10, v8 :: v_dual_add_nc_u32 v3, v3, v14
	v_dual_cndmask_b32 v11, v11, v9 :: v_dual_cndmask_b32 v10, v12, v10
	v_cndmask_b32_e32 v9, v9, v7, vcc_lo
	s_delay_alu instid0(VALU_DEP_3) | instskip(NEXT) | instid1(VALU_DEP_3)
	v_cmp_eq_u32_e64 s2, 0, v3
	v_cndmask_b32_e64 v8, v11, v4, s0
	s_delay_alu instid0(VALU_DEP_4) | instskip(NEXT) | instid1(VALU_DEP_4)
	v_cndmask_b32_e64 v10, v10, v11, s0
	v_cndmask_b32_e64 v4, v4, v9, s0
	v_sub_nc_u32_e32 v11, 32, v3
	v_cndmask_b32_e64 v9, v9, v6, s0
	s_delay_alu instid0(VALU_DEP_4) | instskip(NEXT) | instid1(VALU_DEP_4)
	v_cndmask_b32_e64 v10, v10, v8, s1
	v_cndmask_b32_e64 v8, v8, v4, s1
	s_delay_alu instid0(VALU_DEP_3) | instskip(SKIP_1) | instid1(VALU_DEP_3)
	v_cndmask_b32_e64 v4, v4, v9, s1
	v_cndmask_b32_e64 v2, v9, v2, s1
	v_alignbit_b32 v12, v10, v8, v11
	s_delay_alu instid0(VALU_DEP_3) | instskip(NEXT) | instid1(VALU_DEP_3)
	v_alignbit_b32 v13, v8, v4, v11
	v_alignbit_b32 v11, v4, v2, v11
	s_delay_alu instid0(VALU_DEP_3) | instskip(NEXT) | instid1(VALU_DEP_3)
	v_cndmask_b32_e64 v3, v12, v10, s2
	v_cndmask_b32_e64 v7, v13, v8, s2
	s_delay_alu instid0(VALU_DEP_3) | instskip(NEXT) | instid1(VALU_DEP_3)
	v_cndmask_b32_e64 v4, v11, v4, s2
	v_bfe_u32 v8, v3, 29, 1
	s_delay_alu instid0(VALU_DEP_3) | instskip(NEXT) | instid1(VALU_DEP_3)
	v_alignbit_b32 v6, v3, v7, 30
	v_alignbit_b32 v7, v7, v4, 30
	;; [unrolled: 1-line block ×3, first 2 shown]
	s_delay_alu instid0(VALU_DEP_4) | instskip(NEXT) | instid1(VALU_DEP_1)
	v_sub_nc_u32_e32 v10, 0, v8
	v_xor_b32_e32 v9, v6, v10
	v_cmp_ne_u32_e32 vcc_lo, v6, v10
	v_xor_b32_e32 v4, v7, v10
	v_xor_b32_e32 v2, v2, v10
	s_delay_alu instid0(VALU_DEP_4) | instskip(NEXT) | instid1(VALU_DEP_1)
	v_clz_i32_u32_e32 v12, v9
	v_add_nc_u32_e32 v11, 1, v12
	s_delay_alu instid0(VALU_DEP_1) | instskip(NEXT) | instid1(VALU_DEP_1)
	v_cndmask_b32_e32 v6, 33, v11, vcc_lo
	v_sub_nc_u32_e32 v7, 32, v6
	s_delay_alu instid0(VALU_DEP_1) | instskip(SKIP_3) | instid1(VALU_DEP_3)
	v_alignbit_b32 v9, v9, v4, v7
	v_alignbit_b32 v2, v4, v2, v7
	v_lshrrev_b32_e32 v4, 29, v3
	v_lshrrev_b32_e32 v3, 30, v3
	v_alignbit_b32 v7, v9, v2, 9
	s_delay_alu instid0(VALU_DEP_3) | instskip(SKIP_1) | instid1(VALU_DEP_4)
	v_lshlrev_b32_e32 v4, 31, v4
	v_alignbit_b32 v9, v6, v9, 9
	v_add_nc_u32_e32 v3, v8, v3
	s_delay_alu instid0(VALU_DEP_4) | instskip(NEXT) | instid1(VALU_DEP_3)
	v_clz_i32_u32_e32 v10, v7
	v_or_b32_e32 v9, v9, v4
	v_or_b32_e32 v4, 0x33800000, v4
	s_delay_alu instid0(VALU_DEP_3) | instskip(NEXT) | instid1(VALU_DEP_3)
	v_min_u32_e32 v10, 32, v10
	v_xor_b32_e32 v9, 1.0, v9
	s_delay_alu instid0(VALU_DEP_2) | instskip(SKIP_1) | instid1(VALU_DEP_3)
	v_sub_nc_u32_e32 v11, 31, v10
	v_add_lshl_u32 v6, v10, v6, 23
	v_mul_f32_e32 v10, 0x3fc90fda, v9
	s_delay_alu instid0(VALU_DEP_3) | instskip(NEXT) | instid1(VALU_DEP_3)
	v_alignbit_b32 v2, v7, v2, v11
	v_sub_nc_u32_e32 v4, v4, v6
	s_delay_alu instid0(VALU_DEP_3) | instskip(NEXT) | instid1(VALU_DEP_3)
	v_fma_f32 v6, 0x3fc90fda, v9, -v10
	v_lshrrev_b32_e32 v2, 9, v2
	s_delay_alu instid0(VALU_DEP_2) | instskip(NEXT) | instid1(VALU_DEP_2)
	v_fmamk_f32 v6, v9, 0x33a22168, v6
	v_or_b32_e32 v2, v4, v2
	s_delay_alu instid0(VALU_DEP_1) | instskip(NEXT) | instid1(VALU_DEP_1)
	v_fmac_f32_e32 v6, 0x3fc90fda, v2
	v_add_f32_e32 v2, v10, v6
	s_or_saveexec_b32 s0, s5
	v_mul_f32_e64 v7, 0x3f22f983, |v0|
	s_xor_b32 exec_lo, exec_lo, s0
	s_branch .LBB23_1332
.LBB23_1331:
	s_or_saveexec_b32 s0, s5
	v_mul_f32_e64 v7, 0x3f22f983, |v0|
	s_xor_b32 exec_lo, exec_lo, s0
.LBB23_1332:
	s_delay_alu instid0(VALU_DEP_1) | instskip(NEXT) | instid1(VALU_DEP_1)
	v_rndne_f32_e32 v3, v7
	v_fma_f32 v2, 0xbfc90fda, v3, |v0|
	s_delay_alu instid0(VALU_DEP_1) | instskip(NEXT) | instid1(VALU_DEP_1)
	v_fmamk_f32 v2, v3, 0xb3a22168, v2
	v_fmamk_f32 v2, v3, 0xa7c234c4, v2
	v_cvt_i32_f32_e32 v3, v3
; %bb.1333:
	s_or_b32 exec_lo, exec_lo, s0
                                        ; implicit-def: $vgpr6
                                        ; implicit-def: $vgpr4
	s_and_saveexec_b32 s0, s4
	s_delay_alu instid0(SALU_CYCLE_1)
	s_xor_b32 s4, exec_lo, s0
	s_cbranch_execz .LBB23_1335
; %bb.1334:
	s_mov_b32 s0, 0x7fffff
	v_mov_b32_e32 v8, 0
	v_and_or_b32 v15, v1, s0, 0x800000
	s_delay_alu instid0(VALU_DEP_1) | instskip(NEXT) | instid1(VALU_DEP_1)
	v_mad_u64_u32 v[6:7], null, 0xfe5163ab, v15, 0
	v_mad_u64_u32 v[9:10], null, 0x3c439041, v15, v[7:8]
	s_delay_alu instid0(VALU_DEP_1) | instskip(NEXT) | instid1(VALU_DEP_1)
	v_mov_b32_e32 v7, v10
	v_mad_u64_u32 v[10:11], null, 0xdb629599, v15, v[7:8]
	s_delay_alu instid0(VALU_DEP_1) | instskip(NEXT) | instid1(VALU_DEP_1)
	v_mov_b32_e32 v7, v11
	v_mad_u64_u32 v[11:12], null, 0xf534ddc0, v15, v[7:8]
	s_delay_alu instid0(VALU_DEP_1) | instskip(NEXT) | instid1(VALU_DEP_1)
	v_dual_mov_b32 v7, v12 :: v_dual_add_nc_u32 v12, 0xffffff88, v5
	v_mad_u64_u32 v[4:5], null, 0xfc2757d1, v15, v[7:8]
	s_delay_alu instid0(VALU_DEP_2) | instskip(SKIP_1) | instid1(VALU_DEP_3)
	v_cmp_lt_u32_e32 vcc_lo, 63, v12
	v_cndmask_b32_e64 v13, 0, 0xffffffc0, vcc_lo
	v_dual_mov_b32 v7, v5 :: v_dual_cndmask_b32 v6, v10, v6
	s_delay_alu instid0(VALU_DEP_2) | instskip(NEXT) | instid1(VALU_DEP_2)
	v_add_nc_u32_e32 v5, v13, v12
	v_mad_u64_u32 v[12:13], null, 0x4e441529, v15, v[7:8]
	s_delay_alu instid0(VALU_DEP_2) | instskip(NEXT) | instid1(VALU_DEP_2)
	v_cmp_lt_u32_e64 s0, 31, v5
	v_mov_b32_e32 v7, v13
	s_delay_alu instid0(VALU_DEP_2) | instskip(NEXT) | instid1(VALU_DEP_1)
	v_cndmask_b32_e64 v14, 0, 0xffffffe0, s0
	v_add_nc_u32_e32 v5, v14, v5
	s_delay_alu instid0(VALU_DEP_3) | instskip(SKIP_1) | instid1(VALU_DEP_3)
	v_mad_u64_u32 v[13:14], null, 0xa2f9836e, v15, v[7:8]
	v_cndmask_b32_e32 v8, v12, v11, vcc_lo
	v_cmp_lt_u32_e64 s1, 31, v5
	s_delay_alu instid0(VALU_DEP_3) | instskip(NEXT) | instid1(VALU_DEP_2)
	v_cndmask_b32_e32 v13, v13, v4, vcc_lo
	v_cndmask_b32_e64 v7, 0, 0xffffffe0, s1
	v_cndmask_b32_e32 v12, v14, v12, vcc_lo
	s_delay_alu instid0(VALU_DEP_2) | instskip(SKIP_2) | instid1(VALU_DEP_4)
	v_dual_cndmask_b32 v4, v4, v10 :: v_dual_add_nc_u32 v5, v7, v5
	v_cndmask_b32_e32 v7, v11, v9, vcc_lo
	v_cndmask_b32_e64 v9, v13, v8, s0
	v_cndmask_b32_e64 v11, v12, v13, s0
	s_delay_alu instid0(VALU_DEP_4)
	v_cndmask_b32_e64 v8, v8, v4, s0
	v_sub_nc_u32_e32 v12, 32, v5
	v_cndmask_b32_e64 v4, v4, v7, s0
	v_cmp_eq_u32_e64 s2, 0, v5
	v_cndmask_b32_e64 v11, v11, v9, s1
	v_cndmask_b32_e64 v9, v9, v8, s1
	;; [unrolled: 1-line block ×4, first 2 shown]
	s_delay_alu instid0(VALU_DEP_3) | instskip(NEXT) | instid1(VALU_DEP_3)
	v_alignbit_b32 v13, v11, v9, v12
	v_cndmask_b32_e64 v4, v4, v6, s1
	s_delay_alu instid0(VALU_DEP_3) | instskip(NEXT) | instid1(VALU_DEP_3)
	v_alignbit_b32 v14, v9, v8, v12
	v_cndmask_b32_e64 v5, v13, v11, s2
	;; [unrolled: 3-line block ×3, first 2 shown]
	s_delay_alu instid0(VALU_DEP_3) | instskip(NEXT) | instid1(VALU_DEP_3)
	v_bfe_u32 v10, v5, 29, 1
	v_cndmask_b32_e64 v8, v12, v8, s2
	s_delay_alu instid0(VALU_DEP_3) | instskip(NEXT) | instid1(VALU_DEP_3)
	v_alignbit_b32 v7, v5, v9, 30
	v_sub_nc_u32_e32 v11, 0, v10
	s_delay_alu instid0(VALU_DEP_3) | instskip(SKIP_1) | instid1(VALU_DEP_3)
	v_alignbit_b32 v9, v9, v8, 30
	v_alignbit_b32 v4, v8, v4, 30
	v_xor_b32_e32 v6, v7, v11
	v_cmp_ne_u32_e32 vcc_lo, v7, v11
	s_delay_alu instid0(VALU_DEP_4) | instskip(NEXT) | instid1(VALU_DEP_4)
	v_xor_b32_e32 v8, v9, v11
	v_xor_b32_e32 v4, v4, v11
	s_delay_alu instid0(VALU_DEP_4) | instskip(NEXT) | instid1(VALU_DEP_1)
	v_clz_i32_u32_e32 v13, v6
	v_add_nc_u32_e32 v12, 1, v13
	s_delay_alu instid0(VALU_DEP_1) | instskip(NEXT) | instid1(VALU_DEP_1)
	v_cndmask_b32_e32 v7, 33, v12, vcc_lo
	v_sub_nc_u32_e32 v9, 32, v7
	s_delay_alu instid0(VALU_DEP_1) | instskip(SKIP_3) | instid1(VALU_DEP_3)
	v_alignbit_b32 v6, v6, v8, v9
	v_alignbit_b32 v4, v8, v4, v9
	v_lshrrev_b32_e32 v8, 29, v5
	v_lshrrev_b32_e32 v5, 30, v5
	v_alignbit_b32 v9, v6, v4, 9
	s_delay_alu instid0(VALU_DEP_3) | instskip(SKIP_1) | instid1(VALU_DEP_3)
	v_lshlrev_b32_e32 v8, 31, v8
	v_alignbit_b32 v6, v7, v6, 9
	v_clz_i32_u32_e32 v11, v9
	s_delay_alu instid0(VALU_DEP_2) | instskip(SKIP_1) | instid1(VALU_DEP_3)
	v_or_b32_e32 v6, v6, v8
	v_or_b32_e32 v8, 0x33800000, v8
	v_min_u32_e32 v11, 32, v11
	s_delay_alu instid0(VALU_DEP_3) | instskip(NEXT) | instid1(VALU_DEP_2)
	v_xor_b32_e32 v6, 1.0, v6
	v_sub_nc_u32_e32 v12, 31, v11
	v_add_lshl_u32 v7, v11, v7, 23
	s_delay_alu instid0(VALU_DEP_3) | instskip(NEXT) | instid1(VALU_DEP_3)
	v_mul_f32_e32 v11, 0x3fc90fda, v6
	v_alignbit_b32 v4, v9, v4, v12
	s_delay_alu instid0(VALU_DEP_3) | instskip(NEXT) | instid1(VALU_DEP_3)
	v_sub_nc_u32_e32 v7, v8, v7
	v_fma_f32 v8, 0x3fc90fda, v6, -v11
	s_delay_alu instid0(VALU_DEP_3) | instskip(NEXT) | instid1(VALU_DEP_2)
	v_lshrrev_b32_e32 v4, 9, v4
	v_fmamk_f32 v6, v6, 0x33a22168, v8
	s_delay_alu instid0(VALU_DEP_2) | instskip(NEXT) | instid1(VALU_DEP_1)
	v_or_b32_e32 v4, v7, v4
                                        ; implicit-def: $vgpr7
	v_fmac_f32_e32 v6, 0x3fc90fda, v4
	s_delay_alu instid0(VALU_DEP_1)
	v_add_f32_e32 v4, v11, v6
	v_add_nc_u32_e32 v6, v10, v5
	s_and_not1_saveexec_b32 s0, s4
	s_cbranch_execnz .LBB23_1336
	s_branch .LBB23_1337
.LBB23_1335:
	s_and_not1_saveexec_b32 s0, s4
.LBB23_1336:
	v_rndne_f32_e32 v5, v7
	s_delay_alu instid0(VALU_DEP_1) | instskip(SKIP_1) | instid1(VALU_DEP_2)
	v_fma_f32 v4, 0xbfc90fda, v5, |v0|
	v_cvt_i32_f32_e32 v6, v5
	v_fmamk_f32 v4, v5, 0xb3a22168, v4
	s_delay_alu instid0(VALU_DEP_1)
	v_fmamk_f32 v4, v5, 0xa7c234c4, v4
.LBB23_1337:
	s_or_b32 exec_lo, exec_lo, s0
	v_div_scale_f32 v5, null, v41, v41, 0x40a00000
	v_div_scale_f32 v9, vcc_lo, 0x40a00000, v41, 0x40a00000
	s_mov_b32 s0, 0xb94c1982
	s_delay_alu instid0(VALU_DEP_2) | instskip(SKIP_4) | instid1(VALU_DEP_1)
	v_rcp_f32_e32 v7, v5
	s_mov_b32 s1, 0x37d75334
	v_xor_b32_e32 v1, v1, v0
	s_waitcnt_depctr 0xfff
	v_fma_f32 v8, -v5, v7, 1.0
	v_fmac_f32_e32 v7, v8, v7
	s_delay_alu instid0(VALU_DEP_1) | instskip(NEXT) | instid1(VALU_DEP_1)
	v_mul_f32_e32 v8, v9, v7
	v_fma_f32 v10, -v5, v8, v9
	s_delay_alu instid0(VALU_DEP_1) | instskip(SKIP_1) | instid1(VALU_DEP_2)
	v_fmac_f32_e32 v8, v10, v7
	v_mul_f32_e32 v10, v4, v4
	v_fma_f32 v5, -v5, v8, v9
	s_delay_alu instid0(VALU_DEP_2) | instskip(SKIP_1) | instid1(VALU_DEP_3)
	v_fmaak_f32 v19, s0, v10, 0x3c0881c4
	v_fmaak_f32 v20, s1, v10, 0xbab64f3b
	v_div_fmas_f32 v5, v5, v7, v8
	v_mul_f32_e32 v7, v2, v2
	s_delay_alu instid0(VALU_DEP_4)
	v_fmaak_f32 v19, v10, v19, 0xbe2aaa9d
	v_mul_f32_e32 v16, 0x4f800000, v41
	v_fmaak_f32 v20, v10, v20, 0x3d2aabf7
	v_div_fixup_f32 v5, v5, v41, 0x40a00000
	v_fmaak_f32 v17, s0, v7, 0x3c0881c4
	v_cmp_gt_f32_e64 s0, 0xf800000, v41
	v_fmaak_f32 v18, s1, v7, 0xbab64f3b
	v_mul_f32_e32 v19, v10, v19
	v_dual_mul_f32 v9, v5, v5 :: v_dual_and_b32 v8, 1, v3
	v_lshlrev_b32_e32 v3, 30, v3
	v_and_b32_e32 v11, 1, v6
	v_cndmask_b32_e64 v16, v41, v16, s0
	s_delay_alu instid0(VALU_DEP_4) | instskip(SKIP_3) | instid1(VALU_DEP_4)
	v_fmaak_f32 v14, 0, v9, 0x3a47c962
	v_fmaak_f32 v13, 0, v9, 0x3a15c4d9
	;; [unrolled: 1-line block ×3, first 2 shown]
	v_dual_fmaak_f32 v15, 0, v9, 0x42947983 :: v_dual_lshlrev_b32 v6, 30, v6
	v_fmaak_f32 v14, v9, v14, 0x3d95ca45
	s_delay_alu instid0(VALU_DEP_4) | instskip(SKIP_2) | instid1(VALU_DEP_3)
	v_dual_fmaak_f32 v13, v9, v13, 0x3d8cfeeb :: v_dual_fmac_f32 v4, v4, v19
	v_sqrt_f32_e32 v24, v16
	v_fmaak_f32 v17, v7, v17, 0xbe2aaa9d
	v_fmaak_f32 v14, v9, v14, 0x3f9047f6
	s_delay_alu instid0(VALU_DEP_3)
	v_fmaak_f32 v13, v9, v13, 0x3f8d754e
	v_fmaak_f32 v12, v9, v12, 0x409f6dae
	;; [unrolled: 1-line block ×3, first 2 shown]
	v_mul_f32_e32 v17, v7, v17
	v_fmaak_f32 v15, v9, v15, 0x44840e5d
	v_fmaak_f32 v20, v10, v20, 0xbf000004
	v_cmp_eq_u32_e64 s2, 0, v8
	v_fmaak_f32 v18, v7, v18, 0xbf000004
	v_fmac_f32_e32 v2, v2, v17
	v_fmaak_f32 v13, v9, v13, 0x40a25d18
	v_fmaak_f32 v15, v9, v15, 0x459bd349
	v_fma_f32 v10, v10, v20, 1.0
	v_fma_f32 v7, v7, v18, 1.0
	v_and_b32_e32 v3, 0x80000000, v3
	v_dual_fmaak_f32 v14, v9, v14, 0x40a39628 :: v_dual_add_nc_u32 v19, -1, v24
	v_fmaak_f32 v13, v9, v13, 0x410665cf
	v_fmaak_f32 v15, v9, v15, 0x46156947
	v_cndmask_b32_e64 v2, v7, v2, s2
	v_cmp_eq_u32_e64 s2, 0, v11
	v_fmaak_f32 v14, v9, v14, 0x4106c8e4
	v_fmaak_f32 v13, v9, v13, 0x40a6b6ea
	;; [unrolled: 1-line block ×3, first 2 shown]
	v_fma_f32 v7, -v19, v24, v16
	v_cndmask_b32_e64 v4, -v4, v10, s2
	v_fmaak_f32 v14, v9, v14, 0x40a6dd51
	v_fma_f32 v13, v9, v13, 1.0
	v_fmaak_f32 v15, v9, v15, 0x4530a316
	v_xor3_b32 v1, v1, v3, v2
	v_and_b32_e32 v6, 0x80000000, v6
	v_fma_f32 v14, v9, v14, 1.0
	s_delay_alu instid0(VALU_DEP_4) | instskip(NEXT) | instid1(VALU_DEP_3)
	v_fmaak_f32 v15, v9, v15, 0x43a80bfb
	v_xor_b32_e32 v4, v6, v4
	s_delay_alu instid0(VALU_DEP_3) | instskip(SKIP_1) | instid1(VALU_DEP_1)
	v_div_scale_f32 v27, vcc_lo, v14, v13, v14
	v_fmaak_f32 v12, v9, v12, 0x4297a5cd
	v_fmaak_f32 v12, v9, v12, 0x43b763ca
	s_delay_alu instid0(VALU_DEP_1) | instskip(NEXT) | instid1(VALU_DEP_1)
	v_fmaak_f32 v12, v9, v12, 0x4431b6ce
	v_fmaak_f32 v12, v9, v12, 0x44155f56
	s_delay_alu instid0(VALU_DEP_1) | instskip(NEXT) | instid1(VALU_DEP_1)
	v_fmaak_f32 v12, v9, v12, 0x4353b052
	v_fmaak_f32 v9, v9, v12, 0x41c9a7fa
	v_div_scale_f32 v12, null, v13, v13, v14
	s_delay_alu instid0(VALU_DEP_2) | instskip(NEXT) | instid1(VALU_DEP_2)
	v_div_scale_f32 v21, null, v15, v15, v9
	v_rcp_f32_e32 v22, v12
	s_delay_alu instid0(VALU_DEP_1) | instskip(SKIP_3) | instid1(VALU_DEP_2)
	v_rcp_f32_e32 v23, v21
	s_waitcnt_depctr 0xfff
	v_fma_f32 v25, -v12, v22, 1.0
	v_fma_f32 v26, -v21, v23, 1.0
	v_fmac_f32_e32 v22, v25, v22
	v_div_scale_f32 v25, s1, v9, v15, v9
	s_delay_alu instid0(VALU_DEP_3) | instskip(NEXT) | instid1(VALU_DEP_1)
	v_dual_fmac_f32 v23, v26, v23 :: v_dual_add_nc_u32 v26, 1, v24
	v_dual_mul_f32 v17, v27, v22 :: v_dual_mul_f32 v18, v25, v23
	s_delay_alu instid0(VALU_DEP_2) | instskip(NEXT) | instid1(VALU_DEP_2)
	v_fma_f32 v8, -v26, v24, v16
	v_fma_f32 v20, -v12, v17, v27
	s_delay_alu instid0(VALU_DEP_3) | instskip(NEXT) | instid1(VALU_DEP_2)
	v_fma_f32 v28, -v21, v18, v25
	v_fmac_f32_e32 v17, v20, v22
	s_delay_alu instid0(VALU_DEP_2) | instskip(NEXT) | instid1(VALU_DEP_2)
	v_fmac_f32_e32 v18, v28, v23
	v_fma_f32 v10, -v12, v17, v27
	s_delay_alu instid0(VALU_DEP_2) | instskip(NEXT) | instid1(VALU_DEP_2)
	v_fma_f32 v2, -v21, v18, v25
	v_div_fmas_f32 v3, v10, v22, v17
	s_mov_b32 vcc_lo, s1
	v_cmp_lt_f32_e64 s1, 0, v8
	s_delay_alu instid0(VALU_DEP_3)
	v_div_fmas_f32 v2, v2, v23, v18
	v_cmp_ge_f32_e32 vcc_lo, 0, v7
	v_div_fixup_f32 v3, v3, v13, v14
	v_cndmask_b32_e32 v6, v24, v19, vcc_lo
	v_cmp_class_f32_e64 vcc_lo, v0, 0x1f8
	v_div_fixup_f32 v0, v2, v15, v9
	s_delay_alu instid0(VALU_DEP_3) | instskip(SKIP_1) | instid1(VALU_DEP_3)
	v_cndmask_b32_e64 v2, v6, v26, s1
	v_cndmask_b32_e32 v4, 0x7fc00000, v4, vcc_lo
	v_dual_mul_f32 v0, v5, v0 :: v_dual_cndmask_b32 v1, 0x7fc00000, v1
	v_cmp_class_f32_e64 vcc_lo, v16, 0x260
	s_delay_alu instid0(VALU_DEP_2) | instskip(NEXT) | instid1(VALU_DEP_1)
	v_dual_mul_f32 v5, 0x37800000, v2 :: v_dual_mul_f32 v0, v0, v4
	v_cndmask_b32_e64 v2, v2, v5, s0
	s_delay_alu instid0(VALU_DEP_1) | instskip(NEXT) | instid1(VALU_DEP_1)
	v_dual_fmac_f32 v0, v3, v1 :: v_dual_cndmask_b32 v1, v2, v16
	v_mul_f32_e32 v0, 0x3f4c422a, v0
	s_delay_alu instid0(VALU_DEP_1) | instskip(NEXT) | instid1(VALU_DEP_1)
	v_div_scale_f32 v2, null, v1, v1, v0
	v_rcp_f32_e32 v3, v2
	s_waitcnt_depctr 0xfff
	v_fma_f32 v4, -v2, v3, 1.0
	s_delay_alu instid0(VALU_DEP_1) | instskip(SKIP_1) | instid1(VALU_DEP_1)
	v_fmac_f32_e32 v3, v4, v3
	v_div_scale_f32 v4, vcc_lo, v0, v1, v0
	v_mul_f32_e32 v5, v4, v3
	s_delay_alu instid0(VALU_DEP_1) | instskip(NEXT) | instid1(VALU_DEP_1)
	v_fma_f32 v6, -v2, v5, v4
	v_fmac_f32_e32 v5, v6, v3
	s_delay_alu instid0(VALU_DEP_1) | instskip(NEXT) | instid1(VALU_DEP_1)
	v_fma_f32 v2, -v2, v5, v4
	v_div_fmas_f32 v2, v2, v3, v5
	s_delay_alu instid0(VALU_DEP_1)
	v_div_fixup_f32 v46, v2, v1, v0
.LBB23_1338:
	s_or_b32 exec_lo, exec_lo, s3
	v_cmp_gt_i16_e32 vcc_lo, 11, v47
	v_add_co_u32 v0, s0, s38, v56
	s_delay_alu instid0(VALU_DEP_1)
	v_add_co_ci_u32_e64 v1, null, s39, 0, s0
	s_mov_b32 s2, 0
	s_cbranch_vccnz .LBB23_1345
; %bb.1339:
	v_cmp_lt_i16_e32 vcc_lo, 25, v47
	s_mov_b32 s1, 0
	s_cbranch_vccz .LBB23_1351
; %bb.1340:
	v_cmp_lt_i16_e32 vcc_lo, 28, v47
	s_cbranch_vccz .LBB23_1353
; %bb.1341:
	v_cmp_lt_i16_e32 vcc_lo, 43, v47
	;; [unrolled: 3-line block ×3, first 2 shown]
	s_cbranch_vccz .LBB23_1361
; %bb.1343:
	v_cmp_eq_u16_e32 vcc_lo, 46, v47
	s_mov_b32 s3, 0
	s_cbranch_vccz .LBB23_1405
; %bb.1344:
	global_load_b32 v2, v[0:1], off
	s_mov_b32 s0, 0
	s_mov_b32 s2, -1
	s_waitcnt vmcnt(0)
	v_lshlrev_b32_e32 v41, 16, v2
	s_branch .LBB23_1407
.LBB23_1345:
                                        ; implicit-def: $vgpr41
	s_cbranch_execz .LBB23_1472
; %bb.1346:
	v_cmp_gt_i16_e32 vcc_lo, 5, v47
	s_cbranch_vccnz .LBB23_1352
; %bb.1347:
	v_cmp_gt_i16_e32 vcc_lo, 8, v47
	s_cbranch_vccnz .LBB23_1354
	;; [unrolled: 3-line block ×3, first 2 shown]
; %bb.1349:
	v_cmp_lt_i16_e32 vcc_lo, 9, v47
	s_cbranch_vccz .LBB23_1362
; %bb.1350:
	global_load_b64 v[2:3], v[0:1], off
	s_mov_b32 s0, 0
	s_waitcnt vmcnt(0)
	v_cvt_f32_f64_e32 v41, v[2:3]
	s_branch .LBB23_1363
.LBB23_1351:
	s_mov_b32 s0, 0
                                        ; implicit-def: $vgpr41
	s_cbranch_execnz .LBB23_1436
	s_branch .LBB23_1468
.LBB23_1352:
                                        ; implicit-def: $vgpr41
	s_branch .LBB23_1381
.LBB23_1353:
	s_mov_b32 s3, -1
	s_mov_b32 s0, 0
                                        ; implicit-def: $vgpr41
	s_branch .LBB23_1417
.LBB23_1354:
	s_mov_b32 s0, -1
                                        ; implicit-def: $vgpr41
	s_branch .LBB23_1369
.LBB23_1355:
	s_mov_b32 s3, -1
	s_mov_b32 s0, 0
                                        ; implicit-def: $vgpr41
	s_branch .LBB23_1412
.LBB23_1356:
	s_mov_b32 s0, -1
                                        ; implicit-def: $vgpr41
	s_branch .LBB23_1366
.LBB23_1357:
	s_cbranch_execnz .LBB23_1401
; %bb.1358:
	s_or_b32 s35, s40, exec_lo
                                        ; implicit-def: $vgpr41
	s_cbranch_execz .LBB23_1319
	s_branch .LBB23_1320
.LBB23_1359:
	s_or_saveexec_b32 s5, s5
                                        ; implicit-def: $sgpr6
	s_delay_alu instid0(SALU_CYCLE_1)
	s_xor_b32 exec_lo, exec_lo, s5
	s_cbranch_execz .LBB23_1051
.LBB23_1360:
	v_add_f32_e64 v1, 0x46000000, |v0|
	s_and_not1_b32 s4, s4, exec_lo
	s_mov_b32 s6, 0
	s_delay_alu instid0(VALU_DEP_1) | instskip(NEXT) | instid1(VALU_DEP_1)
	v_and_b32_e32 v1, 0xff, v1
	v_cmp_ne_u32_e32 vcc_lo, 0, v1
	s_and_b32 s7, vcc_lo, exec_lo
	s_delay_alu instid0(SALU_CYCLE_1)
	s_or_b32 s4, s4, s7
	s_or_b32 exec_lo, exec_lo, s5
	v_mov_b32_e32 v5, s6
	s_and_saveexec_b32 s5, s4
	s_cbranch_execnz .LBB23_1052
	s_branch .LBB23_1053
.LBB23_1361:
	s_mov_b32 s3, -1
	s_mov_b32 s0, 0
	s_branch .LBB23_1406
.LBB23_1362:
	s_mov_b32 s0, -1
                                        ; implicit-def: $vgpr41
.LBB23_1363:
	s_delay_alu instid0(SALU_CYCLE_1)
	s_and_not1_b32 vcc_lo, exec_lo, s0
	s_cbranch_vccnz .LBB23_1365
; %bb.1364:
	global_load_b32 v41, v[0:1], off
.LBB23_1365:
	s_mov_b32 s0, 0
.LBB23_1366:
	s_delay_alu instid0(SALU_CYCLE_1)
	s_and_not1_b32 vcc_lo, exec_lo, s0
	s_cbranch_vccnz .LBB23_1368
; %bb.1367:
	global_load_b32 v2, v[0:1], off
	s_waitcnt vmcnt(0)
	v_cvt_f32_f16_e32 v41, v2
.LBB23_1368:
	s_mov_b32 s0, 0
.LBB23_1369:
	s_delay_alu instid0(SALU_CYCLE_1)
	s_and_not1_b32 vcc_lo, exec_lo, s0
	s_cbranch_vccnz .LBB23_1380
; %bb.1370:
	v_cmp_gt_i16_e32 vcc_lo, 6, v47
	s_cbranch_vccnz .LBB23_1373
; %bb.1371:
	v_cmp_lt_i16_e32 vcc_lo, 6, v47
	s_cbranch_vccz .LBB23_1374
; %bb.1372:
	global_load_b64 v[2:3], v[0:1], off
	s_mov_b32 s0, 0
	s_waitcnt vmcnt(0)
	v_cvt_f32_f64_e32 v41, v[2:3]
	s_branch .LBB23_1375
.LBB23_1373:
	s_mov_b32 s0, -1
                                        ; implicit-def: $vgpr41
	s_branch .LBB23_1378
.LBB23_1374:
	s_mov_b32 s0, -1
                                        ; implicit-def: $vgpr41
.LBB23_1375:
	s_delay_alu instid0(SALU_CYCLE_1)
	s_and_not1_b32 vcc_lo, exec_lo, s0
	s_cbranch_vccnz .LBB23_1377
; %bb.1376:
	global_load_b32 v41, v[0:1], off
.LBB23_1377:
	s_mov_b32 s0, 0
.LBB23_1378:
	s_delay_alu instid0(SALU_CYCLE_1)
	s_and_not1_b32 vcc_lo, exec_lo, s0
	s_cbranch_vccnz .LBB23_1380
; %bb.1379:
	global_load_u16 v2, v[0:1], off
	s_waitcnt vmcnt(0)
	v_cvt_f32_f16_e32 v41, v2
.LBB23_1380:
	s_cbranch_execnz .LBB23_1400
.LBB23_1381:
	v_cmp_gt_i16_e32 vcc_lo, 2, v47
	s_cbranch_vccnz .LBB23_1385
; %bb.1382:
	v_cmp_gt_i16_e32 vcc_lo, 3, v47
	s_cbranch_vccnz .LBB23_1386
; %bb.1383:
	v_cmp_lt_i16_e32 vcc_lo, 3, v47
	s_cbranch_vccz .LBB23_1387
; %bb.1384:
	global_load_b64 v[2:3], v[0:1], off
	s_mov_b32 s0, 0
	s_waitcnt vmcnt(0)
	v_xor_b32_e32 v4, v2, v3
	v_cls_i32_e32 v5, v3
	s_delay_alu instid0(VALU_DEP_2) | instskip(NEXT) | instid1(VALU_DEP_2)
	v_ashrrev_i32_e32 v4, 31, v4
	v_add_nc_u32_e32 v5, -1, v5
	s_delay_alu instid0(VALU_DEP_2) | instskip(NEXT) | instid1(VALU_DEP_1)
	v_add_nc_u32_e32 v4, 32, v4
	v_min_u32_e32 v4, v5, v4
	s_delay_alu instid0(VALU_DEP_1) | instskip(NEXT) | instid1(VALU_DEP_1)
	v_lshlrev_b64 v[2:3], v4, v[2:3]
	v_min_u32_e32 v2, 1, v2
	s_delay_alu instid0(VALU_DEP_1) | instskip(SKIP_1) | instid1(VALU_DEP_2)
	v_or_b32_e32 v2, v3, v2
	v_sub_nc_u32_e32 v3, 32, v4
	v_cvt_f32_i32_e32 v2, v2
	s_delay_alu instid0(VALU_DEP_1)
	v_ldexp_f32 v41, v2, v3
	s_branch .LBB23_1388
.LBB23_1385:
	s_mov_b32 s0, -1
                                        ; implicit-def: $vgpr41
	s_branch .LBB23_1394
.LBB23_1386:
	s_mov_b32 s0, -1
                                        ; implicit-def: $vgpr41
	s_branch .LBB23_1391
.LBB23_1387:
	s_mov_b32 s0, -1
                                        ; implicit-def: $vgpr41
.LBB23_1388:
	s_delay_alu instid0(SALU_CYCLE_1)
	s_and_not1_b32 vcc_lo, exec_lo, s0
	s_cbranch_vccnz .LBB23_1390
; %bb.1389:
	global_load_b32 v2, v[0:1], off
	s_waitcnt vmcnt(0)
	v_cvt_f32_i32_e32 v41, v2
.LBB23_1390:
	s_mov_b32 s0, 0
.LBB23_1391:
	s_delay_alu instid0(SALU_CYCLE_1)
	s_and_not1_b32 vcc_lo, exec_lo, s0
	s_cbranch_vccnz .LBB23_1393
; %bb.1392:
	global_load_i16 v2, v[0:1], off
	s_waitcnt vmcnt(0)
	v_cvt_f32_i32_e32 v41, v2
.LBB23_1393:
	s_mov_b32 s0, 0
.LBB23_1394:
	s_delay_alu instid0(SALU_CYCLE_1)
	s_and_not1_b32 vcc_lo, exec_lo, s0
	s_cbranch_vccnz .LBB23_1400
; %bb.1395:
	v_cmp_lt_i16_e32 vcc_lo, 0, v47
	s_mov_b32 s0, 0
	s_cbranch_vccz .LBB23_1397
; %bb.1396:
	global_load_i8 v2, v[0:1], off
	s_waitcnt vmcnt(0)
	v_cvt_f32_i32_e32 v41, v2
	s_branch .LBB23_1398
.LBB23_1397:
	s_mov_b32 s0, -1
                                        ; implicit-def: $vgpr41
.LBB23_1398:
	s_delay_alu instid0(SALU_CYCLE_1)
	s_and_not1_b32 vcc_lo, exec_lo, s0
	s_cbranch_vccnz .LBB23_1400
; %bb.1399:
	global_load_u8 v0, v[0:1], off
	s_waitcnt vmcnt(0)
	v_cvt_f32_ubyte0_e32 v41, v0
.LBB23_1400:
	s_branch .LBB23_1473
.LBB23_1401:
	s_trap 2
	s_sendmsg_rtn_b32 s0, sendmsg(MSG_RTN_GET_DOORBELL)
	s_mov_b32 ttmp2, m0
	s_waitcnt lgkmcnt(0)
	s_and_b32 s0, s0, 0x3ff
	s_delay_alu instid0(SALU_CYCLE_1) | instskip(NEXT) | instid1(SALU_CYCLE_1)
	s_bitset1_b32 s0, 10
	s_mov_b32 m0, s0
	s_sendmsg sendmsg(MSG_INTERRUPT)
	s_mov_b32 m0, ttmp2
.LBB23_1402:                            ; =>This Inner Loop Header: Depth=1
	s_sethalt 5
	s_branch .LBB23_1402
.LBB23_1403:
	s_or_saveexec_b32 s6, s6
                                        ; implicit-def: $sgpr7
	s_delay_alu instid0(SALU_CYCLE_1)
	s_xor_b32 exec_lo, exec_lo, s6
	s_cbranch_execz .LBB23_1063
.LBB23_1404:
	v_add_f32_e64 v1, 0x42800000, |v0|
	s_and_not1_b32 s5, s5, exec_lo
	s_mov_b32 s7, 0
	s_delay_alu instid0(VALU_DEP_1) | instskip(NEXT) | instid1(VALU_DEP_1)
	v_and_b32_e32 v1, 0xff, v1
	v_cmp_ne_u32_e32 vcc_lo, 0, v1
	s_and_b32 s8, vcc_lo, exec_lo
	s_delay_alu instid0(SALU_CYCLE_1)
	s_or_b32 s5, s5, s8
	s_or_b32 exec_lo, exec_lo, s6
	v_mov_b32_e32 v5, s7
	s_and_saveexec_b32 s6, s5
	s_cbranch_execnz .LBB23_1064
	s_branch .LBB23_1065
.LBB23_1405:
	s_mov_b32 s0, -1
.LBB23_1406:
                                        ; implicit-def: $vgpr41
.LBB23_1407:
	s_and_b32 vcc_lo, exec_lo, s3
	s_cbranch_vccz .LBB23_1411
; %bb.1408:
	v_cmp_eq_u16_e32 vcc_lo, 44, v47
	s_cbranch_vccz .LBB23_1410
; %bb.1409:
	global_load_u8 v2, v[0:1], off
	s_mov_b32 s0, 0
	s_mov_b32 s2, -1
	s_waitcnt vmcnt(0)
	v_lshlrev_b32_e32 v3, 23, v2
	v_cmp_ne_u32_e32 vcc_lo, 0xff, v2
	s_delay_alu instid0(VALU_DEP_2) | instskip(SKIP_1) | instid1(VALU_DEP_2)
	v_cndmask_b32_e32 v3, 0x7f800001, v3, vcc_lo
	v_cmp_ne_u32_e32 vcc_lo, 0, v2
	v_cndmask_b32_e32 v41, 0x400000, v3, vcc_lo
	s_branch .LBB23_1411
.LBB23_1410:
	s_mov_b32 s0, -1
                                        ; implicit-def: $vgpr41
.LBB23_1411:
	s_mov_b32 s3, 0
.LBB23_1412:
	s_delay_alu instid0(SALU_CYCLE_1)
	s_and_b32 vcc_lo, exec_lo, s3
	s_cbranch_vccz .LBB23_1416
; %bb.1413:
	v_cmp_eq_u16_e32 vcc_lo, 29, v47
	s_cbranch_vccz .LBB23_1415
; %bb.1414:
	global_load_b64 v[2:3], v[0:1], off
	s_mov_b32 s0, 0
	s_mov_b32 s2, -1
	s_mov_b32 s3, 0
	s_waitcnt vmcnt(0)
	v_clz_i32_u32_e32 v4, v3
	s_delay_alu instid0(VALU_DEP_1) | instskip(NEXT) | instid1(VALU_DEP_1)
	v_min_u32_e32 v4, 32, v4
	v_lshlrev_b64 v[2:3], v4, v[2:3]
	s_delay_alu instid0(VALU_DEP_1) | instskip(NEXT) | instid1(VALU_DEP_1)
	v_min_u32_e32 v2, 1, v2
	v_or_b32_e32 v2, v3, v2
	v_sub_nc_u32_e32 v3, 32, v4
	s_delay_alu instid0(VALU_DEP_2) | instskip(NEXT) | instid1(VALU_DEP_1)
	v_cvt_f32_u32_e32 v2, v2
	v_ldexp_f32 v41, v2, v3
	s_branch .LBB23_1417
.LBB23_1415:
	s_mov_b32 s0, -1
                                        ; implicit-def: $vgpr41
.LBB23_1416:
	s_mov_b32 s3, 0
.LBB23_1417:
	s_delay_alu instid0(SALU_CYCLE_1)
	s_and_b32 vcc_lo, exec_lo, s3
	s_cbranch_vccz .LBB23_1435
; %bb.1418:
	v_cmp_gt_i16_e32 vcc_lo, 27, v47
	s_cbranch_vccnz .LBB23_1421
; %bb.1419:
	v_cmp_lt_i16_e32 vcc_lo, 27, v47
	s_cbranch_vccz .LBB23_1422
; %bb.1420:
	global_load_b32 v2, v[0:1], off
	s_mov_b32 s2, 0
	s_waitcnt vmcnt(0)
	v_cvt_f32_u32_e32 v41, v2
	s_branch .LBB23_1423
.LBB23_1421:
	s_mov_b32 s2, -1
                                        ; implicit-def: $vgpr41
	s_branch .LBB23_1426
.LBB23_1422:
	s_mov_b32 s2, -1
                                        ; implicit-def: $vgpr41
.LBB23_1423:
	s_delay_alu instid0(SALU_CYCLE_1)
	s_and_not1_b32 vcc_lo, exec_lo, s2
	s_cbranch_vccnz .LBB23_1425
; %bb.1424:
	global_load_u16 v2, v[0:1], off
	s_waitcnt vmcnt(0)
	v_cvt_f32_u32_e32 v41, v2
.LBB23_1425:
	s_mov_b32 s2, 0
.LBB23_1426:
	s_delay_alu instid0(SALU_CYCLE_1)
	s_and_not1_b32 vcc_lo, exec_lo, s2
	s_cbranch_vccnz .LBB23_1434
; %bb.1427:
	global_load_u8 v2, v[0:1], off
	s_mov_b32 s2, 0
	s_mov_b32 s4, exec_lo
                                        ; implicit-def: $sgpr3
	s_waitcnt vmcnt(0)
	v_cmpx_lt_i16_e32 0x7f, v2
	s_xor_b32 s4, exec_lo, s4
	s_cbranch_execz .LBB23_1447
; %bb.1428:
	s_mov_b32 s2, -1
	s_mov_b32 s5, exec_lo
                                        ; implicit-def: $sgpr3
	v_cmpx_eq_u16_e32 0x80, v2
; %bb.1429:
	s_mov_b32 s3, 0x7f800001
	s_xor_b32 s2, exec_lo, -1
; %bb.1430:
	s_or_b32 exec_lo, exec_lo, s5
	s_delay_alu instid0(SALU_CYCLE_1)
	s_and_b32 s2, s2, exec_lo
	s_or_saveexec_b32 s4, s4
	v_mov_b32_e32 v41, s3
	s_xor_b32 exec_lo, exec_lo, s4
	s_cbranch_execnz .LBB23_1448
.LBB23_1431:
	s_or_b32 exec_lo, exec_lo, s4
	s_and_saveexec_b32 s3, s2
	s_cbranch_execz .LBB23_1433
.LBB23_1432:
	v_and_b32_e32 v3, 0xffff, v2
	v_lshlrev_b32_e32 v2, 24, v2
	s_delay_alu instid0(VALU_DEP_2) | instskip(NEXT) | instid1(VALU_DEP_2)
	v_and_b32_e32 v4, 7, v3
	v_and_b32_e32 v2, 0x80000000, v2
	s_delay_alu instid0(VALU_DEP_2) | instskip(NEXT) | instid1(VALU_DEP_1)
	v_clz_i32_u32_e32 v5, v4
	v_min_u32_e32 v5, 32, v5
	s_delay_alu instid0(VALU_DEP_1) | instskip(SKIP_1) | instid1(VALU_DEP_2)
	v_subrev_nc_u32_e32 v6, 28, v5
	v_sub_nc_u32_e32 v5, 29, v5
	v_lshlrev_b32_e32 v6, v6, v3
	v_bfe_u32 v3, v3, 3, 4
	s_delay_alu instid0(VALU_DEP_2) | instskip(NEXT) | instid1(VALU_DEP_2)
	v_and_b32_e32 v6, 7, v6
	v_cmp_eq_u32_e32 vcc_lo, 0, v3
	s_delay_alu instid0(VALU_DEP_2) | instskip(NEXT) | instid1(VALU_DEP_1)
	v_dual_cndmask_b32 v3, v3, v5 :: v_dual_cndmask_b32 v4, v4, v6
	v_lshl_add_u32 v3, v3, 23, 0x3b800000
	s_delay_alu instid0(VALU_DEP_2) | instskip(NEXT) | instid1(VALU_DEP_1)
	v_lshlrev_b32_e32 v4, 20, v4
	v_or3_b32 v41, v2, v3, v4
.LBB23_1433:
	s_or_b32 exec_lo, exec_lo, s3
.LBB23_1434:
	s_mov_b32 s2, -1
.LBB23_1435:
	s_branch .LBB23_1468
.LBB23_1436:
	v_cmp_lt_i16_e32 vcc_lo, 22, v47
	s_cbranch_vccz .LBB23_1446
; %bb.1437:
	v_cmp_gt_i16_e32 vcc_lo, 24, v47
	s_cbranch_vccnz .LBB23_1449
; %bb.1438:
	v_cmp_lt_i16_e32 vcc_lo, 24, v47
	s_cbranch_vccz .LBB23_1450
; %bb.1439:
	global_load_u8 v2, v[0:1], off
	s_mov_b32 s3, exec_lo
                                        ; implicit-def: $sgpr2
	s_waitcnt vmcnt(0)
	v_cmpx_lt_i16_e32 0x7f, v2
	s_xor_b32 s3, exec_lo, s3
	s_cbranch_execz .LBB23_1462
; %bb.1440:
	s_mov_b32 s1, -1
	s_mov_b32 s4, exec_lo
                                        ; implicit-def: $sgpr2
	v_cmpx_eq_u16_e32 0x80, v2
; %bb.1441:
	s_mov_b32 s2, 0x7f800001
	s_xor_b32 s1, exec_lo, -1
; %bb.1442:
	s_or_b32 exec_lo, exec_lo, s4
	s_delay_alu instid0(SALU_CYCLE_1)
	s_and_b32 s1, s1, exec_lo
	s_or_saveexec_b32 s3, s3
	v_mov_b32_e32 v41, s2
	s_xor_b32 exec_lo, exec_lo, s3
	s_cbranch_execnz .LBB23_1463
.LBB23_1443:
	s_or_b32 exec_lo, exec_lo, s3
	s_and_saveexec_b32 s2, s1
	s_cbranch_execz .LBB23_1445
.LBB23_1444:
	v_and_b32_e32 v3, 0xffff, v2
	v_lshlrev_b32_e32 v2, 24, v2
	s_delay_alu instid0(VALU_DEP_2) | instskip(NEXT) | instid1(VALU_DEP_2)
	v_and_b32_e32 v4, 3, v3
	v_and_b32_e32 v2, 0x80000000, v2
	s_delay_alu instid0(VALU_DEP_2) | instskip(NEXT) | instid1(VALU_DEP_1)
	v_clz_i32_u32_e32 v5, v4
	v_min_u32_e32 v5, 32, v5
	s_delay_alu instid0(VALU_DEP_1) | instskip(SKIP_1) | instid1(VALU_DEP_2)
	v_subrev_nc_u32_e32 v6, 29, v5
	v_sub_nc_u32_e32 v5, 30, v5
	v_lshlrev_b32_e32 v6, v6, v3
	v_bfe_u32 v3, v3, 2, 5
	s_delay_alu instid0(VALU_DEP_2) | instskip(NEXT) | instid1(VALU_DEP_2)
	v_and_b32_e32 v6, 3, v6
	v_cmp_eq_u32_e32 vcc_lo, 0, v3
	s_delay_alu instid0(VALU_DEP_2) | instskip(NEXT) | instid1(VALU_DEP_1)
	v_dual_cndmask_b32 v3, v3, v5 :: v_dual_cndmask_b32 v4, v4, v6
	v_lshl_add_u32 v3, v3, 23, 0x37800000
	s_delay_alu instid0(VALU_DEP_2) | instskip(NEXT) | instid1(VALU_DEP_1)
	v_lshlrev_b32_e32 v4, 21, v4
	v_or3_b32 v41, v2, v3, v4
.LBB23_1445:
	s_or_b32 exec_lo, exec_lo, s2
	s_mov_b32 s1, 0
	s_branch .LBB23_1451
.LBB23_1446:
	s_mov_b32 s1, -1
                                        ; implicit-def: $vgpr41
	s_branch .LBB23_1457
.LBB23_1447:
	s_or_saveexec_b32 s4, s4
	v_mov_b32_e32 v41, s3
	s_xor_b32 exec_lo, exec_lo, s4
	s_cbranch_execz .LBB23_1431
.LBB23_1448:
	v_cmp_ne_u16_e32 vcc_lo, 0, v2
	v_mov_b32_e32 v41, 0
	s_and_not1_b32 s2, s2, exec_lo
	s_and_b32 s3, vcc_lo, exec_lo
	s_delay_alu instid0(SALU_CYCLE_1)
	s_or_b32 s2, s2, s3
	s_or_b32 exec_lo, exec_lo, s4
	s_and_saveexec_b32 s3, s2
	s_cbranch_execnz .LBB23_1432
	s_branch .LBB23_1433
.LBB23_1449:
	s_mov_b32 s1, -1
                                        ; implicit-def: $vgpr41
	s_branch .LBB23_1454
.LBB23_1450:
	s_mov_b32 s1, -1
                                        ; implicit-def: $vgpr41
.LBB23_1451:
	s_delay_alu instid0(SALU_CYCLE_1)
	s_and_b32 vcc_lo, exec_lo, s1
	s_cbranch_vccz .LBB23_1453
; %bb.1452:
	global_load_u8 v2, v[0:1], off
	s_waitcnt vmcnt(0)
	v_lshlrev_b32_e32 v2, 24, v2
	s_delay_alu instid0(VALU_DEP_1) | instskip(NEXT) | instid1(VALU_DEP_1)
	v_and_b32_e32 v3, 0x7f000000, v2
	v_clz_i32_u32_e32 v4, v3
	v_add_nc_u32_e32 v6, 0x1000000, v3
	v_cmp_ne_u32_e32 vcc_lo, 0, v3
	s_delay_alu instid0(VALU_DEP_3) | instskip(NEXT) | instid1(VALU_DEP_1)
	v_min_u32_e32 v4, 32, v4
	v_sub_nc_u32_e64 v4, v4, 4 clamp
	s_delay_alu instid0(VALU_DEP_1) | instskip(SKIP_1) | instid1(VALU_DEP_2)
	v_lshlrev_b32_e32 v5, v4, v3
	v_lshlrev_b32_e32 v4, 23, v4
	v_lshrrev_b32_e32 v5, 4, v5
	s_delay_alu instid0(VALU_DEP_1) | instskip(SKIP_1) | instid1(VALU_DEP_2)
	v_sub_nc_u32_e32 v4, v5, v4
	v_ashrrev_i32_e32 v5, 8, v6
	v_add_nc_u32_e32 v4, 0x3c000000, v4
	s_delay_alu instid0(VALU_DEP_1) | instskip(NEXT) | instid1(VALU_DEP_1)
	v_and_or_b32 v4, 0x7f800000, v5, v4
	v_cndmask_b32_e32 v3, 0, v4, vcc_lo
	s_delay_alu instid0(VALU_DEP_1)
	v_and_or_b32 v41, 0x80000000, v2, v3
.LBB23_1453:
	s_mov_b32 s1, 0
.LBB23_1454:
	s_delay_alu instid0(SALU_CYCLE_1)
	s_and_not1_b32 vcc_lo, exec_lo, s1
	s_cbranch_vccnz .LBB23_1456
; %bb.1455:
	global_load_u8 v2, v[0:1], off
	s_waitcnt vmcnt(0)
	v_lshlrev_b32_e32 v3, 25, v2
	v_lshlrev_b16 v2, 8, v2
	s_delay_alu instid0(VALU_DEP_2) | instskip(NEXT) | instid1(VALU_DEP_2)
	v_lshrrev_b32_e32 v4, 4, v3
	v_and_or_b32 v5, 0x7f00, v2, 0.5
	v_bfe_i32 v2, v2, 0, 16
	s_delay_alu instid0(VALU_DEP_3) | instskip(NEXT) | instid1(VALU_DEP_1)
	v_or_b32_e32 v4, 0x70000000, v4
	v_dual_add_f32 v5, -0.5, v5 :: v_dual_mul_f32 v4, 0x7800000, v4
	v_cmp_gt_u32_e32 vcc_lo, 0x8000000, v3
	s_delay_alu instid0(VALU_DEP_2) | instskip(NEXT) | instid1(VALU_DEP_1)
	v_cndmask_b32_e32 v3, v4, v5, vcc_lo
	v_and_or_b32 v41, 0x80000000, v2, v3
.LBB23_1456:
	s_mov_b32 s1, 0
	s_mov_b32 s2, -1
.LBB23_1457:
	s_and_not1_b32 vcc_lo, exec_lo, s1
	s_mov_b32 s1, 0
	s_cbranch_vccnz .LBB23_1468
; %bb.1458:
	v_cmp_lt_i16_e32 vcc_lo, 14, v47
	s_cbranch_vccz .LBB23_1461
; %bb.1459:
	v_cmp_eq_u16_e32 vcc_lo, 15, v47
	s_cbranch_vccz .LBB23_1464
; %bb.1460:
	global_load_u16 v2, v[0:1], off
	s_mov_b32 s0, 0
	s_mov_b32 s2, -1
	s_waitcnt vmcnt(0)
	v_lshlrev_b32_e32 v41, 16, v2
	s_branch .LBB23_1466
.LBB23_1461:
	s_mov_b32 s1, -1
	s_branch .LBB23_1465
.LBB23_1462:
	s_or_saveexec_b32 s3, s3
	v_mov_b32_e32 v41, s2
	s_xor_b32 exec_lo, exec_lo, s3
	s_cbranch_execz .LBB23_1443
.LBB23_1463:
	v_cmp_ne_u16_e32 vcc_lo, 0, v2
	v_mov_b32_e32 v41, 0
	s_and_not1_b32 s1, s1, exec_lo
	s_and_b32 s2, vcc_lo, exec_lo
	s_delay_alu instid0(SALU_CYCLE_1)
	s_or_b32 s1, s1, s2
	s_or_b32 exec_lo, exec_lo, s3
	s_and_saveexec_b32 s2, s1
	s_cbranch_execnz .LBB23_1444
	s_branch .LBB23_1445
.LBB23_1464:
	s_mov_b32 s0, -1
.LBB23_1465:
                                        ; implicit-def: $vgpr41
.LBB23_1466:
	s_and_b32 vcc_lo, exec_lo, s1
	s_mov_b32 s1, 0
	s_cbranch_vccz .LBB23_1468
; %bb.1467:
	v_cmp_ne_u16_e64 s0, 11, v47
	s_mov_b32 s1, -1
                                        ; implicit-def: $vgpr41
.LBB23_1468:
	s_delay_alu instid0(VALU_DEP_1)
	s_and_b32 vcc_lo, exec_lo, s0
	s_cbranch_vccnz .LBB23_1508
; %bb.1469:
	s_and_not1_b32 vcc_lo, exec_lo, s1
	s_cbranch_vccnz .LBB23_1471
.LBB23_1470:
	global_load_u8 v2, v[0:1], off
	s_mov_b32 s2, -1
	s_waitcnt vmcnt(0)
	v_cmp_ne_u16_e32 vcc_lo, 0, v2
	v_cndmask_b32_e64 v41, 0, 1.0, vcc_lo
.LBB23_1471:
.LBB23_1472:
	s_and_not1_b32 vcc_lo, exec_lo, s2
	s_cbranch_vccnz .LBB23_1781
.LBB23_1473:
                                        ; implicit-def: $vgpr56
	s_mov_b32 s0, exec_lo
	s_waitcnt vmcnt(0)
	s_delay_alu instid0(VALU_DEP_1)
	v_cmpx_ge_f32_e32 0x40a00000, v41
	s_xor_b32 s43, exec_lo, s0
	s_cbranch_execz .LBB23_1479
; %bb.1474:
	v_mov_b32_e32 v56, 0xff800000
	s_mov_b32 s44, exec_lo
	v_cmpx_neq_f32_e32 0, v41
	s_cbranch_execz .LBB23_1478
; %bb.1475:
	v_mov_b32_e32 v56, 0x7fc00000
	s_mov_b32 s45, exec_lo
	v_cmpx_nge_f32_e32 0, v41
	s_cbranch_execz .LBB23_1477
; %bb.1476:
	v_mul_f32_e32 v0, v41, v41
	s_getpc_b64 s[0:1]
	s_add_u32 s0, s0, _Z17bessel_j1_forwardIfET_S0_@rel32@lo+4
	s_addc_u32 s1, s1, _Z17bessel_j1_forwardIfET_S0_@rel32@hi+12
	s_delay_alu instid0(VALU_DEP_1) | instskip(SKIP_1) | instid1(VALU_DEP_2)
	v_fmaak_f32 v1, 0, v0, 0x4414934d
	v_fmaak_f32 v2, 0, v0, 0x4e9695f3
	;; [unrolled: 1-line block ×3, first 2 shown]
	s_delay_alu instid0(VALU_DEP_2) | instskip(NEXT) | instid1(VALU_DEP_2)
	v_fmaak_f32 v2, v0, v2, 0xd316b96b
	v_fmaak_f32 v1, v0, v1, 0x4c8c277d
	s_delay_alu instid0(VALU_DEP_2) | instskip(NEXT) | instid1(VALU_DEP_2)
	v_fmaak_f32 v2, v0, v2, 0x56d04aa6
	v_fmaak_f32 v1, v0, v1, 0x508bc61d
	;; [unrolled: 3-line block ×5, first 2 shown]
	s_delay_alu instid0(VALU_DEP_1) | instskip(NEXT) | instid1(VALU_DEP_1)
	v_fmaak_f32 v0, v0, v1, 0x5e5c878d
	v_div_scale_f32 v1, null, v0, v0, v2
	v_div_scale_f32 v5, vcc_lo, v2, v0, v2
	s_delay_alu instid0(VALU_DEP_2) | instskip(SKIP_2) | instid1(VALU_DEP_1)
	v_rcp_f32_e32 v3, v1
	s_waitcnt_depctr 0xfff
	v_fma_f32 v4, -v1, v3, 1.0
	v_fmac_f32_e32 v3, v4, v3
	s_delay_alu instid0(VALU_DEP_1) | instskip(NEXT) | instid1(VALU_DEP_1)
	v_mul_f32_e32 v4, v5, v3
	v_fma_f32 v6, -v1, v4, v5
	s_delay_alu instid0(VALU_DEP_1) | instskip(NEXT) | instid1(VALU_DEP_1)
	v_fmac_f32_e32 v4, v6, v3
	v_fma_f32 v1, -v1, v4, v5
	s_delay_alu instid0(VALU_DEP_1) | instskip(NEXT) | instid1(VALU_DEP_1)
	v_div_fmas_f32 v1, v1, v3, v4
	v_div_fixup_f32 v59, v1, v0, v2
	v_mov_b32_e32 v0, v41
	s_swappc_b64 s[30:31], s[0:1]
	v_div_scale_f32 v1, null, v41, v41, -1.0
	v_cmp_gt_f32_e32 vcc_lo, 0x800000, v41
	v_div_scale_f32 v5, s0, -1.0, v41, -1.0
	s_delay_alu instid0(VALU_DEP_3) | instskip(SKIP_3) | instid1(VALU_DEP_1)
	v_rcp_f32_e32 v3, v1
	v_cndmask_b32_e64 v2, 1.0, 0x4f800000, vcc_lo
	s_waitcnt_depctr 0xfff
	v_fma_f32 v4, -v1, v3, 1.0
	v_dual_mul_f32 v2, v41, v2 :: v_dual_fmac_f32 v3, v4, v3
	s_delay_alu instid0(VALU_DEP_1) | instskip(SKIP_3) | instid1(VALU_DEP_2)
	v_log_f32_e32 v2, v2
	s_waitcnt_depctr 0xfff
	v_mul_f32_e32 v4, 0x3f317217, v2
	v_cmp_gt_f32_e64 s1, 0x7f800000, |v2|
	v_fma_f32 v7, 0x3f317217, v2, -v4
	s_delay_alu instid0(VALU_DEP_1) | instskip(NEXT) | instid1(VALU_DEP_1)
	v_dual_mul_f32 v6, v5, v3 :: v_dual_fmamk_f32 v7, v2, 0x3377d1cf, v7
	v_fma_f32 v8, -v1, v6, v5
	s_delay_alu instid0(VALU_DEP_2) | instskip(NEXT) | instid1(VALU_DEP_2)
	v_add_f32_e32 v4, v4, v7
	v_fmac_f32_e32 v6, v8, v3
	s_delay_alu instid0(VALU_DEP_2) | instskip(NEXT) | instid1(VALU_DEP_2)
	v_cndmask_b32_e64 v2, v2, v4, s1
	v_fma_f32 v1, -v1, v6, v5
	v_cndmask_b32_e64 v4, 0, 0x41b17218, vcc_lo
	s_mov_b32 vcc_lo, s0
	s_delay_alu instid0(VALU_DEP_2) | instskip(NEXT) | instid1(VALU_DEP_2)
	v_div_fmas_f32 v1, v1, v3, v6
	v_sub_f32_e32 v2, v2, v4
	s_delay_alu instid0(VALU_DEP_2) | instskip(NEXT) | instid1(VALU_DEP_1)
	v_div_fixup_f32 v1, v1, v41, -1.0
	v_fmac_f32_e32 v1, v2, v0
	s_delay_alu instid0(VALU_DEP_1) | instskip(NEXT) | instid1(VALU_DEP_1)
	v_mul_f32_e32 v56, 0x3f22f983, v1
	v_fmac_f32_e32 v56, v41, v59
.LBB23_1477:
	s_or_b32 exec_lo, exec_lo, s45
.LBB23_1478:
	s_delay_alu instid0(SALU_CYCLE_1)
	s_or_b32 exec_lo, exec_lo, s44
                                        ; implicit-def: $vgpr41
.LBB23_1479:
	s_and_not1_saveexec_b32 s3, s43
	s_cbranch_execz .LBB23_1489
; %bb.1480:
	v_add_f32_e32 v0, 0xc016cbe4, v41
                                        ; implicit-def: $vgpr3
                                        ; implicit-def: $vgpr2
	s_delay_alu instid0(VALU_DEP_1) | instskip(SKIP_1) | instid1(VALU_DEP_2)
	v_and_b32_e32 v1, 0x7fffffff, v0
	v_cmp_ngt_f32_e64 s4, 0x48000000, |v0|
	v_lshrrev_b32_e32 v5, 23, v1
	s_delay_alu instid0(VALU_DEP_2) | instskip(NEXT) | instid1(SALU_CYCLE_1)
	s_and_saveexec_b32 s0, s4
	s_xor_b32 s5, exec_lo, s0
	s_cbranch_execz .LBB23_1482
; %bb.1481:
	s_mov_b32 s0, 0x7fffff
	v_mov_b32_e32 v4, 0
	v_and_or_b32 v13, v1, s0, 0x800000
	v_add_nc_u32_e32 v11, 0xffffff88, v5
	s_delay_alu instid0(VALU_DEP_2) | instskip(NEXT) | instid1(VALU_DEP_2)
	v_mad_u64_u32 v[2:3], null, 0xfe5163ab, v13, 0
	v_cmp_lt_u32_e32 vcc_lo, 63, v11
	v_cndmask_b32_e64 v12, 0, 0xffffffc0, vcc_lo
	s_delay_alu instid0(VALU_DEP_3) | instskip(NEXT) | instid1(VALU_DEP_1)
	v_mad_u64_u32 v[6:7], null, 0x3c439041, v13, v[3:4]
	v_dual_mov_b32 v3, v7 :: v_dual_add_nc_u32 v12, v12, v11
	s_delay_alu instid0(VALU_DEP_1) | instskip(NEXT) | instid1(VALU_DEP_2)
	v_cmp_lt_u32_e64 s0, 31, v12
	v_mad_u64_u32 v[7:8], null, 0xdb629599, v13, v[3:4]
	s_delay_alu instid0(VALU_DEP_2) | instskip(NEXT) | instid1(VALU_DEP_1)
	v_cndmask_b32_e64 v14, 0, 0xffffffe0, s0
	v_dual_mov_b32 v3, v8 :: v_dual_add_nc_u32 v14, v14, v12
	s_delay_alu instid0(VALU_DEP_3) | instskip(NEXT) | instid1(VALU_DEP_2)
	v_cndmask_b32_e32 v2, v7, v2, vcc_lo
	v_cmp_lt_u32_e64 s1, 31, v14
	s_delay_alu instid0(VALU_DEP_3) | instskip(NEXT) | instid1(VALU_DEP_1)
	v_mad_u64_u32 v[8:9], null, 0xf534ddc0, v13, v[3:4]
	v_dual_mov_b32 v3, v9 :: v_dual_cndmask_b32 v6, v8, v6
	s_delay_alu instid0(VALU_DEP_1) | instskip(NEXT) | instid1(VALU_DEP_2)
	v_mad_u64_u32 v[9:10], null, 0xfc2757d1, v13, v[3:4]
	v_cndmask_b32_e64 v2, v6, v2, s0
	s_delay_alu instid0(VALU_DEP_2) | instskip(NEXT) | instid1(VALU_DEP_1)
	v_mov_b32_e32 v3, v10
	v_mad_u64_u32 v[10:11], null, 0x4e441529, v13, v[3:4]
	s_delay_alu instid0(VALU_DEP_1) | instskip(NEXT) | instid1(VALU_DEP_1)
	v_mov_b32_e32 v3, v11
	v_mad_u64_u32 v[11:12], null, 0xa2f9836e, v13, v[3:4]
	v_cndmask_b32_e64 v3, 0, 0xffffffe0, s1
	s_delay_alu instid0(VALU_DEP_1) | instskip(NEXT) | instid1(VALU_DEP_3)
	v_dual_cndmask_b32 v4, v10, v8 :: v_dual_add_nc_u32 v3, v3, v14
	v_dual_cndmask_b32 v11, v11, v9 :: v_dual_cndmask_b32 v10, v12, v10
	v_cndmask_b32_e32 v9, v9, v7, vcc_lo
	s_delay_alu instid0(VALU_DEP_3) | instskip(NEXT) | instid1(VALU_DEP_3)
	v_cmp_eq_u32_e64 s2, 0, v3
	v_cndmask_b32_e64 v8, v11, v4, s0
	s_delay_alu instid0(VALU_DEP_4) | instskip(NEXT) | instid1(VALU_DEP_4)
	v_cndmask_b32_e64 v10, v10, v11, s0
	v_cndmask_b32_e64 v4, v4, v9, s0
	v_sub_nc_u32_e32 v11, 32, v3
	v_cndmask_b32_e64 v9, v9, v6, s0
	s_delay_alu instid0(VALU_DEP_4) | instskip(NEXT) | instid1(VALU_DEP_4)
	v_cndmask_b32_e64 v10, v10, v8, s1
	v_cndmask_b32_e64 v8, v8, v4, s1
	s_delay_alu instid0(VALU_DEP_3) | instskip(SKIP_1) | instid1(VALU_DEP_3)
	v_cndmask_b32_e64 v4, v4, v9, s1
	v_cndmask_b32_e64 v2, v9, v2, s1
	v_alignbit_b32 v12, v10, v8, v11
	s_delay_alu instid0(VALU_DEP_3) | instskip(NEXT) | instid1(VALU_DEP_3)
	v_alignbit_b32 v13, v8, v4, v11
	v_alignbit_b32 v11, v4, v2, v11
	s_delay_alu instid0(VALU_DEP_3) | instskip(NEXT) | instid1(VALU_DEP_3)
	v_cndmask_b32_e64 v3, v12, v10, s2
	v_cndmask_b32_e64 v7, v13, v8, s2
	s_delay_alu instid0(VALU_DEP_3) | instskip(NEXT) | instid1(VALU_DEP_3)
	v_cndmask_b32_e64 v4, v11, v4, s2
	v_bfe_u32 v8, v3, 29, 1
	s_delay_alu instid0(VALU_DEP_3) | instskip(NEXT) | instid1(VALU_DEP_3)
	v_alignbit_b32 v6, v3, v7, 30
	v_alignbit_b32 v7, v7, v4, 30
	;; [unrolled: 1-line block ×3, first 2 shown]
	s_delay_alu instid0(VALU_DEP_4) | instskip(NEXT) | instid1(VALU_DEP_1)
	v_sub_nc_u32_e32 v10, 0, v8
	v_xor_b32_e32 v9, v6, v10
	v_cmp_ne_u32_e32 vcc_lo, v6, v10
	v_xor_b32_e32 v4, v7, v10
	v_xor_b32_e32 v2, v2, v10
	s_delay_alu instid0(VALU_DEP_4) | instskip(NEXT) | instid1(VALU_DEP_1)
	v_clz_i32_u32_e32 v12, v9
	v_add_nc_u32_e32 v11, 1, v12
	s_delay_alu instid0(VALU_DEP_1) | instskip(NEXT) | instid1(VALU_DEP_1)
	v_cndmask_b32_e32 v6, 33, v11, vcc_lo
	v_sub_nc_u32_e32 v7, 32, v6
	s_delay_alu instid0(VALU_DEP_1) | instskip(SKIP_3) | instid1(VALU_DEP_3)
	v_alignbit_b32 v9, v9, v4, v7
	v_alignbit_b32 v2, v4, v2, v7
	v_lshrrev_b32_e32 v4, 29, v3
	v_lshrrev_b32_e32 v3, 30, v3
	v_alignbit_b32 v7, v9, v2, 9
	s_delay_alu instid0(VALU_DEP_3) | instskip(SKIP_1) | instid1(VALU_DEP_4)
	v_lshlrev_b32_e32 v4, 31, v4
	v_alignbit_b32 v9, v6, v9, 9
	v_add_nc_u32_e32 v3, v8, v3
	s_delay_alu instid0(VALU_DEP_4) | instskip(NEXT) | instid1(VALU_DEP_3)
	v_clz_i32_u32_e32 v10, v7
	v_or_b32_e32 v9, v9, v4
	v_or_b32_e32 v4, 0x33800000, v4
	s_delay_alu instid0(VALU_DEP_3) | instskip(NEXT) | instid1(VALU_DEP_3)
	v_min_u32_e32 v10, 32, v10
	v_xor_b32_e32 v9, 1.0, v9
	s_delay_alu instid0(VALU_DEP_2) | instskip(SKIP_1) | instid1(VALU_DEP_3)
	v_sub_nc_u32_e32 v11, 31, v10
	v_add_lshl_u32 v6, v10, v6, 23
	v_mul_f32_e32 v10, 0x3fc90fda, v9
	s_delay_alu instid0(VALU_DEP_3) | instskip(NEXT) | instid1(VALU_DEP_3)
	v_alignbit_b32 v2, v7, v2, v11
	v_sub_nc_u32_e32 v4, v4, v6
	s_delay_alu instid0(VALU_DEP_3) | instskip(NEXT) | instid1(VALU_DEP_3)
	v_fma_f32 v6, 0x3fc90fda, v9, -v10
	v_lshrrev_b32_e32 v2, 9, v2
	s_delay_alu instid0(VALU_DEP_2) | instskip(NEXT) | instid1(VALU_DEP_2)
	v_fmamk_f32 v6, v9, 0x33a22168, v6
	v_or_b32_e32 v2, v4, v2
	s_delay_alu instid0(VALU_DEP_1) | instskip(NEXT) | instid1(VALU_DEP_1)
	v_fmac_f32_e32 v6, 0x3fc90fda, v2
	v_add_f32_e32 v2, v10, v6
	s_or_saveexec_b32 s0, s5
	v_mul_f32_e64 v7, 0x3f22f983, |v0|
	s_xor_b32 exec_lo, exec_lo, s0
	s_branch .LBB23_1483
.LBB23_1482:
	s_or_saveexec_b32 s0, s5
	v_mul_f32_e64 v7, 0x3f22f983, |v0|
	s_xor_b32 exec_lo, exec_lo, s0
.LBB23_1483:
	s_delay_alu instid0(VALU_DEP_1) | instskip(NEXT) | instid1(VALU_DEP_1)
	v_rndne_f32_e32 v3, v7
	v_fma_f32 v2, 0xbfc90fda, v3, |v0|
	s_delay_alu instid0(VALU_DEP_1) | instskip(NEXT) | instid1(VALU_DEP_1)
	v_fmamk_f32 v2, v3, 0xb3a22168, v2
	v_fmamk_f32 v2, v3, 0xa7c234c4, v2
	v_cvt_i32_f32_e32 v3, v3
; %bb.1484:
	s_or_b32 exec_lo, exec_lo, s0
                                        ; implicit-def: $vgpr6
                                        ; implicit-def: $vgpr4
	s_and_saveexec_b32 s0, s4
	s_delay_alu instid0(SALU_CYCLE_1)
	s_xor_b32 s4, exec_lo, s0
	s_cbranch_execz .LBB23_1486
; %bb.1485:
	s_mov_b32 s0, 0x7fffff
	v_mov_b32_e32 v8, 0
	v_and_or_b32 v15, v1, s0, 0x800000
	s_delay_alu instid0(VALU_DEP_1) | instskip(NEXT) | instid1(VALU_DEP_1)
	v_mad_u64_u32 v[6:7], null, 0xfe5163ab, v15, 0
	v_mad_u64_u32 v[9:10], null, 0x3c439041, v15, v[7:8]
	s_delay_alu instid0(VALU_DEP_1) | instskip(NEXT) | instid1(VALU_DEP_1)
	v_mov_b32_e32 v7, v10
	v_mad_u64_u32 v[10:11], null, 0xdb629599, v15, v[7:8]
	s_delay_alu instid0(VALU_DEP_1) | instskip(NEXT) | instid1(VALU_DEP_1)
	v_mov_b32_e32 v7, v11
	v_mad_u64_u32 v[11:12], null, 0xf534ddc0, v15, v[7:8]
	s_delay_alu instid0(VALU_DEP_1) | instskip(NEXT) | instid1(VALU_DEP_1)
	v_dual_mov_b32 v7, v12 :: v_dual_add_nc_u32 v12, 0xffffff88, v5
	v_mad_u64_u32 v[4:5], null, 0xfc2757d1, v15, v[7:8]
	s_delay_alu instid0(VALU_DEP_2) | instskip(SKIP_1) | instid1(VALU_DEP_3)
	v_cmp_lt_u32_e32 vcc_lo, 63, v12
	v_cndmask_b32_e64 v13, 0, 0xffffffc0, vcc_lo
	v_dual_mov_b32 v7, v5 :: v_dual_cndmask_b32 v6, v10, v6
	s_delay_alu instid0(VALU_DEP_2) | instskip(NEXT) | instid1(VALU_DEP_2)
	v_add_nc_u32_e32 v5, v13, v12
	v_mad_u64_u32 v[12:13], null, 0x4e441529, v15, v[7:8]
	s_delay_alu instid0(VALU_DEP_2) | instskip(NEXT) | instid1(VALU_DEP_2)
	v_cmp_lt_u32_e64 s0, 31, v5
	v_mov_b32_e32 v7, v13
	s_delay_alu instid0(VALU_DEP_2) | instskip(NEXT) | instid1(VALU_DEP_1)
	v_cndmask_b32_e64 v14, 0, 0xffffffe0, s0
	v_add_nc_u32_e32 v5, v14, v5
	s_delay_alu instid0(VALU_DEP_3) | instskip(SKIP_1) | instid1(VALU_DEP_3)
	v_mad_u64_u32 v[13:14], null, 0xa2f9836e, v15, v[7:8]
	v_cndmask_b32_e32 v8, v12, v11, vcc_lo
	v_cmp_lt_u32_e64 s1, 31, v5
	s_delay_alu instid0(VALU_DEP_3) | instskip(NEXT) | instid1(VALU_DEP_2)
	v_cndmask_b32_e32 v13, v13, v4, vcc_lo
	v_cndmask_b32_e64 v7, 0, 0xffffffe0, s1
	v_cndmask_b32_e32 v12, v14, v12, vcc_lo
	s_delay_alu instid0(VALU_DEP_2) | instskip(SKIP_2) | instid1(VALU_DEP_4)
	v_dual_cndmask_b32 v4, v4, v10 :: v_dual_add_nc_u32 v5, v7, v5
	v_cndmask_b32_e32 v7, v11, v9, vcc_lo
	v_cndmask_b32_e64 v9, v13, v8, s0
	v_cndmask_b32_e64 v11, v12, v13, s0
	s_delay_alu instid0(VALU_DEP_4)
	v_cndmask_b32_e64 v8, v8, v4, s0
	v_sub_nc_u32_e32 v12, 32, v5
	v_cndmask_b32_e64 v4, v4, v7, s0
	v_cmp_eq_u32_e64 s2, 0, v5
	v_cndmask_b32_e64 v11, v11, v9, s1
	v_cndmask_b32_e64 v9, v9, v8, s1
	;; [unrolled: 1-line block ×4, first 2 shown]
	s_delay_alu instid0(VALU_DEP_3) | instskip(NEXT) | instid1(VALU_DEP_3)
	v_alignbit_b32 v13, v11, v9, v12
	v_cndmask_b32_e64 v4, v4, v6, s1
	s_delay_alu instid0(VALU_DEP_3) | instskip(NEXT) | instid1(VALU_DEP_3)
	v_alignbit_b32 v14, v9, v8, v12
	v_cndmask_b32_e64 v5, v13, v11, s2
	;; [unrolled: 3-line block ×3, first 2 shown]
	s_delay_alu instid0(VALU_DEP_3) | instskip(NEXT) | instid1(VALU_DEP_3)
	v_bfe_u32 v10, v5, 29, 1
	v_cndmask_b32_e64 v8, v12, v8, s2
	s_delay_alu instid0(VALU_DEP_3) | instskip(NEXT) | instid1(VALU_DEP_3)
	v_alignbit_b32 v7, v5, v9, 30
	v_sub_nc_u32_e32 v11, 0, v10
	s_delay_alu instid0(VALU_DEP_3) | instskip(SKIP_1) | instid1(VALU_DEP_3)
	v_alignbit_b32 v9, v9, v8, 30
	v_alignbit_b32 v4, v8, v4, 30
	v_xor_b32_e32 v6, v7, v11
	v_cmp_ne_u32_e32 vcc_lo, v7, v11
	s_delay_alu instid0(VALU_DEP_4) | instskip(NEXT) | instid1(VALU_DEP_4)
	v_xor_b32_e32 v8, v9, v11
	v_xor_b32_e32 v4, v4, v11
	s_delay_alu instid0(VALU_DEP_4) | instskip(NEXT) | instid1(VALU_DEP_1)
	v_clz_i32_u32_e32 v13, v6
	v_add_nc_u32_e32 v12, 1, v13
	s_delay_alu instid0(VALU_DEP_1) | instskip(NEXT) | instid1(VALU_DEP_1)
	v_cndmask_b32_e32 v7, 33, v12, vcc_lo
	v_sub_nc_u32_e32 v9, 32, v7
	s_delay_alu instid0(VALU_DEP_1) | instskip(SKIP_3) | instid1(VALU_DEP_3)
	v_alignbit_b32 v6, v6, v8, v9
	v_alignbit_b32 v4, v8, v4, v9
	v_lshrrev_b32_e32 v8, 29, v5
	v_lshrrev_b32_e32 v5, 30, v5
	v_alignbit_b32 v9, v6, v4, 9
	s_delay_alu instid0(VALU_DEP_3) | instskip(SKIP_1) | instid1(VALU_DEP_3)
	v_lshlrev_b32_e32 v8, 31, v8
	v_alignbit_b32 v6, v7, v6, 9
	v_clz_i32_u32_e32 v11, v9
	s_delay_alu instid0(VALU_DEP_2) | instskip(SKIP_1) | instid1(VALU_DEP_3)
	v_or_b32_e32 v6, v6, v8
	v_or_b32_e32 v8, 0x33800000, v8
	v_min_u32_e32 v11, 32, v11
	s_delay_alu instid0(VALU_DEP_3) | instskip(NEXT) | instid1(VALU_DEP_2)
	v_xor_b32_e32 v6, 1.0, v6
	v_sub_nc_u32_e32 v12, 31, v11
	v_add_lshl_u32 v7, v11, v7, 23
	s_delay_alu instid0(VALU_DEP_3) | instskip(NEXT) | instid1(VALU_DEP_3)
	v_mul_f32_e32 v11, 0x3fc90fda, v6
	v_alignbit_b32 v4, v9, v4, v12
	s_delay_alu instid0(VALU_DEP_3) | instskip(NEXT) | instid1(VALU_DEP_3)
	v_sub_nc_u32_e32 v7, v8, v7
	v_fma_f32 v8, 0x3fc90fda, v6, -v11
	s_delay_alu instid0(VALU_DEP_3) | instskip(NEXT) | instid1(VALU_DEP_2)
	v_lshrrev_b32_e32 v4, 9, v4
	v_fmamk_f32 v6, v6, 0x33a22168, v8
	s_delay_alu instid0(VALU_DEP_2) | instskip(NEXT) | instid1(VALU_DEP_1)
	v_or_b32_e32 v4, v7, v4
                                        ; implicit-def: $vgpr7
	v_fmac_f32_e32 v6, 0x3fc90fda, v4
	s_delay_alu instid0(VALU_DEP_1)
	v_add_f32_e32 v4, v11, v6
	v_add_nc_u32_e32 v6, v10, v5
	s_and_not1_saveexec_b32 s0, s4
	s_cbranch_execnz .LBB23_1487
	s_branch .LBB23_1488
.LBB23_1486:
	s_and_not1_saveexec_b32 s0, s4
.LBB23_1487:
	v_rndne_f32_e32 v5, v7
	s_delay_alu instid0(VALU_DEP_1) | instskip(SKIP_1) | instid1(VALU_DEP_2)
	v_fma_f32 v4, 0xbfc90fda, v5, |v0|
	v_cvt_i32_f32_e32 v6, v5
	v_fmamk_f32 v4, v5, 0xb3a22168, v4
	s_delay_alu instid0(VALU_DEP_1)
	v_fmamk_f32 v4, v5, 0xa7c234c4, v4
.LBB23_1488:
	s_or_b32 exec_lo, exec_lo, s0
	v_div_scale_f32 v5, null, v41, v41, 0x40a00000
	v_div_scale_f32 v9, vcc_lo, 0x40a00000, v41, 0x40a00000
	s_mov_b32 s0, 0xb94c1982
	s_delay_alu instid0(VALU_DEP_2) | instskip(SKIP_4) | instid1(VALU_DEP_1)
	v_rcp_f32_e32 v7, v5
	s_mov_b32 s1, 0x37d75334
	v_xor_b32_e32 v1, v1, v0
	s_waitcnt_depctr 0xfff
	v_fma_f32 v8, -v5, v7, 1.0
	v_fmac_f32_e32 v7, v8, v7
	s_delay_alu instid0(VALU_DEP_1) | instskip(NEXT) | instid1(VALU_DEP_1)
	v_mul_f32_e32 v8, v9, v7
	v_fma_f32 v10, -v5, v8, v9
	s_delay_alu instid0(VALU_DEP_1) | instskip(SKIP_1) | instid1(VALU_DEP_2)
	v_fmac_f32_e32 v8, v10, v7
	v_mul_f32_e32 v10, v4, v4
	v_fma_f32 v5, -v5, v8, v9
	s_delay_alu instid0(VALU_DEP_2) | instskip(SKIP_1) | instid1(VALU_DEP_3)
	v_fmaak_f32 v19, s0, v10, 0x3c0881c4
	v_fmaak_f32 v20, s1, v10, 0xbab64f3b
	v_div_fmas_f32 v5, v5, v7, v8
	v_mul_f32_e32 v7, v2, v2
	s_delay_alu instid0(VALU_DEP_4)
	v_fmaak_f32 v19, v10, v19, 0xbe2aaa9d
	v_mul_f32_e32 v16, 0x4f800000, v41
	v_fmaak_f32 v20, v10, v20, 0x3d2aabf7
	v_div_fixup_f32 v5, v5, v41, 0x40a00000
	v_fmaak_f32 v17, s0, v7, 0x3c0881c4
	v_cmp_gt_f32_e64 s0, 0xf800000, v41
	v_fmaak_f32 v18, s1, v7, 0xbab64f3b
	v_mul_f32_e32 v19, v10, v19
	v_dual_mul_f32 v9, v5, v5 :: v_dual_and_b32 v8, 1, v3
	v_lshlrev_b32_e32 v3, 30, v3
	v_and_b32_e32 v11, 1, v6
	v_cndmask_b32_e64 v16, v41, v16, s0
	s_delay_alu instid0(VALU_DEP_4) | instskip(SKIP_3) | instid1(VALU_DEP_4)
	v_fmaak_f32 v14, 0, v9, 0x3a47c962
	v_fmaak_f32 v13, 0, v9, 0x3a15c4d9
	;; [unrolled: 1-line block ×3, first 2 shown]
	v_dual_fmaak_f32 v15, 0, v9, 0x42947983 :: v_dual_lshlrev_b32 v6, 30, v6
	v_fmaak_f32 v14, v9, v14, 0x3d95ca45
	s_delay_alu instid0(VALU_DEP_4) | instskip(SKIP_2) | instid1(VALU_DEP_3)
	v_dual_fmaak_f32 v13, v9, v13, 0x3d8cfeeb :: v_dual_fmac_f32 v4, v4, v19
	v_sqrt_f32_e32 v24, v16
	v_fmaak_f32 v17, v7, v17, 0xbe2aaa9d
	v_fmaak_f32 v14, v9, v14, 0x3f9047f6
	s_delay_alu instid0(VALU_DEP_3)
	v_fmaak_f32 v13, v9, v13, 0x3f8d754e
	v_fmaak_f32 v12, v9, v12, 0x409f6dae
	;; [unrolled: 1-line block ×3, first 2 shown]
	v_mul_f32_e32 v17, v7, v17
	v_fmaak_f32 v15, v9, v15, 0x44840e5d
	v_fmaak_f32 v20, v10, v20, 0xbf000004
	v_cmp_eq_u32_e64 s2, 0, v8
	v_fmaak_f32 v18, v7, v18, 0xbf000004
	v_fmac_f32_e32 v2, v2, v17
	v_fmaak_f32 v13, v9, v13, 0x40a25d18
	v_fmaak_f32 v15, v9, v15, 0x459bd349
	v_fma_f32 v10, v10, v20, 1.0
	v_fma_f32 v7, v7, v18, 1.0
	v_and_b32_e32 v3, 0x80000000, v3
	v_dual_fmaak_f32 v14, v9, v14, 0x40a39628 :: v_dual_add_nc_u32 v19, -1, v24
	v_fmaak_f32 v13, v9, v13, 0x410665cf
	v_fmaak_f32 v15, v9, v15, 0x46156947
	v_cndmask_b32_e64 v2, v7, v2, s2
	v_cmp_eq_u32_e64 s2, 0, v11
	v_fmaak_f32 v14, v9, v14, 0x4106c8e4
	v_fmaak_f32 v13, v9, v13, 0x40a6b6ea
	;; [unrolled: 1-line block ×3, first 2 shown]
	v_fma_f32 v7, -v19, v24, v16
	v_cndmask_b32_e64 v4, -v4, v10, s2
	v_fmaak_f32 v14, v9, v14, 0x40a6dd51
	v_fma_f32 v13, v9, v13, 1.0
	v_fmaak_f32 v15, v9, v15, 0x4530a316
	v_xor3_b32 v1, v1, v3, v2
	v_and_b32_e32 v6, 0x80000000, v6
	v_fma_f32 v14, v9, v14, 1.0
	s_delay_alu instid0(VALU_DEP_4) | instskip(NEXT) | instid1(VALU_DEP_3)
	v_fmaak_f32 v15, v9, v15, 0x43a80bfb
	v_xor_b32_e32 v4, v6, v4
	s_delay_alu instid0(VALU_DEP_3) | instskip(SKIP_1) | instid1(VALU_DEP_1)
	v_div_scale_f32 v27, vcc_lo, v14, v13, v14
	v_fmaak_f32 v12, v9, v12, 0x4297a5cd
	v_fmaak_f32 v12, v9, v12, 0x43b763ca
	s_delay_alu instid0(VALU_DEP_1) | instskip(NEXT) | instid1(VALU_DEP_1)
	v_fmaak_f32 v12, v9, v12, 0x4431b6ce
	v_fmaak_f32 v12, v9, v12, 0x44155f56
	s_delay_alu instid0(VALU_DEP_1) | instskip(NEXT) | instid1(VALU_DEP_1)
	v_fmaak_f32 v12, v9, v12, 0x4353b052
	v_fmaak_f32 v9, v9, v12, 0x41c9a7fa
	v_div_scale_f32 v12, null, v13, v13, v14
	s_delay_alu instid0(VALU_DEP_2) | instskip(NEXT) | instid1(VALU_DEP_2)
	v_div_scale_f32 v21, null, v15, v15, v9
	v_rcp_f32_e32 v22, v12
	s_delay_alu instid0(VALU_DEP_1) | instskip(SKIP_3) | instid1(VALU_DEP_2)
	v_rcp_f32_e32 v23, v21
	s_waitcnt_depctr 0xfff
	v_fma_f32 v25, -v12, v22, 1.0
	v_fma_f32 v26, -v21, v23, 1.0
	v_fmac_f32_e32 v22, v25, v22
	v_div_scale_f32 v25, s1, v9, v15, v9
	s_delay_alu instid0(VALU_DEP_3) | instskip(NEXT) | instid1(VALU_DEP_1)
	v_dual_fmac_f32 v23, v26, v23 :: v_dual_add_nc_u32 v26, 1, v24
	v_dual_mul_f32 v17, v27, v22 :: v_dual_mul_f32 v18, v25, v23
	s_delay_alu instid0(VALU_DEP_2) | instskip(NEXT) | instid1(VALU_DEP_2)
	v_fma_f32 v8, -v26, v24, v16
	v_fma_f32 v20, -v12, v17, v27
	s_delay_alu instid0(VALU_DEP_3) | instskip(NEXT) | instid1(VALU_DEP_2)
	v_fma_f32 v28, -v21, v18, v25
	v_fmac_f32_e32 v17, v20, v22
	s_delay_alu instid0(VALU_DEP_2) | instskip(NEXT) | instid1(VALU_DEP_2)
	v_fmac_f32_e32 v18, v28, v23
	v_fma_f32 v10, -v12, v17, v27
	s_delay_alu instid0(VALU_DEP_2) | instskip(NEXT) | instid1(VALU_DEP_2)
	v_fma_f32 v2, -v21, v18, v25
	v_div_fmas_f32 v3, v10, v22, v17
	s_mov_b32 vcc_lo, s1
	v_cmp_lt_f32_e64 s1, 0, v8
	s_delay_alu instid0(VALU_DEP_3)
	v_div_fmas_f32 v2, v2, v23, v18
	v_cmp_ge_f32_e32 vcc_lo, 0, v7
	v_div_fixup_f32 v3, v3, v13, v14
	v_cndmask_b32_e32 v6, v24, v19, vcc_lo
	v_cmp_class_f32_e64 vcc_lo, v0, 0x1f8
	v_div_fixup_f32 v0, v2, v15, v9
	s_delay_alu instid0(VALU_DEP_3) | instskip(SKIP_1) | instid1(VALU_DEP_3)
	v_cndmask_b32_e64 v2, v6, v26, s1
	v_cndmask_b32_e32 v4, 0x7fc00000, v4, vcc_lo
	v_dual_mul_f32 v0, v5, v0 :: v_dual_cndmask_b32 v1, 0x7fc00000, v1
	v_cmp_class_f32_e64 vcc_lo, v16, 0x260
	s_delay_alu instid0(VALU_DEP_2) | instskip(NEXT) | instid1(VALU_DEP_1)
	v_dual_mul_f32 v5, 0x37800000, v2 :: v_dual_mul_f32 v0, v0, v4
	v_cndmask_b32_e64 v2, v2, v5, s0
	s_delay_alu instid0(VALU_DEP_1) | instskip(NEXT) | instid1(VALU_DEP_1)
	v_dual_fmac_f32 v0, v3, v1 :: v_dual_cndmask_b32 v1, v2, v16
	v_mul_f32_e32 v0, 0x3f4c422a, v0
	s_delay_alu instid0(VALU_DEP_1) | instskip(NEXT) | instid1(VALU_DEP_1)
	v_div_scale_f32 v2, null, v1, v1, v0
	v_rcp_f32_e32 v3, v2
	s_waitcnt_depctr 0xfff
	v_fma_f32 v4, -v2, v3, 1.0
	s_delay_alu instid0(VALU_DEP_1) | instskip(SKIP_1) | instid1(VALU_DEP_1)
	v_fmac_f32_e32 v3, v4, v3
	v_div_scale_f32 v4, vcc_lo, v0, v1, v0
	v_mul_f32_e32 v5, v4, v3
	s_delay_alu instid0(VALU_DEP_1) | instskip(NEXT) | instid1(VALU_DEP_1)
	v_fma_f32 v6, -v2, v5, v4
	v_fmac_f32_e32 v5, v6, v3
	s_delay_alu instid0(VALU_DEP_1) | instskip(NEXT) | instid1(VALU_DEP_1)
	v_fma_f32 v2, -v2, v5, v4
	v_div_fmas_f32 v2, v2, v3, v5
	s_delay_alu instid0(VALU_DEP_1)
	v_div_fixup_f32 v56, v2, v1, v0
.LBB23_1489:
	s_or_b32 exec_lo, exec_lo, s3
	v_cmp_gt_i16_e32 vcc_lo, 11, v47
	v_add_co_u32 v0, s0, s38, v58
	s_delay_alu instid0(VALU_DEP_1)
	v_add_co_ci_u32_e64 v1, null, s39, 0, s0
	s_mov_b32 s2, 0
	s_cbranch_vccnz .LBB23_1496
; %bb.1490:
	v_cmp_lt_i16_e32 vcc_lo, 25, v47
	s_mov_b32 s1, 0
	s_cbranch_vccz .LBB23_1502
; %bb.1491:
	v_cmp_lt_i16_e32 vcc_lo, 28, v47
	s_cbranch_vccz .LBB23_1504
; %bb.1492:
	v_cmp_lt_i16_e32 vcc_lo, 43, v47
	;; [unrolled: 3-line block ×3, first 2 shown]
	s_cbranch_vccz .LBB23_1510
; %bb.1494:
	v_cmp_eq_u16_e32 vcc_lo, 46, v47
	s_mov_b32 s3, 0
	s_cbranch_vccz .LBB23_1553
; %bb.1495:
	global_load_b32 v2, v[0:1], off
	s_mov_b32 s0, 0
	s_mov_b32 s2, -1
	s_waitcnt vmcnt(0)
	v_lshlrev_b32_e32 v41, 16, v2
	s_branch .LBB23_1555
.LBB23_1496:
                                        ; implicit-def: $vgpr41
	s_cbranch_execz .LBB23_1621
; %bb.1497:
	v_cmp_gt_i16_e32 vcc_lo, 5, v47
	s_cbranch_vccnz .LBB23_1503
; %bb.1498:
	v_cmp_gt_i16_e32 vcc_lo, 8, v47
	s_cbranch_vccnz .LBB23_1505
	;; [unrolled: 3-line block ×3, first 2 shown]
; %bb.1500:
	v_cmp_lt_i16_e32 vcc_lo, 9, v47
	s_cbranch_vccz .LBB23_1511
; %bb.1501:
	global_load_b64 v[2:3], v[0:1], off
	s_mov_b32 s0, 0
	s_waitcnt vmcnt(0)
	v_cvt_f32_f64_e32 v41, v[2:3]
	s_branch .LBB23_1512
.LBB23_1502:
	s_mov_b32 s3, -1
	s_mov_b32 s0, 0
                                        ; implicit-def: $vgpr41
	s_branch .LBB23_1584
.LBB23_1503:
	s_mov_b32 s0, -1
                                        ; implicit-def: $vgpr41
	s_branch .LBB23_1530
.LBB23_1504:
	s_mov_b32 s3, -1
	s_mov_b32 s0, 0
                                        ; implicit-def: $vgpr41
	s_branch .LBB23_1565
.LBB23_1505:
	s_mov_b32 s0, -1
                                        ; implicit-def: $vgpr41
	s_branch .LBB23_1518
.LBB23_1506:
	s_mov_b32 s3, -1
	s_mov_b32 s0, 0
                                        ; implicit-def: $vgpr41
	s_branch .LBB23_1560
.LBB23_1507:
	s_mov_b32 s0, -1
                                        ; implicit-def: $vgpr41
	s_branch .LBB23_1515
.LBB23_1508:
	s_cbranch_execnz .LBB23_1551
; %bb.1509:
	s_or_b32 s35, s35, exec_lo
                                        ; implicit-def: $vgpr41
	s_cbranch_execz .LBB23_1470
	s_branch .LBB23_1471
.LBB23_1510:
	s_mov_b32 s3, -1
	s_mov_b32 s0, 0
	s_branch .LBB23_1554
.LBB23_1511:
	s_mov_b32 s0, -1
                                        ; implicit-def: $vgpr41
.LBB23_1512:
	s_delay_alu instid0(SALU_CYCLE_1)
	s_and_not1_b32 vcc_lo, exec_lo, s0
	s_cbranch_vccnz .LBB23_1514
; %bb.1513:
	global_load_b32 v41, v[0:1], off
.LBB23_1514:
	s_mov_b32 s0, 0
.LBB23_1515:
	s_delay_alu instid0(SALU_CYCLE_1)
	s_and_not1_b32 vcc_lo, exec_lo, s0
	s_cbranch_vccnz .LBB23_1517
; %bb.1516:
	global_load_b32 v2, v[0:1], off
	s_waitcnt vmcnt(0)
	v_cvt_f32_f16_e32 v41, v2
.LBB23_1517:
	s_mov_b32 s0, 0
.LBB23_1518:
	s_delay_alu instid0(SALU_CYCLE_1)
	s_and_not1_b32 vcc_lo, exec_lo, s0
	s_cbranch_vccnz .LBB23_1529
; %bb.1519:
	v_cmp_gt_i16_e32 vcc_lo, 6, v47
	s_cbranch_vccnz .LBB23_1522
; %bb.1520:
	v_cmp_lt_i16_e32 vcc_lo, 6, v47
	s_cbranch_vccz .LBB23_1523
; %bb.1521:
	global_load_b64 v[2:3], v[0:1], off
	s_mov_b32 s0, 0
	s_waitcnt vmcnt(0)
	v_cvt_f32_f64_e32 v41, v[2:3]
	s_branch .LBB23_1524
.LBB23_1522:
	s_mov_b32 s0, -1
                                        ; implicit-def: $vgpr41
	s_branch .LBB23_1527
.LBB23_1523:
	s_mov_b32 s0, -1
                                        ; implicit-def: $vgpr41
.LBB23_1524:
	s_delay_alu instid0(SALU_CYCLE_1)
	s_and_not1_b32 vcc_lo, exec_lo, s0
	s_cbranch_vccnz .LBB23_1526
; %bb.1525:
	global_load_b32 v41, v[0:1], off
.LBB23_1526:
	s_mov_b32 s0, 0
.LBB23_1527:
	s_delay_alu instid0(SALU_CYCLE_1)
	s_and_not1_b32 vcc_lo, exec_lo, s0
	s_cbranch_vccnz .LBB23_1529
; %bb.1528:
	global_load_u16 v2, v[0:1], off
	s_waitcnt vmcnt(0)
	v_cvt_f32_f16_e32 v41, v2
.LBB23_1529:
	s_mov_b32 s0, 0
.LBB23_1530:
	s_delay_alu instid0(SALU_CYCLE_1)
	s_and_not1_b32 vcc_lo, exec_lo, s0
	s_cbranch_vccnz .LBB23_1550
; %bb.1531:
	v_cmp_gt_i16_e32 vcc_lo, 2, v47
	s_cbranch_vccnz .LBB23_1535
; %bb.1532:
	v_cmp_gt_i16_e32 vcc_lo, 3, v47
	s_cbranch_vccnz .LBB23_1536
; %bb.1533:
	v_cmp_lt_i16_e32 vcc_lo, 3, v47
	s_cbranch_vccz .LBB23_1537
; %bb.1534:
	global_load_b64 v[2:3], v[0:1], off
	s_mov_b32 s0, 0
	s_waitcnt vmcnt(0)
	v_xor_b32_e32 v4, v2, v3
	v_cls_i32_e32 v5, v3
	s_delay_alu instid0(VALU_DEP_2) | instskip(NEXT) | instid1(VALU_DEP_2)
	v_ashrrev_i32_e32 v4, 31, v4
	v_add_nc_u32_e32 v5, -1, v5
	s_delay_alu instid0(VALU_DEP_2) | instskip(NEXT) | instid1(VALU_DEP_1)
	v_add_nc_u32_e32 v4, 32, v4
	v_min_u32_e32 v4, v5, v4
	s_delay_alu instid0(VALU_DEP_1) | instskip(NEXT) | instid1(VALU_DEP_1)
	v_lshlrev_b64 v[2:3], v4, v[2:3]
	v_min_u32_e32 v2, 1, v2
	s_delay_alu instid0(VALU_DEP_1) | instskip(SKIP_1) | instid1(VALU_DEP_2)
	v_or_b32_e32 v2, v3, v2
	v_sub_nc_u32_e32 v3, 32, v4
	v_cvt_f32_i32_e32 v2, v2
	s_delay_alu instid0(VALU_DEP_1)
	v_ldexp_f32 v41, v2, v3
	s_branch .LBB23_1538
.LBB23_1535:
	s_mov_b32 s0, -1
                                        ; implicit-def: $vgpr41
	s_branch .LBB23_1544
.LBB23_1536:
	s_mov_b32 s0, -1
                                        ; implicit-def: $vgpr41
	s_branch .LBB23_1541
.LBB23_1537:
	s_mov_b32 s0, -1
                                        ; implicit-def: $vgpr41
.LBB23_1538:
	s_delay_alu instid0(SALU_CYCLE_1)
	s_and_not1_b32 vcc_lo, exec_lo, s0
	s_cbranch_vccnz .LBB23_1540
; %bb.1539:
	global_load_b32 v2, v[0:1], off
	s_waitcnt vmcnt(0)
	v_cvt_f32_i32_e32 v41, v2
.LBB23_1540:
	s_mov_b32 s0, 0
.LBB23_1541:
	s_delay_alu instid0(SALU_CYCLE_1)
	s_and_not1_b32 vcc_lo, exec_lo, s0
	s_cbranch_vccnz .LBB23_1543
; %bb.1542:
	global_load_i16 v2, v[0:1], off
	s_waitcnt vmcnt(0)
	v_cvt_f32_i32_e32 v41, v2
.LBB23_1543:
	s_mov_b32 s0, 0
.LBB23_1544:
	s_delay_alu instid0(SALU_CYCLE_1)
	s_and_not1_b32 vcc_lo, exec_lo, s0
	s_cbranch_vccnz .LBB23_1550
; %bb.1545:
	v_cmp_lt_i16_e32 vcc_lo, 0, v47
	s_mov_b32 s0, 0
	s_cbranch_vccz .LBB23_1547
; %bb.1546:
	global_load_i8 v2, v[0:1], off
	s_waitcnt vmcnt(0)
	v_cvt_f32_i32_e32 v41, v2
	s_branch .LBB23_1548
.LBB23_1547:
	s_mov_b32 s0, -1
                                        ; implicit-def: $vgpr41
.LBB23_1548:
	s_delay_alu instid0(SALU_CYCLE_1)
	s_and_not1_b32 vcc_lo, exec_lo, s0
	s_cbranch_vccnz .LBB23_1550
; %bb.1549:
	global_load_u8 v0, v[0:1], off
	s_waitcnt vmcnt(0)
	v_cvt_f32_ubyte0_e32 v41, v0
.LBB23_1550:
	s_branch .LBB23_1622
.LBB23_1551:
	s_trap 2
	s_sendmsg_rtn_b32 s0, sendmsg(MSG_RTN_GET_DOORBELL)
	s_mov_b32 ttmp2, m0
	s_waitcnt lgkmcnt(0)
	s_and_b32 s0, s0, 0x3ff
	s_delay_alu instid0(SALU_CYCLE_1) | instskip(NEXT) | instid1(SALU_CYCLE_1)
	s_bitset1_b32 s0, 10
	s_mov_b32 m0, s0
	s_sendmsg sendmsg(MSG_INTERRUPT)
	s_mov_b32 m0, ttmp2
.LBB23_1552:                            ; =>This Inner Loop Header: Depth=1
	s_sethalt 5
	s_branch .LBB23_1552
.LBB23_1553:
	s_mov_b32 s0, -1
.LBB23_1554:
                                        ; implicit-def: $vgpr41
.LBB23_1555:
	s_and_b32 vcc_lo, exec_lo, s3
	s_cbranch_vccz .LBB23_1559
; %bb.1556:
	v_cmp_eq_u16_e32 vcc_lo, 44, v47
	s_cbranch_vccz .LBB23_1558
; %bb.1557:
	global_load_u8 v2, v[0:1], off
	s_mov_b32 s0, 0
	s_mov_b32 s2, -1
	s_waitcnt vmcnt(0)
	v_lshlrev_b32_e32 v3, 23, v2
	v_cmp_ne_u32_e32 vcc_lo, 0xff, v2
	s_delay_alu instid0(VALU_DEP_2) | instskip(SKIP_1) | instid1(VALU_DEP_2)
	v_cndmask_b32_e32 v3, 0x7f800001, v3, vcc_lo
	v_cmp_ne_u32_e32 vcc_lo, 0, v2
	v_cndmask_b32_e32 v41, 0x400000, v3, vcc_lo
	s_branch .LBB23_1559
.LBB23_1558:
	s_mov_b32 s0, -1
                                        ; implicit-def: $vgpr41
.LBB23_1559:
	s_mov_b32 s3, 0
.LBB23_1560:
	s_delay_alu instid0(SALU_CYCLE_1)
	s_and_b32 vcc_lo, exec_lo, s3
	s_cbranch_vccz .LBB23_1564
; %bb.1561:
	v_cmp_eq_u16_e32 vcc_lo, 29, v47
	s_cbranch_vccz .LBB23_1563
; %bb.1562:
	global_load_b64 v[2:3], v[0:1], off
	s_mov_b32 s0, 0
	s_mov_b32 s2, -1
	s_mov_b32 s3, 0
	s_waitcnt vmcnt(0)
	v_clz_i32_u32_e32 v4, v3
	s_delay_alu instid0(VALU_DEP_1) | instskip(NEXT) | instid1(VALU_DEP_1)
	v_min_u32_e32 v4, 32, v4
	v_lshlrev_b64 v[2:3], v4, v[2:3]
	s_delay_alu instid0(VALU_DEP_1) | instskip(NEXT) | instid1(VALU_DEP_1)
	v_min_u32_e32 v2, 1, v2
	v_or_b32_e32 v2, v3, v2
	v_sub_nc_u32_e32 v3, 32, v4
	s_delay_alu instid0(VALU_DEP_2) | instskip(NEXT) | instid1(VALU_DEP_1)
	v_cvt_f32_u32_e32 v2, v2
	v_ldexp_f32 v41, v2, v3
	s_branch .LBB23_1565
.LBB23_1563:
	s_mov_b32 s0, -1
                                        ; implicit-def: $vgpr41
.LBB23_1564:
	s_mov_b32 s3, 0
.LBB23_1565:
	s_delay_alu instid0(SALU_CYCLE_1)
	s_and_b32 vcc_lo, exec_lo, s3
	s_cbranch_vccz .LBB23_1583
; %bb.1566:
	v_cmp_gt_i16_e32 vcc_lo, 27, v47
	s_cbranch_vccnz .LBB23_1569
; %bb.1567:
	v_cmp_lt_i16_e32 vcc_lo, 27, v47
	s_cbranch_vccz .LBB23_1570
; %bb.1568:
	global_load_b32 v2, v[0:1], off
	s_mov_b32 s2, 0
	s_waitcnt vmcnt(0)
	v_cvt_f32_u32_e32 v41, v2
	s_branch .LBB23_1571
.LBB23_1569:
	s_mov_b32 s2, -1
                                        ; implicit-def: $vgpr41
	s_branch .LBB23_1574
.LBB23_1570:
	s_mov_b32 s2, -1
                                        ; implicit-def: $vgpr41
.LBB23_1571:
	s_delay_alu instid0(SALU_CYCLE_1)
	s_and_not1_b32 vcc_lo, exec_lo, s2
	s_cbranch_vccnz .LBB23_1573
; %bb.1572:
	global_load_u16 v2, v[0:1], off
	s_waitcnt vmcnt(0)
	v_cvt_f32_u32_e32 v41, v2
.LBB23_1573:
	s_mov_b32 s2, 0
.LBB23_1574:
	s_delay_alu instid0(SALU_CYCLE_1)
	s_and_not1_b32 vcc_lo, exec_lo, s2
	s_cbranch_vccnz .LBB23_1582
; %bb.1575:
	global_load_u8 v2, v[0:1], off
	s_mov_b32 s2, 0
	s_mov_b32 s4, exec_lo
                                        ; implicit-def: $sgpr3
	s_waitcnt vmcnt(0)
	v_cmpx_lt_i16_e32 0x7f, v2
	s_xor_b32 s4, exec_lo, s4
	s_cbranch_execz .LBB23_1596
; %bb.1576:
	s_mov_b32 s2, -1
	s_mov_b32 s5, exec_lo
                                        ; implicit-def: $sgpr3
	v_cmpx_eq_u16_e32 0x80, v2
; %bb.1577:
	s_mov_b32 s3, 0x7f800001
	s_xor_b32 s2, exec_lo, -1
; %bb.1578:
	s_or_b32 exec_lo, exec_lo, s5
	s_delay_alu instid0(SALU_CYCLE_1)
	s_and_b32 s2, s2, exec_lo
	s_or_saveexec_b32 s4, s4
	v_mov_b32_e32 v41, s3
	s_xor_b32 exec_lo, exec_lo, s4
	s_cbranch_execnz .LBB23_1597
.LBB23_1579:
	s_or_b32 exec_lo, exec_lo, s4
	s_and_saveexec_b32 s3, s2
	s_cbranch_execz .LBB23_1581
.LBB23_1580:
	v_and_b32_e32 v3, 0xffff, v2
	v_lshlrev_b32_e32 v2, 24, v2
	s_delay_alu instid0(VALU_DEP_2) | instskip(NEXT) | instid1(VALU_DEP_2)
	v_and_b32_e32 v4, 7, v3
	v_and_b32_e32 v2, 0x80000000, v2
	s_delay_alu instid0(VALU_DEP_2) | instskip(NEXT) | instid1(VALU_DEP_1)
	v_clz_i32_u32_e32 v5, v4
	v_min_u32_e32 v5, 32, v5
	s_delay_alu instid0(VALU_DEP_1) | instskip(SKIP_1) | instid1(VALU_DEP_2)
	v_subrev_nc_u32_e32 v6, 28, v5
	v_sub_nc_u32_e32 v5, 29, v5
	v_lshlrev_b32_e32 v6, v6, v3
	v_bfe_u32 v3, v3, 3, 4
	s_delay_alu instid0(VALU_DEP_2) | instskip(NEXT) | instid1(VALU_DEP_2)
	v_and_b32_e32 v6, 7, v6
	v_cmp_eq_u32_e32 vcc_lo, 0, v3
	s_delay_alu instid0(VALU_DEP_2) | instskip(NEXT) | instid1(VALU_DEP_1)
	v_dual_cndmask_b32 v3, v3, v5 :: v_dual_cndmask_b32 v4, v4, v6
	v_lshl_add_u32 v3, v3, 23, 0x3b800000
	s_delay_alu instid0(VALU_DEP_2) | instskip(NEXT) | instid1(VALU_DEP_1)
	v_lshlrev_b32_e32 v4, 20, v4
	v_or3_b32 v41, v2, v3, v4
.LBB23_1581:
	s_or_b32 exec_lo, exec_lo, s3
.LBB23_1582:
	s_mov_b32 s2, -1
.LBB23_1583:
	s_mov_b32 s3, 0
.LBB23_1584:
	s_delay_alu instid0(SALU_CYCLE_1)
	s_and_b32 vcc_lo, exec_lo, s3
	s_cbranch_vccz .LBB23_1617
; %bb.1585:
	v_cmp_lt_i16_e32 vcc_lo, 22, v47
	s_cbranch_vccz .LBB23_1595
; %bb.1586:
	v_cmp_gt_i16_e32 vcc_lo, 24, v47
	s_cbranch_vccnz .LBB23_1598
; %bb.1587:
	v_cmp_lt_i16_e32 vcc_lo, 24, v47
	s_cbranch_vccz .LBB23_1599
; %bb.1588:
	global_load_u8 v2, v[0:1], off
	s_mov_b32 s3, exec_lo
                                        ; implicit-def: $sgpr2
	s_waitcnt vmcnt(0)
	v_cmpx_lt_i16_e32 0x7f, v2
	s_xor_b32 s3, exec_lo, s3
	s_cbranch_execz .LBB23_1611
; %bb.1589:
	s_mov_b32 s1, -1
	s_mov_b32 s4, exec_lo
                                        ; implicit-def: $sgpr2
	v_cmpx_eq_u16_e32 0x80, v2
; %bb.1590:
	s_mov_b32 s2, 0x7f800001
	s_xor_b32 s1, exec_lo, -1
; %bb.1591:
	s_or_b32 exec_lo, exec_lo, s4
	s_delay_alu instid0(SALU_CYCLE_1)
	s_and_b32 s1, s1, exec_lo
	s_or_saveexec_b32 s3, s3
	v_mov_b32_e32 v41, s2
	s_xor_b32 exec_lo, exec_lo, s3
	s_cbranch_execnz .LBB23_1612
.LBB23_1592:
	s_or_b32 exec_lo, exec_lo, s3
	s_and_saveexec_b32 s2, s1
	s_cbranch_execz .LBB23_1594
.LBB23_1593:
	v_and_b32_e32 v3, 0xffff, v2
	v_lshlrev_b32_e32 v2, 24, v2
	s_delay_alu instid0(VALU_DEP_2) | instskip(NEXT) | instid1(VALU_DEP_2)
	v_and_b32_e32 v4, 3, v3
	v_and_b32_e32 v2, 0x80000000, v2
	s_delay_alu instid0(VALU_DEP_2) | instskip(NEXT) | instid1(VALU_DEP_1)
	v_clz_i32_u32_e32 v5, v4
	v_min_u32_e32 v5, 32, v5
	s_delay_alu instid0(VALU_DEP_1) | instskip(SKIP_1) | instid1(VALU_DEP_2)
	v_subrev_nc_u32_e32 v6, 29, v5
	v_sub_nc_u32_e32 v5, 30, v5
	v_lshlrev_b32_e32 v6, v6, v3
	v_bfe_u32 v3, v3, 2, 5
	s_delay_alu instid0(VALU_DEP_2) | instskip(NEXT) | instid1(VALU_DEP_2)
	v_and_b32_e32 v6, 3, v6
	v_cmp_eq_u32_e32 vcc_lo, 0, v3
	s_delay_alu instid0(VALU_DEP_2) | instskip(NEXT) | instid1(VALU_DEP_1)
	v_dual_cndmask_b32 v3, v3, v5 :: v_dual_cndmask_b32 v4, v4, v6
	v_lshl_add_u32 v3, v3, 23, 0x37800000
	s_delay_alu instid0(VALU_DEP_2) | instskip(NEXT) | instid1(VALU_DEP_1)
	v_lshlrev_b32_e32 v4, 21, v4
	v_or3_b32 v41, v2, v3, v4
.LBB23_1594:
	s_or_b32 exec_lo, exec_lo, s2
	s_mov_b32 s1, 0
	s_branch .LBB23_1600
.LBB23_1595:
	s_mov_b32 s1, -1
                                        ; implicit-def: $vgpr41
	s_branch .LBB23_1606
.LBB23_1596:
	s_or_saveexec_b32 s4, s4
	v_mov_b32_e32 v41, s3
	s_xor_b32 exec_lo, exec_lo, s4
	s_cbranch_execz .LBB23_1579
.LBB23_1597:
	v_cmp_ne_u16_e32 vcc_lo, 0, v2
	v_mov_b32_e32 v41, 0
	s_and_not1_b32 s2, s2, exec_lo
	s_and_b32 s3, vcc_lo, exec_lo
	s_delay_alu instid0(SALU_CYCLE_1)
	s_or_b32 s2, s2, s3
	s_or_b32 exec_lo, exec_lo, s4
	s_and_saveexec_b32 s3, s2
	s_cbranch_execnz .LBB23_1580
	s_branch .LBB23_1581
.LBB23_1598:
	s_mov_b32 s1, -1
                                        ; implicit-def: $vgpr41
	s_branch .LBB23_1603
.LBB23_1599:
	s_mov_b32 s1, -1
                                        ; implicit-def: $vgpr41
.LBB23_1600:
	s_delay_alu instid0(SALU_CYCLE_1)
	s_and_b32 vcc_lo, exec_lo, s1
	s_cbranch_vccz .LBB23_1602
; %bb.1601:
	global_load_u8 v2, v[0:1], off
	s_waitcnt vmcnt(0)
	v_lshlrev_b32_e32 v2, 24, v2
	s_delay_alu instid0(VALU_DEP_1) | instskip(NEXT) | instid1(VALU_DEP_1)
	v_and_b32_e32 v3, 0x7f000000, v2
	v_clz_i32_u32_e32 v4, v3
	v_add_nc_u32_e32 v6, 0x1000000, v3
	v_cmp_ne_u32_e32 vcc_lo, 0, v3
	s_delay_alu instid0(VALU_DEP_3) | instskip(NEXT) | instid1(VALU_DEP_1)
	v_min_u32_e32 v4, 32, v4
	v_sub_nc_u32_e64 v4, v4, 4 clamp
	s_delay_alu instid0(VALU_DEP_1) | instskip(SKIP_1) | instid1(VALU_DEP_2)
	v_lshlrev_b32_e32 v5, v4, v3
	v_lshlrev_b32_e32 v4, 23, v4
	v_lshrrev_b32_e32 v5, 4, v5
	s_delay_alu instid0(VALU_DEP_1) | instskip(SKIP_1) | instid1(VALU_DEP_2)
	v_sub_nc_u32_e32 v4, v5, v4
	v_ashrrev_i32_e32 v5, 8, v6
	v_add_nc_u32_e32 v4, 0x3c000000, v4
	s_delay_alu instid0(VALU_DEP_1) | instskip(NEXT) | instid1(VALU_DEP_1)
	v_and_or_b32 v4, 0x7f800000, v5, v4
	v_cndmask_b32_e32 v3, 0, v4, vcc_lo
	s_delay_alu instid0(VALU_DEP_1)
	v_and_or_b32 v41, 0x80000000, v2, v3
.LBB23_1602:
	s_mov_b32 s1, 0
.LBB23_1603:
	s_delay_alu instid0(SALU_CYCLE_1)
	s_and_not1_b32 vcc_lo, exec_lo, s1
	s_cbranch_vccnz .LBB23_1605
; %bb.1604:
	global_load_u8 v2, v[0:1], off
	s_waitcnt vmcnt(0)
	v_lshlrev_b32_e32 v3, 25, v2
	v_lshlrev_b16 v2, 8, v2
	s_delay_alu instid0(VALU_DEP_2) | instskip(NEXT) | instid1(VALU_DEP_2)
	v_lshrrev_b32_e32 v4, 4, v3
	v_and_or_b32 v5, 0x7f00, v2, 0.5
	v_bfe_i32 v2, v2, 0, 16
	s_delay_alu instid0(VALU_DEP_3) | instskip(NEXT) | instid1(VALU_DEP_1)
	v_or_b32_e32 v4, 0x70000000, v4
	v_dual_add_f32 v5, -0.5, v5 :: v_dual_mul_f32 v4, 0x7800000, v4
	v_cmp_gt_u32_e32 vcc_lo, 0x8000000, v3
	s_delay_alu instid0(VALU_DEP_2) | instskip(NEXT) | instid1(VALU_DEP_1)
	v_cndmask_b32_e32 v3, v4, v5, vcc_lo
	v_and_or_b32 v41, 0x80000000, v2, v3
.LBB23_1605:
	s_mov_b32 s1, 0
	s_mov_b32 s2, -1
.LBB23_1606:
	s_and_not1_b32 vcc_lo, exec_lo, s1
	s_mov_b32 s1, 0
	s_cbranch_vccnz .LBB23_1617
; %bb.1607:
	v_cmp_lt_i16_e32 vcc_lo, 14, v47
	s_cbranch_vccz .LBB23_1610
; %bb.1608:
	v_cmp_eq_u16_e32 vcc_lo, 15, v47
	s_cbranch_vccz .LBB23_1613
; %bb.1609:
	global_load_u16 v2, v[0:1], off
	s_mov_b32 s0, 0
	s_mov_b32 s2, -1
	s_waitcnt vmcnt(0)
	v_lshlrev_b32_e32 v41, 16, v2
	s_branch .LBB23_1615
.LBB23_1610:
	s_mov_b32 s1, -1
	s_branch .LBB23_1614
.LBB23_1611:
	s_or_saveexec_b32 s3, s3
	v_mov_b32_e32 v41, s2
	s_xor_b32 exec_lo, exec_lo, s3
	s_cbranch_execz .LBB23_1592
.LBB23_1612:
	v_cmp_ne_u16_e32 vcc_lo, 0, v2
	v_mov_b32_e32 v41, 0
	s_and_not1_b32 s1, s1, exec_lo
	s_and_b32 s2, vcc_lo, exec_lo
	s_delay_alu instid0(SALU_CYCLE_1)
	s_or_b32 s1, s1, s2
	s_or_b32 exec_lo, exec_lo, s3
	s_and_saveexec_b32 s2, s1
	s_cbranch_execnz .LBB23_1593
	s_branch .LBB23_1594
.LBB23_1613:
	s_mov_b32 s0, -1
.LBB23_1614:
                                        ; implicit-def: $vgpr41
.LBB23_1615:
	s_and_b32 vcc_lo, exec_lo, s1
	s_mov_b32 s1, 0
	s_cbranch_vccz .LBB23_1617
; %bb.1616:
	v_cmp_ne_u16_e64 s0, 11, v47
	s_mov_b32 s1, -1
                                        ; implicit-def: $vgpr41
.LBB23_1617:
	s_delay_alu instid0(VALU_DEP_1)
	s_and_b32 vcc_lo, exec_lo, s0
	s_cbranch_vccnz .LBB23_1649
; %bb.1618:
	s_and_not1_b32 vcc_lo, exec_lo, s1
	s_cbranch_vccnz .LBB23_1620
.LBB23_1619:
	global_load_u8 v2, v[0:1], off
	s_mov_b32 s2, -1
	s_waitcnt vmcnt(0)
	v_cmp_ne_u16_e32 vcc_lo, 0, v2
	v_cndmask_b32_e64 v41, 0, 1.0, vcc_lo
.LBB23_1620:
.LBB23_1621:
	s_and_not1_b32 vcc_lo, exec_lo, s2
	s_cbranch_vccnz .LBB23_1781
.LBB23_1622:
                                        ; implicit-def: $vgpr58
	s_mov_b32 s0, exec_lo
	s_waitcnt vmcnt(0)
	s_delay_alu instid0(VALU_DEP_1)
	v_cmpx_ge_f32_e32 0x40a00000, v41
	s_xor_b32 s43, exec_lo, s0
	s_cbranch_execz .LBB23_1628
; %bb.1623:
	v_mov_b32_e32 v58, 0xff800000
	s_mov_b32 s44, exec_lo
	v_cmpx_neq_f32_e32 0, v41
	s_cbranch_execz .LBB23_1627
; %bb.1624:
	v_mov_b32_e32 v58, 0x7fc00000
	s_mov_b32 s45, exec_lo
	v_cmpx_nge_f32_e32 0, v41
	s_cbranch_execz .LBB23_1626
; %bb.1625:
	v_mul_f32_e32 v0, v41, v41
	s_getpc_b64 s[0:1]
	s_add_u32 s0, s0, _Z17bessel_j1_forwardIfET_S0_@rel32@lo+4
	s_addc_u32 s1, s1, _Z17bessel_j1_forwardIfET_S0_@rel32@hi+12
	s_delay_alu instid0(VALU_DEP_1) | instskip(SKIP_1) | instid1(VALU_DEP_2)
	v_fmaak_f32 v1, 0, v0, 0x4414934d
	v_fmaak_f32 v2, 0, v0, 0x4e9695f3
	;; [unrolled: 1-line block ×3, first 2 shown]
	s_delay_alu instid0(VALU_DEP_2) | instskip(NEXT) | instid1(VALU_DEP_2)
	v_fmaak_f32 v2, v0, v2, 0xd316b96b
	v_fmaak_f32 v1, v0, v1, 0x4c8c277d
	s_delay_alu instid0(VALU_DEP_2) | instskip(NEXT) | instid1(VALU_DEP_2)
	v_fmaak_f32 v2, v0, v2, 0x56d04aa6
	v_fmaak_f32 v1, v0, v1, 0x508bc61d
	s_delay_alu instid0(VALU_DEP_2) | instskip(NEXT) | instid1(VALU_DEP_2)
	v_fmaak_f32 v2, v0, v2, 0xd9e700d2
	v_fmaak_f32 v1, v0, v1, 0x5461faf8
	s_delay_alu instid0(VALU_DEP_2) | instskip(NEXT) | instid1(VALU_DEP_2)
	v_fmaak_f32 v2, v0, v2, 0x5c33cd68
	v_fmaak_f32 v1, v0, v1, 0x580d1937
	s_delay_alu instid0(VALU_DEP_2) | instskip(NEXT) | instid1(VALU_DEP_2)
	v_fmaak_f32 v2, v0, v2, 0xdd2cf20b
	v_fmaak_f32 v1, v0, v1, 0x5b741f1e
	s_delay_alu instid0(VALU_DEP_1) | instskip(NEXT) | instid1(VALU_DEP_1)
	v_fmaak_f32 v0, v0, v1, 0x5e5c878d
	v_div_scale_f32 v1, null, v0, v0, v2
	v_div_scale_f32 v5, vcc_lo, v2, v0, v2
	s_delay_alu instid0(VALU_DEP_2) | instskip(SKIP_2) | instid1(VALU_DEP_1)
	v_rcp_f32_e32 v3, v1
	s_waitcnt_depctr 0xfff
	v_fma_f32 v4, -v1, v3, 1.0
	v_fmac_f32_e32 v3, v4, v3
	s_delay_alu instid0(VALU_DEP_1) | instskip(NEXT) | instid1(VALU_DEP_1)
	v_mul_f32_e32 v4, v5, v3
	v_fma_f32 v6, -v1, v4, v5
	s_delay_alu instid0(VALU_DEP_1) | instskip(NEXT) | instid1(VALU_DEP_1)
	v_fmac_f32_e32 v4, v6, v3
	v_fma_f32 v1, -v1, v4, v5
	s_delay_alu instid0(VALU_DEP_1) | instskip(NEXT) | instid1(VALU_DEP_1)
	v_div_fmas_f32 v1, v1, v3, v4
	v_div_fixup_f32 v59, v1, v0, v2
	v_mov_b32_e32 v0, v41
	s_swappc_b64 s[30:31], s[0:1]
	v_div_scale_f32 v1, null, v41, v41, -1.0
	v_cmp_gt_f32_e32 vcc_lo, 0x800000, v41
	v_div_scale_f32 v5, s0, -1.0, v41, -1.0
	s_delay_alu instid0(VALU_DEP_3) | instskip(SKIP_3) | instid1(VALU_DEP_1)
	v_rcp_f32_e32 v3, v1
	v_cndmask_b32_e64 v2, 1.0, 0x4f800000, vcc_lo
	s_waitcnt_depctr 0xfff
	v_fma_f32 v4, -v1, v3, 1.0
	v_dual_mul_f32 v2, v41, v2 :: v_dual_fmac_f32 v3, v4, v3
	s_delay_alu instid0(VALU_DEP_1) | instskip(SKIP_3) | instid1(VALU_DEP_2)
	v_log_f32_e32 v2, v2
	s_waitcnt_depctr 0xfff
	v_mul_f32_e32 v4, 0x3f317217, v2
	v_cmp_gt_f32_e64 s1, 0x7f800000, |v2|
	v_fma_f32 v7, 0x3f317217, v2, -v4
	s_delay_alu instid0(VALU_DEP_1) | instskip(NEXT) | instid1(VALU_DEP_1)
	v_dual_mul_f32 v6, v5, v3 :: v_dual_fmamk_f32 v7, v2, 0x3377d1cf, v7
	v_fma_f32 v8, -v1, v6, v5
	s_delay_alu instid0(VALU_DEP_2) | instskip(NEXT) | instid1(VALU_DEP_2)
	v_add_f32_e32 v4, v4, v7
	v_fmac_f32_e32 v6, v8, v3
	s_delay_alu instid0(VALU_DEP_2) | instskip(NEXT) | instid1(VALU_DEP_2)
	v_cndmask_b32_e64 v2, v2, v4, s1
	v_fma_f32 v1, -v1, v6, v5
	v_cndmask_b32_e64 v4, 0, 0x41b17218, vcc_lo
	s_mov_b32 vcc_lo, s0
	s_delay_alu instid0(VALU_DEP_2) | instskip(NEXT) | instid1(VALU_DEP_2)
	v_div_fmas_f32 v1, v1, v3, v6
	v_sub_f32_e32 v2, v2, v4
	s_delay_alu instid0(VALU_DEP_2) | instskip(NEXT) | instid1(VALU_DEP_1)
	v_div_fixup_f32 v1, v1, v41, -1.0
	v_fmac_f32_e32 v1, v2, v0
	s_delay_alu instid0(VALU_DEP_1) | instskip(NEXT) | instid1(VALU_DEP_1)
	v_mul_f32_e32 v58, 0x3f22f983, v1
	v_fmac_f32_e32 v58, v41, v59
.LBB23_1626:
	s_or_b32 exec_lo, exec_lo, s45
.LBB23_1627:
	s_delay_alu instid0(SALU_CYCLE_1)
	s_or_b32 exec_lo, exec_lo, s44
                                        ; implicit-def: $vgpr41
.LBB23_1628:
	s_and_not1_saveexec_b32 s3, s43
	s_cbranch_execz .LBB23_1638
; %bb.1629:
	v_add_f32_e32 v0, 0xc016cbe4, v41
                                        ; implicit-def: $vgpr3
                                        ; implicit-def: $vgpr2
	s_delay_alu instid0(VALU_DEP_1) | instskip(SKIP_1) | instid1(VALU_DEP_2)
	v_and_b32_e32 v1, 0x7fffffff, v0
	v_cmp_ngt_f32_e64 s4, 0x48000000, |v0|
	v_lshrrev_b32_e32 v5, 23, v1
	s_delay_alu instid0(VALU_DEP_2) | instskip(NEXT) | instid1(SALU_CYCLE_1)
	s_and_saveexec_b32 s0, s4
	s_xor_b32 s5, exec_lo, s0
	s_cbranch_execz .LBB23_1631
; %bb.1630:
	s_mov_b32 s0, 0x7fffff
	v_mov_b32_e32 v4, 0
	v_and_or_b32 v13, v1, s0, 0x800000
	v_add_nc_u32_e32 v11, 0xffffff88, v5
	s_delay_alu instid0(VALU_DEP_2) | instskip(NEXT) | instid1(VALU_DEP_2)
	v_mad_u64_u32 v[2:3], null, 0xfe5163ab, v13, 0
	v_cmp_lt_u32_e32 vcc_lo, 63, v11
	v_cndmask_b32_e64 v12, 0, 0xffffffc0, vcc_lo
	s_delay_alu instid0(VALU_DEP_3) | instskip(NEXT) | instid1(VALU_DEP_1)
	v_mad_u64_u32 v[6:7], null, 0x3c439041, v13, v[3:4]
	v_dual_mov_b32 v3, v7 :: v_dual_add_nc_u32 v12, v12, v11
	s_delay_alu instid0(VALU_DEP_1) | instskip(NEXT) | instid1(VALU_DEP_2)
	v_cmp_lt_u32_e64 s0, 31, v12
	v_mad_u64_u32 v[7:8], null, 0xdb629599, v13, v[3:4]
	s_delay_alu instid0(VALU_DEP_2) | instskip(NEXT) | instid1(VALU_DEP_1)
	v_cndmask_b32_e64 v14, 0, 0xffffffe0, s0
	v_dual_mov_b32 v3, v8 :: v_dual_add_nc_u32 v14, v14, v12
	s_delay_alu instid0(VALU_DEP_3) | instskip(NEXT) | instid1(VALU_DEP_2)
	v_cndmask_b32_e32 v2, v7, v2, vcc_lo
	v_cmp_lt_u32_e64 s1, 31, v14
	s_delay_alu instid0(VALU_DEP_3) | instskip(NEXT) | instid1(VALU_DEP_1)
	v_mad_u64_u32 v[8:9], null, 0xf534ddc0, v13, v[3:4]
	v_dual_mov_b32 v3, v9 :: v_dual_cndmask_b32 v6, v8, v6
	s_delay_alu instid0(VALU_DEP_1) | instskip(NEXT) | instid1(VALU_DEP_2)
	v_mad_u64_u32 v[9:10], null, 0xfc2757d1, v13, v[3:4]
	v_cndmask_b32_e64 v2, v6, v2, s0
	s_delay_alu instid0(VALU_DEP_2) | instskip(NEXT) | instid1(VALU_DEP_1)
	v_mov_b32_e32 v3, v10
	v_mad_u64_u32 v[10:11], null, 0x4e441529, v13, v[3:4]
	s_delay_alu instid0(VALU_DEP_1) | instskip(NEXT) | instid1(VALU_DEP_1)
	v_mov_b32_e32 v3, v11
	v_mad_u64_u32 v[11:12], null, 0xa2f9836e, v13, v[3:4]
	v_cndmask_b32_e64 v3, 0, 0xffffffe0, s1
	s_delay_alu instid0(VALU_DEP_1) | instskip(NEXT) | instid1(VALU_DEP_3)
	v_dual_cndmask_b32 v4, v10, v8 :: v_dual_add_nc_u32 v3, v3, v14
	v_dual_cndmask_b32 v11, v11, v9 :: v_dual_cndmask_b32 v10, v12, v10
	v_cndmask_b32_e32 v9, v9, v7, vcc_lo
	s_delay_alu instid0(VALU_DEP_3) | instskip(NEXT) | instid1(VALU_DEP_3)
	v_cmp_eq_u32_e64 s2, 0, v3
	v_cndmask_b32_e64 v8, v11, v4, s0
	s_delay_alu instid0(VALU_DEP_4) | instskip(NEXT) | instid1(VALU_DEP_4)
	v_cndmask_b32_e64 v10, v10, v11, s0
	v_cndmask_b32_e64 v4, v4, v9, s0
	v_sub_nc_u32_e32 v11, 32, v3
	v_cndmask_b32_e64 v9, v9, v6, s0
	s_delay_alu instid0(VALU_DEP_4) | instskip(NEXT) | instid1(VALU_DEP_4)
	v_cndmask_b32_e64 v10, v10, v8, s1
	v_cndmask_b32_e64 v8, v8, v4, s1
	s_delay_alu instid0(VALU_DEP_3) | instskip(SKIP_1) | instid1(VALU_DEP_3)
	v_cndmask_b32_e64 v4, v4, v9, s1
	v_cndmask_b32_e64 v2, v9, v2, s1
	v_alignbit_b32 v12, v10, v8, v11
	s_delay_alu instid0(VALU_DEP_3) | instskip(NEXT) | instid1(VALU_DEP_3)
	v_alignbit_b32 v13, v8, v4, v11
	v_alignbit_b32 v11, v4, v2, v11
	s_delay_alu instid0(VALU_DEP_3) | instskip(NEXT) | instid1(VALU_DEP_3)
	v_cndmask_b32_e64 v3, v12, v10, s2
	v_cndmask_b32_e64 v7, v13, v8, s2
	s_delay_alu instid0(VALU_DEP_3) | instskip(NEXT) | instid1(VALU_DEP_3)
	v_cndmask_b32_e64 v4, v11, v4, s2
	v_bfe_u32 v8, v3, 29, 1
	s_delay_alu instid0(VALU_DEP_3) | instskip(NEXT) | instid1(VALU_DEP_3)
	v_alignbit_b32 v6, v3, v7, 30
	v_alignbit_b32 v7, v7, v4, 30
	;; [unrolled: 1-line block ×3, first 2 shown]
	s_delay_alu instid0(VALU_DEP_4) | instskip(NEXT) | instid1(VALU_DEP_1)
	v_sub_nc_u32_e32 v10, 0, v8
	v_xor_b32_e32 v9, v6, v10
	v_cmp_ne_u32_e32 vcc_lo, v6, v10
	v_xor_b32_e32 v4, v7, v10
	v_xor_b32_e32 v2, v2, v10
	s_delay_alu instid0(VALU_DEP_4) | instskip(NEXT) | instid1(VALU_DEP_1)
	v_clz_i32_u32_e32 v12, v9
	v_add_nc_u32_e32 v11, 1, v12
	s_delay_alu instid0(VALU_DEP_1) | instskip(NEXT) | instid1(VALU_DEP_1)
	v_cndmask_b32_e32 v6, 33, v11, vcc_lo
	v_sub_nc_u32_e32 v7, 32, v6
	s_delay_alu instid0(VALU_DEP_1) | instskip(SKIP_3) | instid1(VALU_DEP_3)
	v_alignbit_b32 v9, v9, v4, v7
	v_alignbit_b32 v2, v4, v2, v7
	v_lshrrev_b32_e32 v4, 29, v3
	v_lshrrev_b32_e32 v3, 30, v3
	v_alignbit_b32 v7, v9, v2, 9
	s_delay_alu instid0(VALU_DEP_3) | instskip(SKIP_1) | instid1(VALU_DEP_4)
	v_lshlrev_b32_e32 v4, 31, v4
	v_alignbit_b32 v9, v6, v9, 9
	v_add_nc_u32_e32 v3, v8, v3
	s_delay_alu instid0(VALU_DEP_4) | instskip(NEXT) | instid1(VALU_DEP_3)
	v_clz_i32_u32_e32 v10, v7
	v_or_b32_e32 v9, v9, v4
	v_or_b32_e32 v4, 0x33800000, v4
	s_delay_alu instid0(VALU_DEP_3) | instskip(NEXT) | instid1(VALU_DEP_3)
	v_min_u32_e32 v10, 32, v10
	v_xor_b32_e32 v9, 1.0, v9
	s_delay_alu instid0(VALU_DEP_2) | instskip(SKIP_1) | instid1(VALU_DEP_3)
	v_sub_nc_u32_e32 v11, 31, v10
	v_add_lshl_u32 v6, v10, v6, 23
	v_mul_f32_e32 v10, 0x3fc90fda, v9
	s_delay_alu instid0(VALU_DEP_3) | instskip(NEXT) | instid1(VALU_DEP_3)
	v_alignbit_b32 v2, v7, v2, v11
	v_sub_nc_u32_e32 v4, v4, v6
	s_delay_alu instid0(VALU_DEP_3) | instskip(NEXT) | instid1(VALU_DEP_3)
	v_fma_f32 v6, 0x3fc90fda, v9, -v10
	v_lshrrev_b32_e32 v2, 9, v2
	s_delay_alu instid0(VALU_DEP_2) | instskip(NEXT) | instid1(VALU_DEP_2)
	v_fmamk_f32 v6, v9, 0x33a22168, v6
	v_or_b32_e32 v2, v4, v2
	s_delay_alu instid0(VALU_DEP_1) | instskip(NEXT) | instid1(VALU_DEP_1)
	v_fmac_f32_e32 v6, 0x3fc90fda, v2
	v_add_f32_e32 v2, v10, v6
	s_or_saveexec_b32 s0, s5
	v_mul_f32_e64 v7, 0x3f22f983, |v0|
	s_xor_b32 exec_lo, exec_lo, s0
	s_branch .LBB23_1632
.LBB23_1631:
	s_or_saveexec_b32 s0, s5
	v_mul_f32_e64 v7, 0x3f22f983, |v0|
	s_xor_b32 exec_lo, exec_lo, s0
.LBB23_1632:
	s_delay_alu instid0(VALU_DEP_1) | instskip(NEXT) | instid1(VALU_DEP_1)
	v_rndne_f32_e32 v3, v7
	v_fma_f32 v2, 0xbfc90fda, v3, |v0|
	s_delay_alu instid0(VALU_DEP_1) | instskip(NEXT) | instid1(VALU_DEP_1)
	v_fmamk_f32 v2, v3, 0xb3a22168, v2
	v_fmamk_f32 v2, v3, 0xa7c234c4, v2
	v_cvt_i32_f32_e32 v3, v3
; %bb.1633:
	s_or_b32 exec_lo, exec_lo, s0
                                        ; implicit-def: $vgpr6
                                        ; implicit-def: $vgpr4
	s_and_saveexec_b32 s0, s4
	s_delay_alu instid0(SALU_CYCLE_1)
	s_xor_b32 s4, exec_lo, s0
	s_cbranch_execz .LBB23_1635
; %bb.1634:
	s_mov_b32 s0, 0x7fffff
	v_mov_b32_e32 v8, 0
	v_and_or_b32 v15, v1, s0, 0x800000
	s_delay_alu instid0(VALU_DEP_1) | instskip(NEXT) | instid1(VALU_DEP_1)
	v_mad_u64_u32 v[6:7], null, 0xfe5163ab, v15, 0
	v_mad_u64_u32 v[9:10], null, 0x3c439041, v15, v[7:8]
	s_delay_alu instid0(VALU_DEP_1) | instskip(NEXT) | instid1(VALU_DEP_1)
	v_mov_b32_e32 v7, v10
	v_mad_u64_u32 v[10:11], null, 0xdb629599, v15, v[7:8]
	s_delay_alu instid0(VALU_DEP_1) | instskip(NEXT) | instid1(VALU_DEP_1)
	v_mov_b32_e32 v7, v11
	v_mad_u64_u32 v[11:12], null, 0xf534ddc0, v15, v[7:8]
	s_delay_alu instid0(VALU_DEP_1) | instskip(NEXT) | instid1(VALU_DEP_1)
	v_dual_mov_b32 v7, v12 :: v_dual_add_nc_u32 v12, 0xffffff88, v5
	v_mad_u64_u32 v[4:5], null, 0xfc2757d1, v15, v[7:8]
	s_delay_alu instid0(VALU_DEP_2) | instskip(SKIP_1) | instid1(VALU_DEP_3)
	v_cmp_lt_u32_e32 vcc_lo, 63, v12
	v_cndmask_b32_e64 v13, 0, 0xffffffc0, vcc_lo
	v_dual_mov_b32 v7, v5 :: v_dual_cndmask_b32 v6, v10, v6
	s_delay_alu instid0(VALU_DEP_2) | instskip(NEXT) | instid1(VALU_DEP_2)
	v_add_nc_u32_e32 v5, v13, v12
	v_mad_u64_u32 v[12:13], null, 0x4e441529, v15, v[7:8]
	s_delay_alu instid0(VALU_DEP_2) | instskip(NEXT) | instid1(VALU_DEP_2)
	v_cmp_lt_u32_e64 s0, 31, v5
	v_mov_b32_e32 v7, v13
	s_delay_alu instid0(VALU_DEP_2) | instskip(NEXT) | instid1(VALU_DEP_1)
	v_cndmask_b32_e64 v14, 0, 0xffffffe0, s0
	v_add_nc_u32_e32 v5, v14, v5
	s_delay_alu instid0(VALU_DEP_3) | instskip(SKIP_1) | instid1(VALU_DEP_3)
	v_mad_u64_u32 v[13:14], null, 0xa2f9836e, v15, v[7:8]
	v_cndmask_b32_e32 v8, v12, v11, vcc_lo
	v_cmp_lt_u32_e64 s1, 31, v5
	s_delay_alu instid0(VALU_DEP_3) | instskip(NEXT) | instid1(VALU_DEP_2)
	v_cndmask_b32_e32 v13, v13, v4, vcc_lo
	v_cndmask_b32_e64 v7, 0, 0xffffffe0, s1
	v_cndmask_b32_e32 v12, v14, v12, vcc_lo
	s_delay_alu instid0(VALU_DEP_2) | instskip(SKIP_2) | instid1(VALU_DEP_4)
	v_dual_cndmask_b32 v4, v4, v10 :: v_dual_add_nc_u32 v5, v7, v5
	v_cndmask_b32_e32 v7, v11, v9, vcc_lo
	v_cndmask_b32_e64 v9, v13, v8, s0
	v_cndmask_b32_e64 v11, v12, v13, s0
	s_delay_alu instid0(VALU_DEP_4)
	v_cndmask_b32_e64 v8, v8, v4, s0
	v_sub_nc_u32_e32 v12, 32, v5
	v_cndmask_b32_e64 v4, v4, v7, s0
	v_cmp_eq_u32_e64 s2, 0, v5
	v_cndmask_b32_e64 v11, v11, v9, s1
	v_cndmask_b32_e64 v9, v9, v8, s1
	;; [unrolled: 1-line block ×4, first 2 shown]
	s_delay_alu instid0(VALU_DEP_3) | instskip(NEXT) | instid1(VALU_DEP_3)
	v_alignbit_b32 v13, v11, v9, v12
	v_cndmask_b32_e64 v4, v4, v6, s1
	s_delay_alu instid0(VALU_DEP_3) | instskip(NEXT) | instid1(VALU_DEP_3)
	v_alignbit_b32 v14, v9, v8, v12
	v_cndmask_b32_e64 v5, v13, v11, s2
	;; [unrolled: 3-line block ×3, first 2 shown]
	s_delay_alu instid0(VALU_DEP_3) | instskip(NEXT) | instid1(VALU_DEP_3)
	v_bfe_u32 v10, v5, 29, 1
	v_cndmask_b32_e64 v8, v12, v8, s2
	s_delay_alu instid0(VALU_DEP_3) | instskip(NEXT) | instid1(VALU_DEP_3)
	v_alignbit_b32 v7, v5, v9, 30
	v_sub_nc_u32_e32 v11, 0, v10
	s_delay_alu instid0(VALU_DEP_3) | instskip(SKIP_1) | instid1(VALU_DEP_3)
	v_alignbit_b32 v9, v9, v8, 30
	v_alignbit_b32 v4, v8, v4, 30
	v_xor_b32_e32 v6, v7, v11
	v_cmp_ne_u32_e32 vcc_lo, v7, v11
	s_delay_alu instid0(VALU_DEP_4) | instskip(NEXT) | instid1(VALU_DEP_4)
	v_xor_b32_e32 v8, v9, v11
	v_xor_b32_e32 v4, v4, v11
	s_delay_alu instid0(VALU_DEP_4) | instskip(NEXT) | instid1(VALU_DEP_1)
	v_clz_i32_u32_e32 v13, v6
	v_add_nc_u32_e32 v12, 1, v13
	s_delay_alu instid0(VALU_DEP_1) | instskip(NEXT) | instid1(VALU_DEP_1)
	v_cndmask_b32_e32 v7, 33, v12, vcc_lo
	v_sub_nc_u32_e32 v9, 32, v7
	s_delay_alu instid0(VALU_DEP_1) | instskip(SKIP_3) | instid1(VALU_DEP_3)
	v_alignbit_b32 v6, v6, v8, v9
	v_alignbit_b32 v4, v8, v4, v9
	v_lshrrev_b32_e32 v8, 29, v5
	v_lshrrev_b32_e32 v5, 30, v5
	v_alignbit_b32 v9, v6, v4, 9
	s_delay_alu instid0(VALU_DEP_3) | instskip(SKIP_1) | instid1(VALU_DEP_3)
	v_lshlrev_b32_e32 v8, 31, v8
	v_alignbit_b32 v6, v7, v6, 9
	v_clz_i32_u32_e32 v11, v9
	s_delay_alu instid0(VALU_DEP_2) | instskip(SKIP_1) | instid1(VALU_DEP_3)
	v_or_b32_e32 v6, v6, v8
	v_or_b32_e32 v8, 0x33800000, v8
	v_min_u32_e32 v11, 32, v11
	s_delay_alu instid0(VALU_DEP_3) | instskip(NEXT) | instid1(VALU_DEP_2)
	v_xor_b32_e32 v6, 1.0, v6
	v_sub_nc_u32_e32 v12, 31, v11
	v_add_lshl_u32 v7, v11, v7, 23
	s_delay_alu instid0(VALU_DEP_3) | instskip(NEXT) | instid1(VALU_DEP_3)
	v_mul_f32_e32 v11, 0x3fc90fda, v6
	v_alignbit_b32 v4, v9, v4, v12
	s_delay_alu instid0(VALU_DEP_3) | instskip(NEXT) | instid1(VALU_DEP_3)
	v_sub_nc_u32_e32 v7, v8, v7
	v_fma_f32 v8, 0x3fc90fda, v6, -v11
	s_delay_alu instid0(VALU_DEP_3) | instskip(NEXT) | instid1(VALU_DEP_2)
	v_lshrrev_b32_e32 v4, 9, v4
	v_fmamk_f32 v6, v6, 0x33a22168, v8
	s_delay_alu instid0(VALU_DEP_2) | instskip(NEXT) | instid1(VALU_DEP_1)
	v_or_b32_e32 v4, v7, v4
                                        ; implicit-def: $vgpr7
	v_fmac_f32_e32 v6, 0x3fc90fda, v4
	s_delay_alu instid0(VALU_DEP_1)
	v_add_f32_e32 v4, v11, v6
	v_add_nc_u32_e32 v6, v10, v5
	s_and_not1_saveexec_b32 s0, s4
	s_cbranch_execnz .LBB23_1636
	s_branch .LBB23_1637
.LBB23_1635:
	s_and_not1_saveexec_b32 s0, s4
.LBB23_1636:
	v_rndne_f32_e32 v5, v7
	s_delay_alu instid0(VALU_DEP_1) | instskip(SKIP_1) | instid1(VALU_DEP_2)
	v_fma_f32 v4, 0xbfc90fda, v5, |v0|
	v_cvt_i32_f32_e32 v6, v5
	v_fmamk_f32 v4, v5, 0xb3a22168, v4
	s_delay_alu instid0(VALU_DEP_1)
	v_fmamk_f32 v4, v5, 0xa7c234c4, v4
.LBB23_1637:
	s_or_b32 exec_lo, exec_lo, s0
	v_div_scale_f32 v5, null, v41, v41, 0x40a00000
	v_div_scale_f32 v9, vcc_lo, 0x40a00000, v41, 0x40a00000
	s_mov_b32 s0, 0xb94c1982
	s_delay_alu instid0(VALU_DEP_2) | instskip(SKIP_4) | instid1(VALU_DEP_1)
	v_rcp_f32_e32 v7, v5
	s_mov_b32 s1, 0x37d75334
	v_xor_b32_e32 v1, v1, v0
	s_waitcnt_depctr 0xfff
	v_fma_f32 v8, -v5, v7, 1.0
	v_fmac_f32_e32 v7, v8, v7
	s_delay_alu instid0(VALU_DEP_1) | instskip(NEXT) | instid1(VALU_DEP_1)
	v_mul_f32_e32 v8, v9, v7
	v_fma_f32 v10, -v5, v8, v9
	s_delay_alu instid0(VALU_DEP_1) | instskip(SKIP_1) | instid1(VALU_DEP_2)
	v_fmac_f32_e32 v8, v10, v7
	v_mul_f32_e32 v10, v4, v4
	v_fma_f32 v5, -v5, v8, v9
	s_delay_alu instid0(VALU_DEP_2) | instskip(SKIP_1) | instid1(VALU_DEP_3)
	v_fmaak_f32 v19, s0, v10, 0x3c0881c4
	v_fmaak_f32 v20, s1, v10, 0xbab64f3b
	v_div_fmas_f32 v5, v5, v7, v8
	v_mul_f32_e32 v7, v2, v2
	s_delay_alu instid0(VALU_DEP_4)
	v_fmaak_f32 v19, v10, v19, 0xbe2aaa9d
	v_mul_f32_e32 v16, 0x4f800000, v41
	v_fmaak_f32 v20, v10, v20, 0x3d2aabf7
	v_div_fixup_f32 v5, v5, v41, 0x40a00000
	v_fmaak_f32 v17, s0, v7, 0x3c0881c4
	v_cmp_gt_f32_e64 s0, 0xf800000, v41
	v_fmaak_f32 v18, s1, v7, 0xbab64f3b
	v_mul_f32_e32 v19, v10, v19
	v_dual_mul_f32 v9, v5, v5 :: v_dual_and_b32 v8, 1, v3
	v_lshlrev_b32_e32 v3, 30, v3
	v_and_b32_e32 v11, 1, v6
	v_cndmask_b32_e64 v16, v41, v16, s0
	s_delay_alu instid0(VALU_DEP_4) | instskip(SKIP_3) | instid1(VALU_DEP_4)
	v_fmaak_f32 v14, 0, v9, 0x3a47c962
	v_fmaak_f32 v13, 0, v9, 0x3a15c4d9
	;; [unrolled: 1-line block ×3, first 2 shown]
	v_dual_fmaak_f32 v15, 0, v9, 0x42947983 :: v_dual_lshlrev_b32 v6, 30, v6
	v_fmaak_f32 v14, v9, v14, 0x3d95ca45
	s_delay_alu instid0(VALU_DEP_4) | instskip(SKIP_2) | instid1(VALU_DEP_3)
	v_dual_fmaak_f32 v13, v9, v13, 0x3d8cfeeb :: v_dual_fmac_f32 v4, v4, v19
	v_sqrt_f32_e32 v24, v16
	v_fmaak_f32 v17, v7, v17, 0xbe2aaa9d
	v_fmaak_f32 v14, v9, v14, 0x3f9047f6
	s_delay_alu instid0(VALU_DEP_3)
	v_fmaak_f32 v13, v9, v13, 0x3f8d754e
	v_fmaak_f32 v12, v9, v12, 0x409f6dae
	;; [unrolled: 1-line block ×3, first 2 shown]
	v_mul_f32_e32 v17, v7, v17
	v_fmaak_f32 v15, v9, v15, 0x44840e5d
	v_fmaak_f32 v20, v10, v20, 0xbf000004
	v_cmp_eq_u32_e64 s2, 0, v8
	v_fmaak_f32 v18, v7, v18, 0xbf000004
	v_fmac_f32_e32 v2, v2, v17
	v_fmaak_f32 v13, v9, v13, 0x40a25d18
	v_fmaak_f32 v15, v9, v15, 0x459bd349
	v_fma_f32 v10, v10, v20, 1.0
	v_fma_f32 v7, v7, v18, 1.0
	v_and_b32_e32 v3, 0x80000000, v3
	v_dual_fmaak_f32 v14, v9, v14, 0x40a39628 :: v_dual_add_nc_u32 v19, -1, v24
	v_fmaak_f32 v13, v9, v13, 0x410665cf
	v_fmaak_f32 v15, v9, v15, 0x46156947
	v_cndmask_b32_e64 v2, v7, v2, s2
	v_cmp_eq_u32_e64 s2, 0, v11
	v_fmaak_f32 v14, v9, v14, 0x4106c8e4
	v_fmaak_f32 v13, v9, v13, 0x40a6b6ea
	;; [unrolled: 1-line block ×3, first 2 shown]
	v_fma_f32 v7, -v19, v24, v16
	v_cndmask_b32_e64 v4, -v4, v10, s2
	v_fmaak_f32 v14, v9, v14, 0x40a6dd51
	v_fma_f32 v13, v9, v13, 1.0
	v_fmaak_f32 v15, v9, v15, 0x4530a316
	v_xor3_b32 v1, v1, v3, v2
	v_and_b32_e32 v6, 0x80000000, v6
	v_fma_f32 v14, v9, v14, 1.0
	s_delay_alu instid0(VALU_DEP_4) | instskip(NEXT) | instid1(VALU_DEP_3)
	v_fmaak_f32 v15, v9, v15, 0x43a80bfb
	v_xor_b32_e32 v4, v6, v4
	s_delay_alu instid0(VALU_DEP_3) | instskip(SKIP_1) | instid1(VALU_DEP_1)
	v_div_scale_f32 v27, vcc_lo, v14, v13, v14
	v_fmaak_f32 v12, v9, v12, 0x4297a5cd
	v_fmaak_f32 v12, v9, v12, 0x43b763ca
	s_delay_alu instid0(VALU_DEP_1) | instskip(NEXT) | instid1(VALU_DEP_1)
	v_fmaak_f32 v12, v9, v12, 0x4431b6ce
	v_fmaak_f32 v12, v9, v12, 0x44155f56
	s_delay_alu instid0(VALU_DEP_1) | instskip(NEXT) | instid1(VALU_DEP_1)
	v_fmaak_f32 v12, v9, v12, 0x4353b052
	v_fmaak_f32 v9, v9, v12, 0x41c9a7fa
	v_div_scale_f32 v12, null, v13, v13, v14
	s_delay_alu instid0(VALU_DEP_2) | instskip(NEXT) | instid1(VALU_DEP_2)
	v_div_scale_f32 v21, null, v15, v15, v9
	v_rcp_f32_e32 v22, v12
	s_delay_alu instid0(VALU_DEP_1) | instskip(SKIP_3) | instid1(VALU_DEP_2)
	v_rcp_f32_e32 v23, v21
	s_waitcnt_depctr 0xfff
	v_fma_f32 v25, -v12, v22, 1.0
	v_fma_f32 v26, -v21, v23, 1.0
	v_fmac_f32_e32 v22, v25, v22
	v_div_scale_f32 v25, s1, v9, v15, v9
	s_delay_alu instid0(VALU_DEP_3) | instskip(NEXT) | instid1(VALU_DEP_1)
	v_dual_fmac_f32 v23, v26, v23 :: v_dual_add_nc_u32 v26, 1, v24
	v_dual_mul_f32 v17, v27, v22 :: v_dual_mul_f32 v18, v25, v23
	s_delay_alu instid0(VALU_DEP_2) | instskip(NEXT) | instid1(VALU_DEP_2)
	v_fma_f32 v8, -v26, v24, v16
	v_fma_f32 v20, -v12, v17, v27
	s_delay_alu instid0(VALU_DEP_3) | instskip(NEXT) | instid1(VALU_DEP_2)
	v_fma_f32 v28, -v21, v18, v25
	v_fmac_f32_e32 v17, v20, v22
	s_delay_alu instid0(VALU_DEP_2) | instskip(NEXT) | instid1(VALU_DEP_2)
	v_fmac_f32_e32 v18, v28, v23
	v_fma_f32 v10, -v12, v17, v27
	s_delay_alu instid0(VALU_DEP_2) | instskip(NEXT) | instid1(VALU_DEP_2)
	v_fma_f32 v2, -v21, v18, v25
	v_div_fmas_f32 v3, v10, v22, v17
	s_mov_b32 vcc_lo, s1
	v_cmp_lt_f32_e64 s1, 0, v8
	s_delay_alu instid0(VALU_DEP_3)
	v_div_fmas_f32 v2, v2, v23, v18
	v_cmp_ge_f32_e32 vcc_lo, 0, v7
	v_div_fixup_f32 v3, v3, v13, v14
	v_cndmask_b32_e32 v6, v24, v19, vcc_lo
	v_cmp_class_f32_e64 vcc_lo, v0, 0x1f8
	v_div_fixup_f32 v0, v2, v15, v9
	s_delay_alu instid0(VALU_DEP_3) | instskip(SKIP_1) | instid1(VALU_DEP_3)
	v_cndmask_b32_e64 v2, v6, v26, s1
	v_cndmask_b32_e32 v4, 0x7fc00000, v4, vcc_lo
	v_dual_mul_f32 v0, v5, v0 :: v_dual_cndmask_b32 v1, 0x7fc00000, v1
	v_cmp_class_f32_e64 vcc_lo, v16, 0x260
	s_delay_alu instid0(VALU_DEP_2) | instskip(NEXT) | instid1(VALU_DEP_1)
	v_dual_mul_f32 v5, 0x37800000, v2 :: v_dual_mul_f32 v0, v0, v4
	v_cndmask_b32_e64 v2, v2, v5, s0
	s_delay_alu instid0(VALU_DEP_1) | instskip(NEXT) | instid1(VALU_DEP_1)
	v_dual_fmac_f32 v0, v3, v1 :: v_dual_cndmask_b32 v1, v2, v16
	v_mul_f32_e32 v0, 0x3f4c422a, v0
	s_delay_alu instid0(VALU_DEP_1) | instskip(NEXT) | instid1(VALU_DEP_1)
	v_div_scale_f32 v2, null, v1, v1, v0
	v_rcp_f32_e32 v3, v2
	s_waitcnt_depctr 0xfff
	v_fma_f32 v4, -v2, v3, 1.0
	s_delay_alu instid0(VALU_DEP_1) | instskip(SKIP_1) | instid1(VALU_DEP_1)
	v_fmac_f32_e32 v3, v4, v3
	v_div_scale_f32 v4, vcc_lo, v0, v1, v0
	v_mul_f32_e32 v5, v4, v3
	s_delay_alu instid0(VALU_DEP_1) | instskip(NEXT) | instid1(VALU_DEP_1)
	v_fma_f32 v6, -v2, v5, v4
	v_fmac_f32_e32 v5, v6, v3
	s_delay_alu instid0(VALU_DEP_1) | instskip(NEXT) | instid1(VALU_DEP_1)
	v_fma_f32 v2, -v2, v5, v4
	v_div_fmas_f32 v2, v2, v3, v5
	s_delay_alu instid0(VALU_DEP_1)
	v_div_fixup_f32 v58, v2, v1, v0
.LBB23_1638:
	s_or_b32 exec_lo, exec_lo, s3
	v_cmp_gt_i16_e32 vcc_lo, 11, v47
	v_add_co_u32 v0, s0, s38, v57
	s_delay_alu instid0(VALU_DEP_1)
	v_add_co_ci_u32_e64 v1, null, s39, 0, s0
	s_mov_b32 s2, 0
	s_cbranch_vccnz .LBB23_1645
; %bb.1639:
	v_cmp_lt_i16_e32 vcc_lo, 25, v47
	s_mov_b32 s1, 0
	s_cbranch_vccz .LBB23_1646
; %bb.1640:
	v_cmp_lt_i16_e32 vcc_lo, 28, v47
	s_cbranch_vccz .LBB23_1647
; %bb.1641:
	v_cmp_lt_i16_e32 vcc_lo, 43, v47
	s_cbranch_vccz .LBB23_1648
; %bb.1642:
	v_cmp_lt_i16_e32 vcc_lo, 45, v47
	s_cbranch_vccz .LBB23_1651
; %bb.1643:
	v_cmp_eq_u16_e32 vcc_lo, 46, v47
	s_mov_b32 s3, 0
	s_cbranch_vccz .LBB23_1654
; %bb.1644:
	global_load_b32 v2, v[0:1], off
	s_mov_b32 s0, 0
	s_mov_b32 s2, -1
	s_waitcnt vmcnt(0)
	v_lshlrev_b32_e32 v41, 16, v2
	s_branch .LBB23_1656
.LBB23_1645:
	s_mov_b32 s0, -1
                                        ; implicit-def: $vgpr41
	s_branch .LBB23_1722
.LBB23_1646:
	s_mov_b32 s3, -1
	s_mov_b32 s0, 0
                                        ; implicit-def: $vgpr41
	s_branch .LBB23_1685
.LBB23_1647:
	s_mov_b32 s3, -1
	s_mov_b32 s0, 0
                                        ; implicit-def: $vgpr41
	s_branch .LBB23_1666
.LBB23_1648:
	s_mov_b32 s3, -1
	s_mov_b32 s0, 0
                                        ; implicit-def: $vgpr41
	s_branch .LBB23_1661
.LBB23_1649:
	s_cbranch_execnz .LBB23_1652
; %bb.1650:
	s_or_b32 s35, s35, exec_lo
                                        ; implicit-def: $vgpr41
	s_cbranch_execz .LBB23_1619
	s_branch .LBB23_1620
.LBB23_1651:
	s_mov_b32 s3, -1
	s_mov_b32 s0, 0
	s_branch .LBB23_1655
.LBB23_1652:
	s_trap 2
	s_sendmsg_rtn_b32 s0, sendmsg(MSG_RTN_GET_DOORBELL)
	s_mov_b32 ttmp2, m0
	s_waitcnt lgkmcnt(0)
	s_and_b32 s0, s0, 0x3ff
	s_delay_alu instid0(SALU_CYCLE_1) | instskip(NEXT) | instid1(SALU_CYCLE_1)
	s_bitset1_b32 s0, 10
	s_mov_b32 m0, s0
	s_sendmsg sendmsg(MSG_INTERRUPT)
	s_mov_b32 m0, ttmp2
.LBB23_1653:                            ; =>This Inner Loop Header: Depth=1
	s_sethalt 5
	s_branch .LBB23_1653
.LBB23_1654:
	s_mov_b32 s0, -1
.LBB23_1655:
                                        ; implicit-def: $vgpr41
.LBB23_1656:
	s_and_b32 vcc_lo, exec_lo, s3
	s_cbranch_vccz .LBB23_1660
; %bb.1657:
	v_cmp_eq_u16_e32 vcc_lo, 44, v47
	s_cbranch_vccz .LBB23_1659
; %bb.1658:
	global_load_u8 v2, v[0:1], off
	s_mov_b32 s0, 0
	s_mov_b32 s2, -1
	s_waitcnt vmcnt(0)
	v_lshlrev_b32_e32 v3, 23, v2
	v_cmp_ne_u32_e32 vcc_lo, 0xff, v2
	s_delay_alu instid0(VALU_DEP_2) | instskip(SKIP_1) | instid1(VALU_DEP_2)
	v_cndmask_b32_e32 v3, 0x7f800001, v3, vcc_lo
	v_cmp_ne_u32_e32 vcc_lo, 0, v2
	v_cndmask_b32_e32 v41, 0x400000, v3, vcc_lo
	s_branch .LBB23_1660
.LBB23_1659:
	s_mov_b32 s0, -1
                                        ; implicit-def: $vgpr41
.LBB23_1660:
	s_mov_b32 s3, 0
.LBB23_1661:
	s_delay_alu instid0(SALU_CYCLE_1)
	s_and_b32 vcc_lo, exec_lo, s3
	s_cbranch_vccz .LBB23_1665
; %bb.1662:
	v_cmp_eq_u16_e32 vcc_lo, 29, v47
	s_cbranch_vccz .LBB23_1664
; %bb.1663:
	global_load_b64 v[2:3], v[0:1], off
	s_mov_b32 s0, 0
	s_mov_b32 s2, -1
	s_mov_b32 s3, 0
	s_waitcnt vmcnt(0)
	v_clz_i32_u32_e32 v4, v3
	s_delay_alu instid0(VALU_DEP_1) | instskip(NEXT) | instid1(VALU_DEP_1)
	v_min_u32_e32 v4, 32, v4
	v_lshlrev_b64 v[2:3], v4, v[2:3]
	s_delay_alu instid0(VALU_DEP_1) | instskip(NEXT) | instid1(VALU_DEP_1)
	v_min_u32_e32 v2, 1, v2
	v_or_b32_e32 v2, v3, v2
	v_sub_nc_u32_e32 v3, 32, v4
	s_delay_alu instid0(VALU_DEP_2) | instskip(NEXT) | instid1(VALU_DEP_1)
	v_cvt_f32_u32_e32 v2, v2
	v_ldexp_f32 v41, v2, v3
	s_branch .LBB23_1666
.LBB23_1664:
	s_mov_b32 s0, -1
                                        ; implicit-def: $vgpr41
.LBB23_1665:
	s_mov_b32 s3, 0
.LBB23_1666:
	s_delay_alu instid0(SALU_CYCLE_1)
	s_and_b32 vcc_lo, exec_lo, s3
	s_cbranch_vccz .LBB23_1684
; %bb.1667:
	v_cmp_gt_i16_e32 vcc_lo, 27, v47
	s_cbranch_vccnz .LBB23_1670
; %bb.1668:
	v_cmp_lt_i16_e32 vcc_lo, 27, v47
	s_cbranch_vccz .LBB23_1671
; %bb.1669:
	global_load_b32 v2, v[0:1], off
	s_mov_b32 s2, 0
	s_waitcnt vmcnt(0)
	v_cvt_f32_u32_e32 v41, v2
	s_branch .LBB23_1672
.LBB23_1670:
	s_mov_b32 s2, -1
                                        ; implicit-def: $vgpr41
	s_branch .LBB23_1675
.LBB23_1671:
	s_mov_b32 s2, -1
                                        ; implicit-def: $vgpr41
.LBB23_1672:
	s_delay_alu instid0(SALU_CYCLE_1)
	s_and_not1_b32 vcc_lo, exec_lo, s2
	s_cbranch_vccnz .LBB23_1674
; %bb.1673:
	global_load_u16 v2, v[0:1], off
	s_waitcnt vmcnt(0)
	v_cvt_f32_u32_e32 v41, v2
.LBB23_1674:
	s_mov_b32 s2, 0
.LBB23_1675:
	s_delay_alu instid0(SALU_CYCLE_1)
	s_and_not1_b32 vcc_lo, exec_lo, s2
	s_cbranch_vccnz .LBB23_1683
; %bb.1676:
	global_load_u8 v2, v[0:1], off
	s_mov_b32 s2, 0
	s_mov_b32 s4, exec_lo
                                        ; implicit-def: $sgpr3
	s_waitcnt vmcnt(0)
	v_cmpx_lt_i16_e32 0x7f, v2
	s_xor_b32 s4, exec_lo, s4
	s_cbranch_execz .LBB23_1697
; %bb.1677:
	s_mov_b32 s2, -1
	s_mov_b32 s5, exec_lo
                                        ; implicit-def: $sgpr3
	v_cmpx_eq_u16_e32 0x80, v2
; %bb.1678:
	s_mov_b32 s3, 0x7f800001
	s_xor_b32 s2, exec_lo, -1
; %bb.1679:
	s_or_b32 exec_lo, exec_lo, s5
	s_delay_alu instid0(SALU_CYCLE_1)
	s_and_b32 s2, s2, exec_lo
	s_or_saveexec_b32 s4, s4
	v_mov_b32_e32 v41, s3
	s_xor_b32 exec_lo, exec_lo, s4
	s_cbranch_execnz .LBB23_1698
.LBB23_1680:
	s_or_b32 exec_lo, exec_lo, s4
	s_and_saveexec_b32 s3, s2
	s_cbranch_execz .LBB23_1682
.LBB23_1681:
	v_and_b32_e32 v3, 0xffff, v2
	v_lshlrev_b32_e32 v2, 24, v2
	s_delay_alu instid0(VALU_DEP_2) | instskip(NEXT) | instid1(VALU_DEP_2)
	v_and_b32_e32 v4, 7, v3
	v_and_b32_e32 v2, 0x80000000, v2
	s_delay_alu instid0(VALU_DEP_2) | instskip(NEXT) | instid1(VALU_DEP_1)
	v_clz_i32_u32_e32 v5, v4
	v_min_u32_e32 v5, 32, v5
	s_delay_alu instid0(VALU_DEP_1) | instskip(SKIP_1) | instid1(VALU_DEP_2)
	v_subrev_nc_u32_e32 v6, 28, v5
	v_sub_nc_u32_e32 v5, 29, v5
	v_lshlrev_b32_e32 v6, v6, v3
	v_bfe_u32 v3, v3, 3, 4
	s_delay_alu instid0(VALU_DEP_2) | instskip(NEXT) | instid1(VALU_DEP_2)
	v_and_b32_e32 v6, 7, v6
	v_cmp_eq_u32_e32 vcc_lo, 0, v3
	s_delay_alu instid0(VALU_DEP_2) | instskip(NEXT) | instid1(VALU_DEP_1)
	v_dual_cndmask_b32 v3, v3, v5 :: v_dual_cndmask_b32 v4, v4, v6
	v_lshl_add_u32 v3, v3, 23, 0x3b800000
	s_delay_alu instid0(VALU_DEP_2) | instskip(NEXT) | instid1(VALU_DEP_1)
	v_lshlrev_b32_e32 v4, 20, v4
	v_or3_b32 v41, v2, v3, v4
.LBB23_1682:
	s_or_b32 exec_lo, exec_lo, s3
.LBB23_1683:
	s_mov_b32 s2, -1
.LBB23_1684:
	s_mov_b32 s3, 0
.LBB23_1685:
	s_delay_alu instid0(SALU_CYCLE_1)
	s_and_b32 vcc_lo, exec_lo, s3
	s_cbranch_vccz .LBB23_1718
; %bb.1686:
	v_cmp_lt_i16_e32 vcc_lo, 22, v47
	s_cbranch_vccz .LBB23_1696
; %bb.1687:
	v_cmp_gt_i16_e32 vcc_lo, 24, v47
	s_cbranch_vccnz .LBB23_1699
; %bb.1688:
	v_cmp_lt_i16_e32 vcc_lo, 24, v47
	s_cbranch_vccz .LBB23_1700
; %bb.1689:
	global_load_u8 v2, v[0:1], off
	s_mov_b32 s3, exec_lo
                                        ; implicit-def: $sgpr2
	s_waitcnt vmcnt(0)
	v_cmpx_lt_i16_e32 0x7f, v2
	s_xor_b32 s3, exec_lo, s3
	s_cbranch_execz .LBB23_1712
; %bb.1690:
	s_mov_b32 s1, -1
	s_mov_b32 s4, exec_lo
                                        ; implicit-def: $sgpr2
	v_cmpx_eq_u16_e32 0x80, v2
; %bb.1691:
	s_mov_b32 s2, 0x7f800001
	s_xor_b32 s1, exec_lo, -1
; %bb.1692:
	s_or_b32 exec_lo, exec_lo, s4
	s_delay_alu instid0(SALU_CYCLE_1)
	s_and_b32 s1, s1, exec_lo
	s_or_saveexec_b32 s3, s3
	v_mov_b32_e32 v41, s2
	s_xor_b32 exec_lo, exec_lo, s3
	s_cbranch_execnz .LBB23_1713
.LBB23_1693:
	s_or_b32 exec_lo, exec_lo, s3
	s_and_saveexec_b32 s2, s1
	s_cbranch_execz .LBB23_1695
.LBB23_1694:
	v_and_b32_e32 v3, 0xffff, v2
	v_lshlrev_b32_e32 v2, 24, v2
	s_delay_alu instid0(VALU_DEP_2) | instskip(NEXT) | instid1(VALU_DEP_2)
	v_and_b32_e32 v4, 3, v3
	v_and_b32_e32 v2, 0x80000000, v2
	s_delay_alu instid0(VALU_DEP_2) | instskip(NEXT) | instid1(VALU_DEP_1)
	v_clz_i32_u32_e32 v5, v4
	v_min_u32_e32 v5, 32, v5
	s_delay_alu instid0(VALU_DEP_1) | instskip(SKIP_1) | instid1(VALU_DEP_2)
	v_subrev_nc_u32_e32 v6, 29, v5
	v_sub_nc_u32_e32 v5, 30, v5
	v_lshlrev_b32_e32 v6, v6, v3
	v_bfe_u32 v3, v3, 2, 5
	s_delay_alu instid0(VALU_DEP_2) | instskip(NEXT) | instid1(VALU_DEP_2)
	v_and_b32_e32 v6, 3, v6
	v_cmp_eq_u32_e32 vcc_lo, 0, v3
	s_delay_alu instid0(VALU_DEP_2) | instskip(NEXT) | instid1(VALU_DEP_1)
	v_dual_cndmask_b32 v3, v3, v5 :: v_dual_cndmask_b32 v4, v4, v6
	v_lshl_add_u32 v3, v3, 23, 0x37800000
	s_delay_alu instid0(VALU_DEP_2) | instskip(NEXT) | instid1(VALU_DEP_1)
	v_lshlrev_b32_e32 v4, 21, v4
	v_or3_b32 v41, v2, v3, v4
.LBB23_1695:
	s_or_b32 exec_lo, exec_lo, s2
	s_mov_b32 s1, 0
	s_branch .LBB23_1701
.LBB23_1696:
	s_mov_b32 s1, -1
                                        ; implicit-def: $vgpr41
	s_branch .LBB23_1707
.LBB23_1697:
	s_or_saveexec_b32 s4, s4
	v_mov_b32_e32 v41, s3
	s_xor_b32 exec_lo, exec_lo, s4
	s_cbranch_execz .LBB23_1680
.LBB23_1698:
	v_cmp_ne_u16_e32 vcc_lo, 0, v2
	v_mov_b32_e32 v41, 0
	s_and_not1_b32 s2, s2, exec_lo
	s_and_b32 s3, vcc_lo, exec_lo
	s_delay_alu instid0(SALU_CYCLE_1)
	s_or_b32 s2, s2, s3
	s_or_b32 exec_lo, exec_lo, s4
	s_and_saveexec_b32 s3, s2
	s_cbranch_execnz .LBB23_1681
	s_branch .LBB23_1682
.LBB23_1699:
	s_mov_b32 s1, -1
                                        ; implicit-def: $vgpr41
	s_branch .LBB23_1704
.LBB23_1700:
	s_mov_b32 s1, -1
                                        ; implicit-def: $vgpr41
.LBB23_1701:
	s_delay_alu instid0(SALU_CYCLE_1)
	s_and_b32 vcc_lo, exec_lo, s1
	s_cbranch_vccz .LBB23_1703
; %bb.1702:
	global_load_u8 v2, v[0:1], off
	s_waitcnt vmcnt(0)
	v_lshlrev_b32_e32 v2, 24, v2
	s_delay_alu instid0(VALU_DEP_1) | instskip(NEXT) | instid1(VALU_DEP_1)
	v_and_b32_e32 v3, 0x7f000000, v2
	v_clz_i32_u32_e32 v4, v3
	v_add_nc_u32_e32 v6, 0x1000000, v3
	v_cmp_ne_u32_e32 vcc_lo, 0, v3
	s_delay_alu instid0(VALU_DEP_3) | instskip(NEXT) | instid1(VALU_DEP_1)
	v_min_u32_e32 v4, 32, v4
	v_sub_nc_u32_e64 v4, v4, 4 clamp
	s_delay_alu instid0(VALU_DEP_1) | instskip(SKIP_1) | instid1(VALU_DEP_2)
	v_lshlrev_b32_e32 v5, v4, v3
	v_lshlrev_b32_e32 v4, 23, v4
	v_lshrrev_b32_e32 v5, 4, v5
	s_delay_alu instid0(VALU_DEP_1) | instskip(SKIP_1) | instid1(VALU_DEP_2)
	v_sub_nc_u32_e32 v4, v5, v4
	v_ashrrev_i32_e32 v5, 8, v6
	v_add_nc_u32_e32 v4, 0x3c000000, v4
	s_delay_alu instid0(VALU_DEP_1) | instskip(NEXT) | instid1(VALU_DEP_1)
	v_and_or_b32 v4, 0x7f800000, v5, v4
	v_cndmask_b32_e32 v3, 0, v4, vcc_lo
	s_delay_alu instid0(VALU_DEP_1)
	v_and_or_b32 v41, 0x80000000, v2, v3
.LBB23_1703:
	s_mov_b32 s1, 0
.LBB23_1704:
	s_delay_alu instid0(SALU_CYCLE_1)
	s_and_not1_b32 vcc_lo, exec_lo, s1
	s_cbranch_vccnz .LBB23_1706
; %bb.1705:
	global_load_u8 v2, v[0:1], off
	s_waitcnt vmcnt(0)
	v_lshlrev_b32_e32 v3, 25, v2
	v_lshlrev_b16 v2, 8, v2
	s_delay_alu instid0(VALU_DEP_2) | instskip(NEXT) | instid1(VALU_DEP_2)
	v_lshrrev_b32_e32 v4, 4, v3
	v_and_or_b32 v5, 0x7f00, v2, 0.5
	v_bfe_i32 v2, v2, 0, 16
	s_delay_alu instid0(VALU_DEP_3) | instskip(NEXT) | instid1(VALU_DEP_1)
	v_or_b32_e32 v4, 0x70000000, v4
	v_dual_add_f32 v5, -0.5, v5 :: v_dual_mul_f32 v4, 0x7800000, v4
	v_cmp_gt_u32_e32 vcc_lo, 0x8000000, v3
	s_delay_alu instid0(VALU_DEP_2) | instskip(NEXT) | instid1(VALU_DEP_1)
	v_cndmask_b32_e32 v3, v4, v5, vcc_lo
	v_and_or_b32 v41, 0x80000000, v2, v3
.LBB23_1706:
	s_mov_b32 s1, 0
	s_mov_b32 s2, -1
.LBB23_1707:
	s_and_not1_b32 vcc_lo, exec_lo, s1
	s_mov_b32 s1, 0
	s_cbranch_vccnz .LBB23_1718
; %bb.1708:
	v_cmp_lt_i16_e32 vcc_lo, 14, v47
	s_cbranch_vccz .LBB23_1711
; %bb.1709:
	v_cmp_eq_u16_e32 vcc_lo, 15, v47
	s_cbranch_vccz .LBB23_1714
; %bb.1710:
	global_load_u16 v2, v[0:1], off
	s_mov_b32 s0, 0
	s_mov_b32 s2, -1
	s_waitcnt vmcnt(0)
	v_lshlrev_b32_e32 v41, 16, v2
	s_branch .LBB23_1716
.LBB23_1711:
	s_mov_b32 s1, -1
	s_branch .LBB23_1715
.LBB23_1712:
	s_or_saveexec_b32 s3, s3
	v_mov_b32_e32 v41, s2
	s_xor_b32 exec_lo, exec_lo, s3
	s_cbranch_execz .LBB23_1693
.LBB23_1713:
	v_cmp_ne_u16_e32 vcc_lo, 0, v2
	v_mov_b32_e32 v41, 0
	s_and_not1_b32 s1, s1, exec_lo
	s_and_b32 s2, vcc_lo, exec_lo
	s_delay_alu instid0(SALU_CYCLE_1)
	s_or_b32 s1, s1, s2
	s_or_b32 exec_lo, exec_lo, s3
	s_and_saveexec_b32 s2, s1
	s_cbranch_execnz .LBB23_1694
	s_branch .LBB23_1695
.LBB23_1714:
	s_mov_b32 s0, -1
.LBB23_1715:
                                        ; implicit-def: $vgpr41
.LBB23_1716:
	s_and_b32 vcc_lo, exec_lo, s1
	s_mov_b32 s1, 0
	s_cbranch_vccz .LBB23_1718
; %bb.1717:
	v_cmp_ne_u16_e64 s0, 11, v47
	s_mov_b32 s1, -1
                                        ; implicit-def: $vgpr41
.LBB23_1718:
	s_delay_alu instid0(VALU_DEP_1)
	s_and_b32 vcc_lo, exec_lo, s0
	s_cbranch_vccnz .LBB23_2264
; %bb.1719:
	s_and_not1_b32 vcc_lo, exec_lo, s1
	s_cbranch_vccnz .LBB23_1721
.LBB23_1720:
	global_load_u8 v2, v[0:1], off
	s_mov_b32 s2, -1
	s_waitcnt vmcnt(0)
	v_cmp_ne_u16_e32 vcc_lo, 0, v2
	v_cndmask_b32_e64 v41, 0, 1.0, vcc_lo
.LBB23_1721:
	s_mov_b32 s0, 0
.LBB23_1722:
	s_delay_alu instid0(SALU_CYCLE_1)
	s_and_b32 vcc_lo, exec_lo, s0
	s_cbranch_vccz .LBB23_1771
; %bb.1723:
	v_cmp_gt_i16_e32 vcc_lo, 5, v47
	s_cbranch_vccnz .LBB23_1728
; %bb.1724:
	v_cmp_gt_i16_e32 vcc_lo, 8, v47
	s_cbranch_vccnz .LBB23_1729
	;; [unrolled: 3-line block ×3, first 2 shown]
; %bb.1726:
	v_cmp_lt_i16_e32 vcc_lo, 9, v47
	s_cbranch_vccz .LBB23_1731
; %bb.1727:
	global_load_b64 v[2:3], v[0:1], off
	s_mov_b32 s0, 0
	s_waitcnt vmcnt(0)
	v_cvt_f32_f64_e32 v41, v[2:3]
	s_branch .LBB23_1732
.LBB23_1728:
	s_mov_b32 s0, -1
                                        ; implicit-def: $vgpr41
	s_branch .LBB23_1750
.LBB23_1729:
	s_mov_b32 s0, -1
                                        ; implicit-def: $vgpr41
	s_branch .LBB23_1738
.LBB23_1730:
	s_mov_b32 s0, -1
                                        ; implicit-def: $vgpr41
	s_branch .LBB23_1735
.LBB23_1731:
	s_mov_b32 s0, -1
                                        ; implicit-def: $vgpr41
.LBB23_1732:
	s_delay_alu instid0(SALU_CYCLE_1)
	s_and_not1_b32 vcc_lo, exec_lo, s0
	s_cbranch_vccnz .LBB23_1734
; %bb.1733:
	global_load_b32 v41, v[0:1], off
.LBB23_1734:
	s_mov_b32 s0, 0
.LBB23_1735:
	s_delay_alu instid0(SALU_CYCLE_1)
	s_and_not1_b32 vcc_lo, exec_lo, s0
	s_cbranch_vccnz .LBB23_1737
; %bb.1736:
	global_load_b32 v2, v[0:1], off
	s_waitcnt vmcnt(0)
	v_cvt_f32_f16_e32 v41, v2
.LBB23_1737:
	s_mov_b32 s0, 0
.LBB23_1738:
	s_delay_alu instid0(SALU_CYCLE_1)
	s_and_not1_b32 vcc_lo, exec_lo, s0
	s_cbranch_vccnz .LBB23_1749
; %bb.1739:
	v_cmp_gt_i16_e32 vcc_lo, 6, v47
	s_cbranch_vccnz .LBB23_1742
; %bb.1740:
	v_cmp_lt_i16_e32 vcc_lo, 6, v47
	s_cbranch_vccz .LBB23_1743
; %bb.1741:
	global_load_b64 v[2:3], v[0:1], off
	s_mov_b32 s0, 0
	s_waitcnt vmcnt(0)
	v_cvt_f32_f64_e32 v41, v[2:3]
	s_branch .LBB23_1744
.LBB23_1742:
	s_mov_b32 s0, -1
                                        ; implicit-def: $vgpr41
	s_branch .LBB23_1747
.LBB23_1743:
	s_mov_b32 s0, -1
                                        ; implicit-def: $vgpr41
.LBB23_1744:
	s_delay_alu instid0(SALU_CYCLE_1)
	s_and_not1_b32 vcc_lo, exec_lo, s0
	s_cbranch_vccnz .LBB23_1746
; %bb.1745:
	global_load_b32 v41, v[0:1], off
.LBB23_1746:
	s_mov_b32 s0, 0
.LBB23_1747:
	s_delay_alu instid0(SALU_CYCLE_1)
	s_and_not1_b32 vcc_lo, exec_lo, s0
	s_cbranch_vccnz .LBB23_1749
; %bb.1748:
	global_load_u16 v2, v[0:1], off
	s_waitcnt vmcnt(0)
	v_cvt_f32_f16_e32 v41, v2
.LBB23_1749:
	s_mov_b32 s0, 0
.LBB23_1750:
	s_delay_alu instid0(SALU_CYCLE_1)
	s_and_not1_b32 vcc_lo, exec_lo, s0
	s_cbranch_vccnz .LBB23_1770
; %bb.1751:
	v_cmp_gt_i16_e32 vcc_lo, 2, v47
	s_cbranch_vccnz .LBB23_1755
; %bb.1752:
	v_cmp_gt_i16_e32 vcc_lo, 3, v47
	s_cbranch_vccnz .LBB23_1756
; %bb.1753:
	v_cmp_lt_i16_e32 vcc_lo, 3, v47
	s_cbranch_vccz .LBB23_1757
; %bb.1754:
	global_load_b64 v[2:3], v[0:1], off
	s_mov_b32 s0, 0
	s_waitcnt vmcnt(0)
	v_xor_b32_e32 v4, v2, v3
	v_cls_i32_e32 v5, v3
	s_delay_alu instid0(VALU_DEP_2) | instskip(NEXT) | instid1(VALU_DEP_2)
	v_ashrrev_i32_e32 v4, 31, v4
	v_add_nc_u32_e32 v5, -1, v5
	s_delay_alu instid0(VALU_DEP_2) | instskip(NEXT) | instid1(VALU_DEP_1)
	v_add_nc_u32_e32 v4, 32, v4
	v_min_u32_e32 v4, v5, v4
	s_delay_alu instid0(VALU_DEP_1) | instskip(NEXT) | instid1(VALU_DEP_1)
	v_lshlrev_b64 v[2:3], v4, v[2:3]
	v_min_u32_e32 v2, 1, v2
	s_delay_alu instid0(VALU_DEP_1) | instskip(SKIP_1) | instid1(VALU_DEP_2)
	v_or_b32_e32 v2, v3, v2
	v_sub_nc_u32_e32 v3, 32, v4
	v_cvt_f32_i32_e32 v2, v2
	s_delay_alu instid0(VALU_DEP_1)
	v_ldexp_f32 v41, v2, v3
	s_branch .LBB23_1758
.LBB23_1755:
	s_mov_b32 s0, -1
                                        ; implicit-def: $vgpr41
	s_branch .LBB23_1764
.LBB23_1756:
	s_mov_b32 s0, -1
                                        ; implicit-def: $vgpr41
	s_branch .LBB23_1761
.LBB23_1757:
	s_mov_b32 s0, -1
                                        ; implicit-def: $vgpr41
.LBB23_1758:
	s_delay_alu instid0(SALU_CYCLE_1)
	s_and_not1_b32 vcc_lo, exec_lo, s0
	s_cbranch_vccnz .LBB23_1760
; %bb.1759:
	global_load_b32 v2, v[0:1], off
	s_waitcnt vmcnt(0)
	v_cvt_f32_i32_e32 v41, v2
.LBB23_1760:
	s_mov_b32 s0, 0
.LBB23_1761:
	s_delay_alu instid0(SALU_CYCLE_1)
	s_and_not1_b32 vcc_lo, exec_lo, s0
	s_cbranch_vccnz .LBB23_1763
; %bb.1762:
	global_load_i16 v2, v[0:1], off
	s_waitcnt vmcnt(0)
	v_cvt_f32_i32_e32 v41, v2
.LBB23_1763:
	s_mov_b32 s0, 0
.LBB23_1764:
	s_delay_alu instid0(SALU_CYCLE_1)
	s_and_not1_b32 vcc_lo, exec_lo, s0
	s_cbranch_vccnz .LBB23_1770
; %bb.1765:
	v_cmp_lt_i16_e32 vcc_lo, 0, v47
	s_mov_b32 s0, 0
	s_cbranch_vccz .LBB23_1767
; %bb.1766:
	global_load_i8 v2, v[0:1], off
	s_waitcnt vmcnt(0)
	v_cvt_f32_i32_e32 v41, v2
	s_branch .LBB23_1768
.LBB23_1767:
	s_mov_b32 s0, -1
                                        ; implicit-def: $vgpr41
.LBB23_1768:
	s_delay_alu instid0(SALU_CYCLE_1)
	s_and_not1_b32 vcc_lo, exec_lo, s0
	s_cbranch_vccnz .LBB23_1770
; %bb.1769:
	global_load_u8 v0, v[0:1], off
	s_waitcnt vmcnt(0)
	v_cvt_f32_ubyte0_e32 v41, v0
.LBB23_1770:
	s_mov_b32 s2, -1
.LBB23_1771:
	s_delay_alu instid0(SALU_CYCLE_1)
	s_and_not1_b32 vcc_lo, exec_lo, s2
	s_cbranch_vccnz .LBB23_1781
; %bb.1772:
                                        ; implicit-def: $vgpr0
	s_mov_b32 s0, exec_lo
	s_waitcnt vmcnt(0)
	s_delay_alu instid0(VALU_DEP_1)
	v_cmpx_ge_f32_e32 0x40a00000, v41
	s_xor_b32 s38, exec_lo, s0
	s_cbranch_execz .LBB23_1778
; %bb.1773:
	v_mov_b32_e32 v0, 0xff800000
	s_mov_b32 s39, exec_lo
	v_cmpx_neq_f32_e32 0, v41
	s_cbranch_execz .LBB23_1777
; %bb.1774:
	v_mov_b32_e32 v0, 0x7fc00000
	s_mov_b32 s43, exec_lo
	v_cmpx_nge_f32_e32 0, v41
	s_cbranch_execz .LBB23_1776
; %bb.1775:
	v_mul_f32_e32 v0, v41, v41
	s_getpc_b64 s[0:1]
	s_add_u32 s0, s0, _Z17bessel_j1_forwardIfET_S0_@rel32@lo+4
	s_addc_u32 s1, s1, _Z17bessel_j1_forwardIfET_S0_@rel32@hi+12
	s_delay_alu instid0(VALU_DEP_1) | instskip(SKIP_1) | instid1(VALU_DEP_2)
	v_fmaak_f32 v1, 0, v0, 0x4414934d
	v_fmaak_f32 v2, 0, v0, 0x4e9695f3
	;; [unrolled: 1-line block ×3, first 2 shown]
	s_delay_alu instid0(VALU_DEP_2) | instskip(NEXT) | instid1(VALU_DEP_2)
	v_fmaak_f32 v2, v0, v2, 0xd316b96b
	v_fmaak_f32 v1, v0, v1, 0x4c8c277d
	s_delay_alu instid0(VALU_DEP_2) | instskip(NEXT) | instid1(VALU_DEP_2)
	v_fmaak_f32 v2, v0, v2, 0x56d04aa6
	v_fmaak_f32 v1, v0, v1, 0x508bc61d
	;; [unrolled: 3-line block ×5, first 2 shown]
	s_delay_alu instid0(VALU_DEP_1) | instskip(NEXT) | instid1(VALU_DEP_1)
	v_fmaak_f32 v0, v0, v1, 0x5e5c878d
	v_div_scale_f32 v1, null, v0, v0, v2
	v_div_scale_f32 v5, vcc_lo, v2, v0, v2
	s_delay_alu instid0(VALU_DEP_2) | instskip(SKIP_2) | instid1(VALU_DEP_1)
	v_rcp_f32_e32 v3, v1
	s_waitcnt_depctr 0xfff
	v_fma_f32 v4, -v1, v3, 1.0
	v_fmac_f32_e32 v3, v4, v3
	s_delay_alu instid0(VALU_DEP_1) | instskip(NEXT) | instid1(VALU_DEP_1)
	v_mul_f32_e32 v4, v5, v3
	v_fma_f32 v6, -v1, v4, v5
	s_delay_alu instid0(VALU_DEP_1) | instskip(NEXT) | instid1(VALU_DEP_1)
	v_fmac_f32_e32 v4, v6, v3
	v_fma_f32 v1, -v1, v4, v5
	s_delay_alu instid0(VALU_DEP_1) | instskip(NEXT) | instid1(VALU_DEP_1)
	v_div_fmas_f32 v1, v1, v3, v4
	v_div_fixup_f32 v47, v1, v0, v2
	v_mov_b32_e32 v0, v41
	s_swappc_b64 s[30:31], s[0:1]
	v_div_scale_f32 v1, null, v41, v41, -1.0
	v_cmp_gt_f32_e32 vcc_lo, 0x800000, v41
	v_div_scale_f32 v5, s0, -1.0, v41, -1.0
	s_delay_alu instid0(VALU_DEP_3) | instskip(SKIP_3) | instid1(VALU_DEP_1)
	v_rcp_f32_e32 v3, v1
	v_cndmask_b32_e64 v2, 1.0, 0x4f800000, vcc_lo
	s_waitcnt_depctr 0xfff
	v_fma_f32 v4, -v1, v3, 1.0
	v_dual_mul_f32 v2, v41, v2 :: v_dual_fmac_f32 v3, v4, v3
	s_delay_alu instid0(VALU_DEP_1) | instskip(SKIP_3) | instid1(VALU_DEP_2)
	v_log_f32_e32 v2, v2
	s_waitcnt_depctr 0xfff
	v_mul_f32_e32 v4, 0x3f317217, v2
	v_cmp_gt_f32_e64 s1, 0x7f800000, |v2|
	v_fma_f32 v7, 0x3f317217, v2, -v4
	s_delay_alu instid0(VALU_DEP_1) | instskip(NEXT) | instid1(VALU_DEP_1)
	v_dual_mul_f32 v6, v5, v3 :: v_dual_fmamk_f32 v7, v2, 0x3377d1cf, v7
	v_fma_f32 v8, -v1, v6, v5
	s_delay_alu instid0(VALU_DEP_2) | instskip(NEXT) | instid1(VALU_DEP_2)
	v_add_f32_e32 v4, v4, v7
	v_fmac_f32_e32 v6, v8, v3
	s_delay_alu instid0(VALU_DEP_2) | instskip(NEXT) | instid1(VALU_DEP_2)
	v_cndmask_b32_e64 v2, v2, v4, s1
	v_fma_f32 v1, -v1, v6, v5
	v_cndmask_b32_e64 v4, 0, 0x41b17218, vcc_lo
	s_mov_b32 vcc_lo, s0
	s_delay_alu instid0(VALU_DEP_2) | instskip(NEXT) | instid1(VALU_DEP_2)
	v_div_fmas_f32 v1, v1, v3, v6
	v_sub_f32_e32 v2, v2, v4
	s_delay_alu instid0(VALU_DEP_2) | instskip(NEXT) | instid1(VALU_DEP_1)
	v_div_fixup_f32 v1, v1, v41, -1.0
	v_fmac_f32_e32 v1, v2, v0
	s_delay_alu instid0(VALU_DEP_1) | instskip(NEXT) | instid1(VALU_DEP_1)
	v_mul_f32_e32 v0, 0x3f22f983, v1
	v_fmac_f32_e32 v0, v41, v47
.LBB23_1776:
	s_or_b32 exec_lo, exec_lo, s43
.LBB23_1777:
	s_delay_alu instid0(SALU_CYCLE_1)
	s_or_b32 exec_lo, exec_lo, s39
                                        ; implicit-def: $vgpr41
.LBB23_1778:
	s_and_not1_saveexec_b32 s3, s38
	s_cbranch_execz .LBB23_1833
; %bb.1779:
	v_add_f32_e32 v0, 0xc016cbe4, v41
                                        ; implicit-def: $vgpr3
                                        ; implicit-def: $vgpr2
	s_delay_alu instid0(VALU_DEP_1) | instskip(SKIP_1) | instid1(VALU_DEP_2)
	v_and_b32_e32 v1, 0x7fffffff, v0
	v_cmp_ngt_f32_e64 s4, 0x48000000, |v0|
	v_lshrrev_b32_e32 v5, 23, v1
	s_delay_alu instid0(VALU_DEP_2) | instskip(NEXT) | instid1(SALU_CYCLE_1)
	s_and_saveexec_b32 s0, s4
	s_xor_b32 s5, exec_lo, s0
	s_cbranch_execz .LBB23_1826
; %bb.1780:
	s_mov_b32 s0, 0x7fffff
	v_mov_b32_e32 v4, 0
	v_and_or_b32 v13, v1, s0, 0x800000
	v_add_nc_u32_e32 v11, 0xffffff88, v5
	s_delay_alu instid0(VALU_DEP_2) | instskip(NEXT) | instid1(VALU_DEP_2)
	v_mad_u64_u32 v[2:3], null, 0xfe5163ab, v13, 0
	v_cmp_lt_u32_e32 vcc_lo, 63, v11
	v_cndmask_b32_e64 v12, 0, 0xffffffc0, vcc_lo
	s_delay_alu instid0(VALU_DEP_3) | instskip(NEXT) | instid1(VALU_DEP_1)
	v_mad_u64_u32 v[6:7], null, 0x3c439041, v13, v[3:4]
	v_dual_mov_b32 v3, v7 :: v_dual_add_nc_u32 v12, v12, v11
	s_delay_alu instid0(VALU_DEP_1) | instskip(NEXT) | instid1(VALU_DEP_2)
	v_cmp_lt_u32_e64 s0, 31, v12
	v_mad_u64_u32 v[7:8], null, 0xdb629599, v13, v[3:4]
	s_delay_alu instid0(VALU_DEP_2) | instskip(NEXT) | instid1(VALU_DEP_1)
	v_cndmask_b32_e64 v14, 0, 0xffffffe0, s0
	v_dual_mov_b32 v3, v8 :: v_dual_add_nc_u32 v14, v14, v12
	s_delay_alu instid0(VALU_DEP_3) | instskip(NEXT) | instid1(VALU_DEP_2)
	v_cndmask_b32_e32 v2, v7, v2, vcc_lo
	v_cmp_lt_u32_e64 s1, 31, v14
	s_delay_alu instid0(VALU_DEP_3) | instskip(NEXT) | instid1(VALU_DEP_1)
	v_mad_u64_u32 v[8:9], null, 0xf534ddc0, v13, v[3:4]
	v_dual_mov_b32 v3, v9 :: v_dual_cndmask_b32 v6, v8, v6
	s_delay_alu instid0(VALU_DEP_1) | instskip(NEXT) | instid1(VALU_DEP_2)
	v_mad_u64_u32 v[9:10], null, 0xfc2757d1, v13, v[3:4]
	v_cndmask_b32_e64 v2, v6, v2, s0
	s_delay_alu instid0(VALU_DEP_2) | instskip(NEXT) | instid1(VALU_DEP_1)
	v_mov_b32_e32 v3, v10
	v_mad_u64_u32 v[10:11], null, 0x4e441529, v13, v[3:4]
	s_delay_alu instid0(VALU_DEP_1) | instskip(NEXT) | instid1(VALU_DEP_1)
	v_mov_b32_e32 v3, v11
	v_mad_u64_u32 v[11:12], null, 0xa2f9836e, v13, v[3:4]
	v_cndmask_b32_e64 v3, 0, 0xffffffe0, s1
	s_delay_alu instid0(VALU_DEP_1) | instskip(NEXT) | instid1(VALU_DEP_3)
	v_dual_cndmask_b32 v4, v10, v8 :: v_dual_add_nc_u32 v3, v3, v14
	v_dual_cndmask_b32 v11, v11, v9 :: v_dual_cndmask_b32 v10, v12, v10
	v_cndmask_b32_e32 v9, v9, v7, vcc_lo
	s_delay_alu instid0(VALU_DEP_3) | instskip(NEXT) | instid1(VALU_DEP_3)
	v_cmp_eq_u32_e64 s2, 0, v3
	v_cndmask_b32_e64 v8, v11, v4, s0
	s_delay_alu instid0(VALU_DEP_4) | instskip(NEXT) | instid1(VALU_DEP_4)
	v_cndmask_b32_e64 v10, v10, v11, s0
	v_cndmask_b32_e64 v4, v4, v9, s0
	v_sub_nc_u32_e32 v11, 32, v3
	v_cndmask_b32_e64 v9, v9, v6, s0
	s_delay_alu instid0(VALU_DEP_4) | instskip(NEXT) | instid1(VALU_DEP_4)
	v_cndmask_b32_e64 v10, v10, v8, s1
	v_cndmask_b32_e64 v8, v8, v4, s1
	s_delay_alu instid0(VALU_DEP_3) | instskip(SKIP_1) | instid1(VALU_DEP_3)
	v_cndmask_b32_e64 v4, v4, v9, s1
	v_cndmask_b32_e64 v2, v9, v2, s1
	v_alignbit_b32 v12, v10, v8, v11
	s_delay_alu instid0(VALU_DEP_3) | instskip(NEXT) | instid1(VALU_DEP_3)
	v_alignbit_b32 v13, v8, v4, v11
	v_alignbit_b32 v11, v4, v2, v11
	s_delay_alu instid0(VALU_DEP_3) | instskip(NEXT) | instid1(VALU_DEP_3)
	v_cndmask_b32_e64 v3, v12, v10, s2
	v_cndmask_b32_e64 v7, v13, v8, s2
	s_delay_alu instid0(VALU_DEP_3) | instskip(NEXT) | instid1(VALU_DEP_3)
	v_cndmask_b32_e64 v4, v11, v4, s2
	v_bfe_u32 v8, v3, 29, 1
	s_delay_alu instid0(VALU_DEP_3) | instskip(NEXT) | instid1(VALU_DEP_3)
	v_alignbit_b32 v6, v3, v7, 30
	v_alignbit_b32 v7, v7, v4, 30
	;; [unrolled: 1-line block ×3, first 2 shown]
	s_delay_alu instid0(VALU_DEP_4) | instskip(NEXT) | instid1(VALU_DEP_1)
	v_sub_nc_u32_e32 v10, 0, v8
	v_xor_b32_e32 v9, v6, v10
	v_cmp_ne_u32_e32 vcc_lo, v6, v10
	v_xor_b32_e32 v4, v7, v10
	v_xor_b32_e32 v2, v2, v10
	s_delay_alu instid0(VALU_DEP_4) | instskip(NEXT) | instid1(VALU_DEP_1)
	v_clz_i32_u32_e32 v12, v9
	v_add_nc_u32_e32 v11, 1, v12
	s_delay_alu instid0(VALU_DEP_1) | instskip(NEXT) | instid1(VALU_DEP_1)
	v_cndmask_b32_e32 v6, 33, v11, vcc_lo
	v_sub_nc_u32_e32 v7, 32, v6
	s_delay_alu instid0(VALU_DEP_1) | instskip(SKIP_3) | instid1(VALU_DEP_3)
	v_alignbit_b32 v9, v9, v4, v7
	v_alignbit_b32 v2, v4, v2, v7
	v_lshrrev_b32_e32 v4, 29, v3
	v_lshrrev_b32_e32 v3, 30, v3
	v_alignbit_b32 v7, v9, v2, 9
	s_delay_alu instid0(VALU_DEP_3) | instskip(SKIP_1) | instid1(VALU_DEP_4)
	v_lshlrev_b32_e32 v4, 31, v4
	v_alignbit_b32 v9, v6, v9, 9
	v_add_nc_u32_e32 v3, v8, v3
	s_delay_alu instid0(VALU_DEP_4) | instskip(NEXT) | instid1(VALU_DEP_3)
	v_clz_i32_u32_e32 v10, v7
	v_or_b32_e32 v9, v9, v4
	v_or_b32_e32 v4, 0x33800000, v4
	s_delay_alu instid0(VALU_DEP_3) | instskip(NEXT) | instid1(VALU_DEP_3)
	v_min_u32_e32 v10, 32, v10
	v_xor_b32_e32 v9, 1.0, v9
	s_delay_alu instid0(VALU_DEP_2) | instskip(SKIP_1) | instid1(VALU_DEP_3)
	v_sub_nc_u32_e32 v11, 31, v10
	v_add_lshl_u32 v6, v10, v6, 23
	v_mul_f32_e32 v10, 0x3fc90fda, v9
	s_delay_alu instid0(VALU_DEP_3) | instskip(NEXT) | instid1(VALU_DEP_3)
	v_alignbit_b32 v2, v7, v2, v11
	v_sub_nc_u32_e32 v4, v4, v6
	s_delay_alu instid0(VALU_DEP_3) | instskip(NEXT) | instid1(VALU_DEP_3)
	v_fma_f32 v6, 0x3fc90fda, v9, -v10
	v_lshrrev_b32_e32 v2, 9, v2
	s_delay_alu instid0(VALU_DEP_2) | instskip(NEXT) | instid1(VALU_DEP_2)
	v_fmamk_f32 v6, v9, 0x33a22168, v6
	v_or_b32_e32 v2, v4, v2
	s_delay_alu instid0(VALU_DEP_1) | instskip(NEXT) | instid1(VALU_DEP_1)
	v_fmac_f32_e32 v6, 0x3fc90fda, v2
	v_add_f32_e32 v2, v10, v6
	s_or_saveexec_b32 s0, s5
	v_mul_f32_e64 v7, 0x3f22f983, |v0|
	s_xor_b32 exec_lo, exec_lo, s0
	s_branch .LBB23_1827
.LBB23_1781:
	s_mov_b32 s0, 0
	s_mov_b32 s1, 0
                                        ; implicit-def: $vgpr2_vgpr3
                                        ; implicit-def: $vgpr4
                                        ; implicit-def: $vgpr0
.LBB23_1782:
	s_and_b32 s2, s0, exec_lo
	s_and_not1_b32 s0, s40, exec_lo
	s_and_b32 s3, s35, exec_lo
	s_and_b32 s57, s1, exec_lo
	s_or_b32 s40, s0, s3
.LBB23_1783:
	s_or_b32 exec_lo, exec_lo, s41
	s_and_saveexec_b32 s0, s40
	s_cbranch_execz .LBB23_1786
; %bb.1784:
	; divergent unreachable
	s_or_b32 exec_lo, exec_lo, s0
	s_and_saveexec_b32 s0, s57
	s_delay_alu instid0(SALU_CYCLE_1)
	s_xor_b32 s0, exec_lo, s0
	s_cbranch_execnz .LBB23_1787
.LBB23_1785:
	s_or_b32 exec_lo, exec_lo, s0
	s_and_saveexec_b32 s0, s2
	s_cbranch_execnz .LBB23_1788
	s_branch .LBB23_1825
.LBB23_1786:
	s_or_b32 exec_lo, exec_lo, s0
	s_and_saveexec_b32 s0, s57
	s_delay_alu instid0(SALU_CYCLE_1)
	s_xor_b32 s0, exec_lo, s0
	s_cbranch_execz .LBB23_1785
.LBB23_1787:
	v_cmp_neq_f32_e32 vcc_lo, 0, v0
	v_cndmask_b32_e64 v1, 0, 1, vcc_lo
	global_store_b8 v[2:3], v1, off
	s_or_b32 exec_lo, exec_lo, s0
	s_and_saveexec_b32 s0, s2
	s_cbranch_execz .LBB23_1825
.LBB23_1788:
	v_cmp_gt_i16_e32 vcc_lo, 5, v4
	s_mov_b32 s0, -1
	s_cbranch_vccnz .LBB23_1809
; %bb.1789:
	v_cmp_gt_i16_e32 vcc_lo, 8, v4
	s_cbranch_vccnz .LBB23_1799
; %bb.1790:
	v_cmp_gt_i16_e32 vcc_lo, 9, v4
	s_cbranch_vccnz .LBB23_1796
; %bb.1791:
	v_cmp_lt_i16_e32 vcc_lo, 9, v4
	s_cbranch_vccz .LBB23_1793
; %bb.1792:
	v_cvt_f64_f32_e32 v[5:6], v0
	v_mov_b32_e32 v7, 0
	s_mov_b32 s0, 0
	s_delay_alu instid0(VALU_DEP_1)
	v_mov_b32_e32 v8, v7
	global_store_b128 v[2:3], v[5:8], off
.LBB23_1793:
	s_and_not1_b32 vcc_lo, exec_lo, s0
	s_cbranch_vccnz .LBB23_1795
; %bb.1794:
	v_mov_b32_e32 v1, 0
	global_store_b64 v[2:3], v[0:1], off
.LBB23_1795:
	s_mov_b32 s0, 0
.LBB23_1796:
	s_delay_alu instid0(SALU_CYCLE_1)
	s_and_not1_b32 vcc_lo, exec_lo, s0
	s_cbranch_vccnz .LBB23_1798
; %bb.1797:
	v_cvt_f16_f32_e32 v1, v0
	s_delay_alu instid0(VALU_DEP_1)
	v_and_b32_e32 v1, 0xffff, v1
	global_store_b32 v[2:3], v1, off
.LBB23_1798:
	s_mov_b32 s0, 0
.LBB23_1799:
	s_delay_alu instid0(SALU_CYCLE_1)
	s_and_not1_b32 vcc_lo, exec_lo, s0
	s_cbranch_vccnz .LBB23_1808
; %bb.1800:
	v_cmp_gt_i16_e32 vcc_lo, 6, v4
	s_mov_b32 s0, -1
	s_cbranch_vccnz .LBB23_1806
; %bb.1801:
	v_cmp_lt_i16_e32 vcc_lo, 6, v4
	s_cbranch_vccz .LBB23_1803
; %bb.1802:
	v_cvt_f64_f32_e32 v[5:6], v0
	s_mov_b32 s0, 0
	global_store_b64 v[2:3], v[5:6], off
.LBB23_1803:
	s_and_not1_b32 vcc_lo, exec_lo, s0
	s_cbranch_vccnz .LBB23_1805
; %bb.1804:
	global_store_b32 v[2:3], v0, off
.LBB23_1805:
	s_mov_b32 s0, 0
.LBB23_1806:
	s_delay_alu instid0(SALU_CYCLE_1)
	s_and_not1_b32 vcc_lo, exec_lo, s0
	s_cbranch_vccnz .LBB23_1808
; %bb.1807:
	v_cvt_f16_f32_e32 v1, v0
	global_store_b16 v[2:3], v1, off
.LBB23_1808:
	s_mov_b32 s0, 0
.LBB23_1809:
	s_delay_alu instid0(SALU_CYCLE_1)
	s_and_not1_b32 vcc_lo, exec_lo, s0
	s_cbranch_vccnz .LBB23_1825
; %bb.1810:
	v_cmp_gt_i16_e32 vcc_lo, 2, v4
	s_mov_b32 s0, -1
	s_cbranch_vccnz .LBB23_1820
; %bb.1811:
	v_cmp_gt_i16_e32 vcc_lo, 3, v4
	s_cbranch_vccnz .LBB23_1817
; %bb.1812:
	v_cmp_lt_i16_e32 vcc_lo, 3, v4
	s_cbranch_vccz .LBB23_1814
; %bb.1813:
	v_trunc_f32_e32 v1, v0
	s_mov_b32 s0, 0
	s_delay_alu instid0(VALU_DEP_1) | instskip(NEXT) | instid1(VALU_DEP_1)
	v_mul_f32_e64 v5, 0x2f800000, |v1|
	v_floor_f32_e32 v5, v5
	s_delay_alu instid0(VALU_DEP_1) | instskip(SKIP_2) | instid1(VALU_DEP_3)
	v_fma_f32 v6, 0xcf800000, v5, |v1|
	v_ashrrev_i32_e32 v1, 31, v1
	v_cvt_u32_f32_e32 v5, v5
	v_cvt_u32_f32_e32 v6, v6
	s_delay_alu instid0(VALU_DEP_2) | instskip(NEXT) | instid1(VALU_DEP_2)
	v_xor_b32_e32 v7, v5, v1
	v_xor_b32_e32 v6, v6, v1
	s_delay_alu instid0(VALU_DEP_1) | instskip(NEXT) | instid1(VALU_DEP_3)
	v_sub_co_u32 v5, vcc_lo, v6, v1
	v_sub_co_ci_u32_e32 v6, vcc_lo, v7, v1, vcc_lo
	global_store_b64 v[2:3], v[5:6], off
.LBB23_1814:
	s_and_not1_b32 vcc_lo, exec_lo, s0
	s_cbranch_vccnz .LBB23_1816
; %bb.1815:
	v_cvt_i32_f32_e32 v1, v0
	global_store_b32 v[2:3], v1, off
.LBB23_1816:
	s_mov_b32 s0, 0
.LBB23_1817:
	s_delay_alu instid0(SALU_CYCLE_1)
	s_and_not1_b32 vcc_lo, exec_lo, s0
	s_cbranch_vccnz .LBB23_1819
; %bb.1818:
	v_cvt_i32_f32_e32 v1, v0
	global_store_b16 v[2:3], v1, off
.LBB23_1819:
	s_mov_b32 s0, 0
.LBB23_1820:
	s_delay_alu instid0(SALU_CYCLE_1)
	s_and_not1_b32 vcc_lo, exec_lo, s0
	s_cbranch_vccnz .LBB23_1825
; %bb.1821:
	v_cmp_lt_i16_e32 vcc_lo, 0, v4
	s_mov_b32 s0, -1
	s_cbranch_vccz .LBB23_1823
; %bb.1822:
	v_cvt_i32_f32_e32 v1, v0
	s_mov_b32 s0, 0
	global_store_b8 v[2:3], v1, off
.LBB23_1823:
	s_and_not1_b32 vcc_lo, exec_lo, s0
	s_cbranch_vccnz .LBB23_1825
; %bb.1824:
	v_trunc_f32_e32 v0, v0
	s_delay_alu instid0(VALU_DEP_1) | instskip(NEXT) | instid1(VALU_DEP_1)
	v_mul_f32_e64 v1, 0x2f800000, |v0|
	v_floor_f32_e32 v1, v1
	s_delay_alu instid0(VALU_DEP_1) | instskip(SKIP_1) | instid1(VALU_DEP_2)
	v_fma_f32 v1, 0xcf800000, v1, |v0|
	v_ashrrev_i32_e32 v0, 31, v0
	v_cvt_u32_f32_e32 v1, v1
	s_delay_alu instid0(VALU_DEP_1) | instskip(NEXT) | instid1(VALU_DEP_1)
	v_xor_b32_e32 v1, v1, v0
	v_sub_nc_u32_e32 v0, v1, v0
	global_store_b8 v[2:3], v0, off
	s_endpgm
.LBB23_1825:
	s_endpgm
.LBB23_1826:
	s_or_saveexec_b32 s0, s5
	v_mul_f32_e64 v7, 0x3f22f983, |v0|
	s_xor_b32 exec_lo, exec_lo, s0
.LBB23_1827:
	s_delay_alu instid0(VALU_DEP_1) | instskip(NEXT) | instid1(VALU_DEP_1)
	v_rndne_f32_e32 v3, v7
	v_fma_f32 v2, 0xbfc90fda, v3, |v0|
	s_delay_alu instid0(VALU_DEP_1) | instskip(NEXT) | instid1(VALU_DEP_1)
	v_fmamk_f32 v2, v3, 0xb3a22168, v2
	v_fmamk_f32 v2, v3, 0xa7c234c4, v2
	v_cvt_i32_f32_e32 v3, v3
; %bb.1828:
	s_or_b32 exec_lo, exec_lo, s0
                                        ; implicit-def: $vgpr6
                                        ; implicit-def: $vgpr4
	s_and_saveexec_b32 s0, s4
	s_delay_alu instid0(SALU_CYCLE_1)
	s_xor_b32 s4, exec_lo, s0
	s_cbranch_execz .LBB23_1830
; %bb.1829:
	s_mov_b32 s0, 0x7fffff
	v_mov_b32_e32 v8, 0
	v_and_or_b32 v15, v1, s0, 0x800000
	s_delay_alu instid0(VALU_DEP_1) | instskip(NEXT) | instid1(VALU_DEP_1)
	v_mad_u64_u32 v[6:7], null, 0xfe5163ab, v15, 0
	v_mad_u64_u32 v[9:10], null, 0x3c439041, v15, v[7:8]
	s_delay_alu instid0(VALU_DEP_1) | instskip(NEXT) | instid1(VALU_DEP_1)
	v_mov_b32_e32 v7, v10
	v_mad_u64_u32 v[10:11], null, 0xdb629599, v15, v[7:8]
	s_delay_alu instid0(VALU_DEP_1) | instskip(NEXT) | instid1(VALU_DEP_1)
	v_mov_b32_e32 v7, v11
	v_mad_u64_u32 v[11:12], null, 0xf534ddc0, v15, v[7:8]
	s_delay_alu instid0(VALU_DEP_1) | instskip(NEXT) | instid1(VALU_DEP_1)
	v_dual_mov_b32 v7, v12 :: v_dual_add_nc_u32 v12, 0xffffff88, v5
	v_mad_u64_u32 v[4:5], null, 0xfc2757d1, v15, v[7:8]
	s_delay_alu instid0(VALU_DEP_2) | instskip(SKIP_1) | instid1(VALU_DEP_3)
	v_cmp_lt_u32_e32 vcc_lo, 63, v12
	v_cndmask_b32_e64 v13, 0, 0xffffffc0, vcc_lo
	v_dual_mov_b32 v7, v5 :: v_dual_cndmask_b32 v6, v10, v6
	s_delay_alu instid0(VALU_DEP_2) | instskip(NEXT) | instid1(VALU_DEP_2)
	v_add_nc_u32_e32 v5, v13, v12
	v_mad_u64_u32 v[12:13], null, 0x4e441529, v15, v[7:8]
	s_delay_alu instid0(VALU_DEP_2) | instskip(NEXT) | instid1(VALU_DEP_2)
	v_cmp_lt_u32_e64 s0, 31, v5
	v_mov_b32_e32 v7, v13
	s_delay_alu instid0(VALU_DEP_2) | instskip(NEXT) | instid1(VALU_DEP_1)
	v_cndmask_b32_e64 v14, 0, 0xffffffe0, s0
	v_add_nc_u32_e32 v5, v14, v5
	s_delay_alu instid0(VALU_DEP_3) | instskip(SKIP_1) | instid1(VALU_DEP_3)
	v_mad_u64_u32 v[13:14], null, 0xa2f9836e, v15, v[7:8]
	v_cndmask_b32_e32 v8, v12, v11, vcc_lo
	v_cmp_lt_u32_e64 s1, 31, v5
	s_delay_alu instid0(VALU_DEP_3) | instskip(NEXT) | instid1(VALU_DEP_2)
	v_cndmask_b32_e32 v13, v13, v4, vcc_lo
	v_cndmask_b32_e64 v7, 0, 0xffffffe0, s1
	v_cndmask_b32_e32 v12, v14, v12, vcc_lo
	s_delay_alu instid0(VALU_DEP_2) | instskip(SKIP_2) | instid1(VALU_DEP_4)
	v_dual_cndmask_b32 v4, v4, v10 :: v_dual_add_nc_u32 v5, v7, v5
	v_cndmask_b32_e32 v7, v11, v9, vcc_lo
	v_cndmask_b32_e64 v9, v13, v8, s0
	v_cndmask_b32_e64 v11, v12, v13, s0
	s_delay_alu instid0(VALU_DEP_4)
	v_cndmask_b32_e64 v8, v8, v4, s0
	v_sub_nc_u32_e32 v12, 32, v5
	v_cndmask_b32_e64 v4, v4, v7, s0
	v_cmp_eq_u32_e64 s2, 0, v5
	v_cndmask_b32_e64 v11, v11, v9, s1
	v_cndmask_b32_e64 v9, v9, v8, s1
	;; [unrolled: 1-line block ×4, first 2 shown]
	s_delay_alu instid0(VALU_DEP_3) | instskip(NEXT) | instid1(VALU_DEP_3)
	v_alignbit_b32 v13, v11, v9, v12
	v_cndmask_b32_e64 v4, v4, v6, s1
	s_delay_alu instid0(VALU_DEP_3) | instskip(NEXT) | instid1(VALU_DEP_3)
	v_alignbit_b32 v14, v9, v8, v12
	v_cndmask_b32_e64 v5, v13, v11, s2
	;; [unrolled: 3-line block ×3, first 2 shown]
	s_delay_alu instid0(VALU_DEP_3) | instskip(NEXT) | instid1(VALU_DEP_3)
	v_bfe_u32 v10, v5, 29, 1
	v_cndmask_b32_e64 v8, v12, v8, s2
	s_delay_alu instid0(VALU_DEP_3) | instskip(NEXT) | instid1(VALU_DEP_3)
	v_alignbit_b32 v7, v5, v9, 30
	v_sub_nc_u32_e32 v11, 0, v10
	s_delay_alu instid0(VALU_DEP_3) | instskip(SKIP_1) | instid1(VALU_DEP_3)
	v_alignbit_b32 v9, v9, v8, 30
	v_alignbit_b32 v4, v8, v4, 30
	v_xor_b32_e32 v6, v7, v11
	v_cmp_ne_u32_e32 vcc_lo, v7, v11
	s_delay_alu instid0(VALU_DEP_4) | instskip(NEXT) | instid1(VALU_DEP_4)
	v_xor_b32_e32 v8, v9, v11
	v_xor_b32_e32 v4, v4, v11
	s_delay_alu instid0(VALU_DEP_4) | instskip(NEXT) | instid1(VALU_DEP_1)
	v_clz_i32_u32_e32 v13, v6
	v_add_nc_u32_e32 v12, 1, v13
	s_delay_alu instid0(VALU_DEP_1) | instskip(NEXT) | instid1(VALU_DEP_1)
	v_cndmask_b32_e32 v7, 33, v12, vcc_lo
	v_sub_nc_u32_e32 v9, 32, v7
	s_delay_alu instid0(VALU_DEP_1) | instskip(SKIP_3) | instid1(VALU_DEP_3)
	v_alignbit_b32 v6, v6, v8, v9
	v_alignbit_b32 v4, v8, v4, v9
	v_lshrrev_b32_e32 v8, 29, v5
	v_lshrrev_b32_e32 v5, 30, v5
	v_alignbit_b32 v9, v6, v4, 9
	s_delay_alu instid0(VALU_DEP_3) | instskip(SKIP_1) | instid1(VALU_DEP_3)
	v_lshlrev_b32_e32 v8, 31, v8
	v_alignbit_b32 v6, v7, v6, 9
	v_clz_i32_u32_e32 v11, v9
	s_delay_alu instid0(VALU_DEP_2) | instskip(SKIP_1) | instid1(VALU_DEP_3)
	v_or_b32_e32 v6, v6, v8
	v_or_b32_e32 v8, 0x33800000, v8
	v_min_u32_e32 v11, 32, v11
	s_delay_alu instid0(VALU_DEP_3) | instskip(NEXT) | instid1(VALU_DEP_2)
	v_xor_b32_e32 v6, 1.0, v6
	v_sub_nc_u32_e32 v12, 31, v11
	v_add_lshl_u32 v7, v11, v7, 23
	s_delay_alu instid0(VALU_DEP_3) | instskip(NEXT) | instid1(VALU_DEP_3)
	v_mul_f32_e32 v11, 0x3fc90fda, v6
	v_alignbit_b32 v4, v9, v4, v12
	s_delay_alu instid0(VALU_DEP_3) | instskip(NEXT) | instid1(VALU_DEP_3)
	v_sub_nc_u32_e32 v7, v8, v7
	v_fma_f32 v8, 0x3fc90fda, v6, -v11
	s_delay_alu instid0(VALU_DEP_3) | instskip(NEXT) | instid1(VALU_DEP_2)
	v_lshrrev_b32_e32 v4, 9, v4
	v_fmamk_f32 v6, v6, 0x33a22168, v8
	s_delay_alu instid0(VALU_DEP_2) | instskip(NEXT) | instid1(VALU_DEP_1)
	v_or_b32_e32 v4, v7, v4
                                        ; implicit-def: $vgpr7
	v_fmac_f32_e32 v6, 0x3fc90fda, v4
	s_delay_alu instid0(VALU_DEP_1)
	v_add_f32_e32 v4, v11, v6
	v_add_nc_u32_e32 v6, v10, v5
	s_and_not1_saveexec_b32 s0, s4
	s_cbranch_execnz .LBB23_1831
	s_branch .LBB23_1832
.LBB23_1830:
	s_and_not1_saveexec_b32 s0, s4
.LBB23_1831:
	v_rndne_f32_e32 v5, v7
	s_delay_alu instid0(VALU_DEP_1) | instskip(SKIP_1) | instid1(VALU_DEP_2)
	v_fma_f32 v4, 0xbfc90fda, v5, |v0|
	v_cvt_i32_f32_e32 v6, v5
	v_fmamk_f32 v4, v5, 0xb3a22168, v4
	s_delay_alu instid0(VALU_DEP_1)
	v_fmamk_f32 v4, v5, 0xa7c234c4, v4
.LBB23_1832:
	s_or_b32 exec_lo, exec_lo, s0
	v_div_scale_f32 v5, null, v41, v41, 0x40a00000
	v_div_scale_f32 v9, vcc_lo, 0x40a00000, v41, 0x40a00000
	s_mov_b32 s0, 0xb94c1982
	s_delay_alu instid0(VALU_DEP_2) | instskip(SKIP_4) | instid1(VALU_DEP_1)
	v_rcp_f32_e32 v7, v5
	s_mov_b32 s1, 0x37d75334
	v_xor_b32_e32 v1, v1, v0
	s_waitcnt_depctr 0xfff
	v_fma_f32 v8, -v5, v7, 1.0
	v_fmac_f32_e32 v7, v8, v7
	s_delay_alu instid0(VALU_DEP_1) | instskip(NEXT) | instid1(VALU_DEP_1)
	v_mul_f32_e32 v8, v9, v7
	v_fma_f32 v10, -v5, v8, v9
	s_delay_alu instid0(VALU_DEP_1) | instskip(SKIP_1) | instid1(VALU_DEP_2)
	v_fmac_f32_e32 v8, v10, v7
	v_mul_f32_e32 v10, v4, v4
	v_fma_f32 v5, -v5, v8, v9
	s_delay_alu instid0(VALU_DEP_2) | instskip(SKIP_1) | instid1(VALU_DEP_3)
	v_fmaak_f32 v19, s0, v10, 0x3c0881c4
	v_fmaak_f32 v20, s1, v10, 0xbab64f3b
	v_div_fmas_f32 v5, v5, v7, v8
	v_mul_f32_e32 v7, v2, v2
	s_delay_alu instid0(VALU_DEP_4)
	v_fmaak_f32 v19, v10, v19, 0xbe2aaa9d
	v_mul_f32_e32 v16, 0x4f800000, v41
	v_fmaak_f32 v20, v10, v20, 0x3d2aabf7
	v_div_fixup_f32 v5, v5, v41, 0x40a00000
	v_fmaak_f32 v17, s0, v7, 0x3c0881c4
	v_cmp_gt_f32_e64 s0, 0xf800000, v41
	v_fmaak_f32 v18, s1, v7, 0xbab64f3b
	v_mul_f32_e32 v19, v10, v19
	v_dual_mul_f32 v9, v5, v5 :: v_dual_and_b32 v8, 1, v3
	v_lshlrev_b32_e32 v3, 30, v3
	v_and_b32_e32 v11, 1, v6
	v_cndmask_b32_e64 v16, v41, v16, s0
	s_delay_alu instid0(VALU_DEP_4) | instskip(SKIP_3) | instid1(VALU_DEP_4)
	v_fmaak_f32 v14, 0, v9, 0x3a47c962
	v_fmaak_f32 v13, 0, v9, 0x3a15c4d9
	;; [unrolled: 1-line block ×3, first 2 shown]
	v_dual_fmaak_f32 v15, 0, v9, 0x42947983 :: v_dual_lshlrev_b32 v6, 30, v6
	v_fmaak_f32 v14, v9, v14, 0x3d95ca45
	s_delay_alu instid0(VALU_DEP_4) | instskip(SKIP_2) | instid1(VALU_DEP_3)
	v_dual_fmaak_f32 v13, v9, v13, 0x3d8cfeeb :: v_dual_fmac_f32 v4, v4, v19
	v_sqrt_f32_e32 v24, v16
	v_fmaak_f32 v17, v7, v17, 0xbe2aaa9d
	v_fmaak_f32 v14, v9, v14, 0x3f9047f6
	s_delay_alu instid0(VALU_DEP_3)
	v_fmaak_f32 v13, v9, v13, 0x3f8d754e
	v_fmaak_f32 v12, v9, v12, 0x409f6dae
	;; [unrolled: 1-line block ×3, first 2 shown]
	v_mul_f32_e32 v17, v7, v17
	v_fmaak_f32 v15, v9, v15, 0x44840e5d
	v_fmaak_f32 v20, v10, v20, 0xbf000004
	v_cmp_eq_u32_e64 s2, 0, v8
	v_fmaak_f32 v18, v7, v18, 0xbf000004
	v_fmac_f32_e32 v2, v2, v17
	v_fmaak_f32 v13, v9, v13, 0x40a25d18
	v_fmaak_f32 v15, v9, v15, 0x459bd349
	v_fma_f32 v10, v10, v20, 1.0
	v_fma_f32 v7, v7, v18, 1.0
	v_and_b32_e32 v3, 0x80000000, v3
	v_dual_fmaak_f32 v14, v9, v14, 0x40a39628 :: v_dual_add_nc_u32 v19, -1, v24
	v_fmaak_f32 v13, v9, v13, 0x410665cf
	v_fmaak_f32 v15, v9, v15, 0x46156947
	v_cndmask_b32_e64 v2, v7, v2, s2
	v_cmp_eq_u32_e64 s2, 0, v11
	v_fmaak_f32 v14, v9, v14, 0x4106c8e4
	v_fmaak_f32 v13, v9, v13, 0x40a6b6ea
	v_fmaak_f32 v15, v9, v15, 0x45f9e855
	v_fma_f32 v7, -v19, v24, v16
	v_cndmask_b32_e64 v4, -v4, v10, s2
	v_fmaak_f32 v14, v9, v14, 0x40a6dd51
	v_fma_f32 v13, v9, v13, 1.0
	v_fmaak_f32 v15, v9, v15, 0x4530a316
	v_xor3_b32 v1, v1, v3, v2
	v_and_b32_e32 v6, 0x80000000, v6
	v_fma_f32 v14, v9, v14, 1.0
	s_delay_alu instid0(VALU_DEP_4) | instskip(NEXT) | instid1(VALU_DEP_3)
	v_fmaak_f32 v15, v9, v15, 0x43a80bfb
	v_xor_b32_e32 v4, v6, v4
	s_delay_alu instid0(VALU_DEP_3) | instskip(SKIP_1) | instid1(VALU_DEP_1)
	v_div_scale_f32 v27, vcc_lo, v14, v13, v14
	v_fmaak_f32 v12, v9, v12, 0x4297a5cd
	v_fmaak_f32 v12, v9, v12, 0x43b763ca
	s_delay_alu instid0(VALU_DEP_1) | instskip(NEXT) | instid1(VALU_DEP_1)
	v_fmaak_f32 v12, v9, v12, 0x4431b6ce
	v_fmaak_f32 v12, v9, v12, 0x44155f56
	s_delay_alu instid0(VALU_DEP_1) | instskip(NEXT) | instid1(VALU_DEP_1)
	v_fmaak_f32 v12, v9, v12, 0x4353b052
	v_fmaak_f32 v9, v9, v12, 0x41c9a7fa
	v_div_scale_f32 v12, null, v13, v13, v14
	s_delay_alu instid0(VALU_DEP_2) | instskip(NEXT) | instid1(VALU_DEP_2)
	v_div_scale_f32 v21, null, v15, v15, v9
	v_rcp_f32_e32 v22, v12
	s_delay_alu instid0(VALU_DEP_1) | instskip(SKIP_3) | instid1(VALU_DEP_2)
	v_rcp_f32_e32 v23, v21
	s_waitcnt_depctr 0xfff
	v_fma_f32 v25, -v12, v22, 1.0
	v_fma_f32 v26, -v21, v23, 1.0
	v_fmac_f32_e32 v22, v25, v22
	v_div_scale_f32 v25, s1, v9, v15, v9
	s_delay_alu instid0(VALU_DEP_3) | instskip(NEXT) | instid1(VALU_DEP_1)
	v_dual_fmac_f32 v23, v26, v23 :: v_dual_add_nc_u32 v26, 1, v24
	v_dual_mul_f32 v17, v27, v22 :: v_dual_mul_f32 v18, v25, v23
	s_delay_alu instid0(VALU_DEP_2) | instskip(NEXT) | instid1(VALU_DEP_2)
	v_fma_f32 v8, -v26, v24, v16
	v_fma_f32 v20, -v12, v17, v27
	s_delay_alu instid0(VALU_DEP_3) | instskip(NEXT) | instid1(VALU_DEP_2)
	v_fma_f32 v28, -v21, v18, v25
	v_fmac_f32_e32 v17, v20, v22
	s_delay_alu instid0(VALU_DEP_2) | instskip(NEXT) | instid1(VALU_DEP_2)
	v_fmac_f32_e32 v18, v28, v23
	v_fma_f32 v10, -v12, v17, v27
	s_delay_alu instid0(VALU_DEP_2) | instskip(NEXT) | instid1(VALU_DEP_2)
	v_fma_f32 v2, -v21, v18, v25
	v_div_fmas_f32 v3, v10, v22, v17
	s_mov_b32 vcc_lo, s1
	v_cmp_lt_f32_e64 s1, 0, v8
	s_delay_alu instid0(VALU_DEP_3)
	v_div_fmas_f32 v2, v2, v23, v18
	v_cmp_ge_f32_e32 vcc_lo, 0, v7
	v_div_fixup_f32 v3, v3, v13, v14
	v_cndmask_b32_e32 v6, v24, v19, vcc_lo
	v_cmp_class_f32_e64 vcc_lo, v0, 0x1f8
	v_div_fixup_f32 v0, v2, v15, v9
	s_delay_alu instid0(VALU_DEP_3) | instskip(SKIP_1) | instid1(VALU_DEP_3)
	v_cndmask_b32_e64 v2, v6, v26, s1
	v_cndmask_b32_e32 v4, 0x7fc00000, v4, vcc_lo
	v_dual_mul_f32 v0, v5, v0 :: v_dual_cndmask_b32 v1, 0x7fc00000, v1
	v_cmp_class_f32_e64 vcc_lo, v16, 0x260
	s_delay_alu instid0(VALU_DEP_2) | instskip(NEXT) | instid1(VALU_DEP_1)
	v_dual_mul_f32 v5, 0x37800000, v2 :: v_dual_mul_f32 v0, v0, v4
	v_cndmask_b32_e64 v2, v2, v5, s0
	s_delay_alu instid0(VALU_DEP_1) | instskip(NEXT) | instid1(VALU_DEP_1)
	v_dual_fmac_f32 v0, v3, v1 :: v_dual_cndmask_b32 v1, v2, v16
	v_mul_f32_e32 v0, 0x3f4c422a, v0
	s_delay_alu instid0(VALU_DEP_1) | instskip(NEXT) | instid1(VALU_DEP_1)
	v_div_scale_f32 v2, null, v1, v1, v0
	v_rcp_f32_e32 v3, v2
	s_waitcnt_depctr 0xfff
	v_fma_f32 v4, -v2, v3, 1.0
	s_delay_alu instid0(VALU_DEP_1) | instskip(SKIP_1) | instid1(VALU_DEP_1)
	v_fmac_f32_e32 v3, v4, v3
	v_div_scale_f32 v4, vcc_lo, v0, v1, v0
	v_mul_f32_e32 v5, v4, v3
	s_delay_alu instid0(VALU_DEP_1) | instskip(NEXT) | instid1(VALU_DEP_1)
	v_fma_f32 v6, -v2, v5, v4
	v_fmac_f32_e32 v5, v6, v3
	s_delay_alu instid0(VALU_DEP_1) | instskip(NEXT) | instid1(VALU_DEP_1)
	v_fma_f32 v2, -v2, v5, v4
	v_div_fmas_f32 v2, v2, v3, v5
	s_delay_alu instid0(VALU_DEP_1)
	v_div_fixup_f32 v0, v2, v1, v0
.LBB23_1833:
	s_or_b32 exec_lo, exec_lo, s3
	s_lshr_b32 s0, s42, 8
	s_mov_b32 s2, 0
	v_and_b32_e64 v4, 0xff, s0
	v_add_co_u32 v1, s0, s36, v45
	s_delay_alu instid0(VALU_DEP_1) | instskip(NEXT) | instid1(VALU_DEP_3)
	v_add_co_ci_u32_e64 v2, null, s37, 0, s0
	v_cmp_gt_i16_e32 vcc_lo, 11, v4
	s_mov_b32 s0, -1
	s_cbranch_vccnz .LBB23_1911
; %bb.1834:
	v_cmp_lt_i16_e32 vcc_lo, 25, v4
	s_mov_b32 s3, -1
	s_mov_b32 s1, 0
	s_mov_b32 s0, 0
	s_cbranch_vccz .LBB23_1867
; %bb.1835:
	v_cmp_lt_i16_e32 vcc_lo, 28, v4
	s_cbranch_vccz .LBB23_1850
; %bb.1836:
	v_cmp_lt_i16_e32 vcc_lo, 43, v4
	;; [unrolled: 3-line block ×3, first 2 shown]
	s_cbranch_vccz .LBB23_1840
; %bb.1838:
	v_cmp_eq_u16_e32 vcc_lo, 46, v4
	s_mov_b32 s0, -1
	s_mov_b32 s3, 0
	s_cbranch_vccz .LBB23_1840
; %bb.1839:
	v_bfe_u32 v3, v46, 16, 1
	v_cmp_o_f32_e32 vcc_lo, v46, v46
	s_mov_b32 s0, 0
	s_mov_b32 s2, -1
	s_delay_alu instid0(VALU_DEP_2) | instskip(NEXT) | instid1(VALU_DEP_1)
	v_add3_u32 v3, v46, v3, 0x7fff
	v_lshrrev_b32_e32 v3, 16, v3
	s_delay_alu instid0(VALU_DEP_1)
	v_cndmask_b32_e32 v3, 0x7fc0, v3, vcc_lo
	global_store_b32 v[1:2], v3, off
.LBB23_1840:
	s_and_b32 vcc_lo, exec_lo, s3
	s_cbranch_vccz .LBB23_1845
; %bb.1841:
	v_cmp_eq_u16_e32 vcc_lo, 44, v4
	s_mov_b32 s0, -1
	s_cbranch_vccz .LBB23_1845
; %bb.1842:
	v_bfe_u32 v5, v46, 23, 8
	v_mov_b32_e32 v3, 0xff
	s_mov_b32 s2, exec_lo
	s_delay_alu instid0(VALU_DEP_2)
	v_cmpx_ne_u32_e32 0xff, v5
; %bb.1843:
	v_and_b32_e32 v3, 0x400000, v46
	v_and_or_b32 v5, 0x3fffff, v46, v5
	s_delay_alu instid0(VALU_DEP_2) | instskip(NEXT) | instid1(VALU_DEP_2)
	v_cmp_ne_u32_e32 vcc_lo, 0, v3
	v_cmp_ne_u32_e64 s0, 0, v5
	v_lshrrev_b32_e32 v3, 23, v46
	s_delay_alu instid0(VALU_DEP_2) | instskip(NEXT) | instid1(SALU_CYCLE_1)
	s_and_b32 s0, vcc_lo, s0
	v_cndmask_b32_e64 v5, 0, 1, s0
	s_delay_alu instid0(VALU_DEP_1)
	v_add_nc_u32_e32 v3, v3, v5
; %bb.1844:
	s_or_b32 exec_lo, exec_lo, s2
	s_mov_b32 s0, 0
	s_mov_b32 s2, -1
	global_store_b8 v[1:2], v3, off
.LBB23_1845:
	s_mov_b32 s3, 0
.LBB23_1846:
	s_delay_alu instid0(SALU_CYCLE_1)
	s_and_b32 vcc_lo, exec_lo, s3
	s_cbranch_vccz .LBB23_1849
; %bb.1847:
	v_cmp_eq_u16_e32 vcc_lo, 29, v4
	s_mov_b32 s0, -1
	s_cbranch_vccz .LBB23_1849
; %bb.1848:
	v_trunc_f32_e32 v3, v46
	s_mov_b32 s0, 0
	s_mov_b32 s2, -1
	s_delay_alu instid0(VALU_DEP_1) | instskip(NEXT) | instid1(VALU_DEP_1)
	v_mul_f32_e32 v5, 0x2f800000, v3
	v_floor_f32_e32 v5, v5
	s_delay_alu instid0(VALU_DEP_1) | instskip(SKIP_1) | instid1(VALU_DEP_2)
	v_fmamk_f32 v3, v5, 0xcf800000, v3
	v_cvt_u32_f32_e32 v6, v5
	v_cvt_u32_f32_e32 v5, v3
	global_store_b64 v[1:2], v[5:6], off
.LBB23_1849:
	s_mov_b32 s3, 0
.LBB23_1850:
	s_delay_alu instid0(SALU_CYCLE_1)
	s_and_b32 vcc_lo, exec_lo, s3
	s_cbranch_vccz .LBB23_1866
; %bb.1851:
	v_cmp_gt_i16_e32 vcc_lo, 27, v4
	s_mov_b32 s2, -1
	s_cbranch_vccnz .LBB23_1857
; %bb.1852:
	v_cmp_lt_i16_e32 vcc_lo, 27, v4
	v_cvt_u32_f32_e32 v3, v46
	s_cbranch_vccz .LBB23_1854
; %bb.1853:
	s_mov_b32 s2, 0
	global_store_b32 v[1:2], v3, off
.LBB23_1854:
	s_and_not1_b32 vcc_lo, exec_lo, s2
	s_cbranch_vccnz .LBB23_1856
; %bb.1855:
	global_store_b16 v[1:2], v3, off
.LBB23_1856:
	s_mov_b32 s2, 0
.LBB23_1857:
	s_delay_alu instid0(SALU_CYCLE_1)
	s_and_not1_b32 vcc_lo, exec_lo, s2
	s_cbranch_vccnz .LBB23_1865
; %bb.1858:
	v_and_b32_e32 v3, 0x7fffffff, v46
	v_mov_b32_e32 v5, 0x80
	s_mov_b32 s2, exec_lo
	s_delay_alu instid0(VALU_DEP_2)
	v_cmpx_gt_u32_e32 0x43800000, v3
	s_cbranch_execz .LBB23_1864
; %bb.1859:
	v_cmp_lt_u32_e32 vcc_lo, 0x3bffffff, v3
	s_mov_b32 s3, 0
                                        ; implicit-def: $vgpr3
	s_and_saveexec_b32 s4, vcc_lo
	s_delay_alu instid0(SALU_CYCLE_1)
	s_xor_b32 s4, exec_lo, s4
	s_cbranch_execz .LBB23_2266
; %bb.1860:
	v_bfe_u32 v3, v46, 20, 1
	s_mov_b32 s3, exec_lo
	s_delay_alu instid0(VALU_DEP_1) | instskip(NEXT) | instid1(VALU_DEP_1)
	v_add3_u32 v3, v46, v3, 0x487ffff
	v_lshrrev_b32_e32 v3, 20, v3
	s_or_saveexec_b32 s4, s4
                                        ; implicit-def: $sgpr5
	s_delay_alu instid0(SALU_CYCLE_1)
	s_xor_b32 exec_lo, exec_lo, s4
	s_cbranch_execnz .LBB23_2267
.LBB23_1861:
	s_or_b32 exec_lo, exec_lo, s4
	v_mov_b32_e32 v5, s5
	s_and_saveexec_b32 s4, s3
.LBB23_1862:
	v_lshrrev_b32_e32 v5, 24, v46
	s_delay_alu instid0(VALU_DEP_1)
	v_and_or_b32 v5, 0x80, v5, v3
.LBB23_1863:
	s_or_b32 exec_lo, exec_lo, s4
.LBB23_1864:
	s_delay_alu instid0(SALU_CYCLE_1)
	s_or_b32 exec_lo, exec_lo, s2
	global_store_b8 v[1:2], v5, off
.LBB23_1865:
	s_mov_b32 s2, -1
.LBB23_1866:
	s_mov_b32 s3, 0
.LBB23_1867:
	s_delay_alu instid0(SALU_CYCLE_1)
	s_and_b32 vcc_lo, exec_lo, s3
	s_cbranch_vccz .LBB23_1907
; %bb.1868:
	v_cmp_lt_i16_e32 vcc_lo, 22, v4
	s_mov_b32 s1, -1
	s_cbranch_vccz .LBB23_1900
; %bb.1869:
	v_cmp_gt_i16_e32 vcc_lo, 24, v4
	s_cbranch_vccnz .LBB23_1889
; %bb.1870:
	v_cmp_lt_i16_e32 vcc_lo, 24, v4
	s_cbranch_vccz .LBB23_1878
; %bb.1871:
	v_and_b32_e32 v3, 0x7fffffff, v46
	v_mov_b32_e32 v5, 0x80
	s_mov_b32 s1, exec_lo
	s_delay_alu instid0(VALU_DEP_2)
	v_cmpx_gt_u32_e32 0x47800000, v3
	s_cbranch_execz .LBB23_1877
; %bb.1872:
	v_cmp_lt_u32_e32 vcc_lo, 0x37ffffff, v3
	s_mov_b32 s2, 0
                                        ; implicit-def: $vgpr3
	s_and_saveexec_b32 s3, vcc_lo
	s_delay_alu instid0(SALU_CYCLE_1)
	s_xor_b32 s3, exec_lo, s3
	s_cbranch_execz .LBB23_2272
; %bb.1873:
	v_bfe_u32 v3, v46, 21, 1
	s_mov_b32 s2, exec_lo
	s_delay_alu instid0(VALU_DEP_1) | instskip(NEXT) | instid1(VALU_DEP_1)
	v_add3_u32 v3, v46, v3, 0x88fffff
	v_lshrrev_b32_e32 v3, 21, v3
	s_or_saveexec_b32 s3, s3
                                        ; implicit-def: $sgpr4
	s_delay_alu instid0(SALU_CYCLE_1)
	s_xor_b32 exec_lo, exec_lo, s3
	s_cbranch_execnz .LBB23_2273
.LBB23_1874:
	s_or_b32 exec_lo, exec_lo, s3
	v_mov_b32_e32 v5, s4
	s_and_saveexec_b32 s3, s2
.LBB23_1875:
	v_lshrrev_b32_e32 v5, 24, v46
	s_delay_alu instid0(VALU_DEP_1)
	v_and_or_b32 v5, 0x80, v5, v3
.LBB23_1876:
	s_or_b32 exec_lo, exec_lo, s3
.LBB23_1877:
	s_delay_alu instid0(SALU_CYCLE_1)
	s_or_b32 exec_lo, exec_lo, s1
	s_mov_b32 s1, 0
	global_store_b8 v[1:2], v5, off
.LBB23_1878:
	s_and_b32 vcc_lo, exec_lo, s1
	s_cbranch_vccz .LBB23_1888
; %bb.1879:
	v_and_b32_e32 v5, 0x7fffffff, v46
	s_mov_b32 s1, exec_lo
                                        ; implicit-def: $vgpr3
	s_delay_alu instid0(VALU_DEP_1)
	v_cmpx_gt_u32_e32 0x43f00000, v5
	s_xor_b32 s1, exec_lo, s1
	s_cbranch_execz .LBB23_1885
; %bb.1880:
	s_mov_b32 s2, exec_lo
                                        ; implicit-def: $vgpr3
	v_cmpx_lt_u32_e32 0x3c7fffff, v5
	s_xor_b32 s2, exec_lo, s2
; %bb.1881:
	v_bfe_u32 v3, v46, 20, 1
	s_delay_alu instid0(VALU_DEP_1) | instskip(NEXT) | instid1(VALU_DEP_1)
	v_add3_u32 v3, v46, v3, 0x407ffff
	v_and_b32_e32 v5, 0xff00000, v3
	v_lshrrev_b32_e32 v3, 20, v3
	s_delay_alu instid0(VALU_DEP_2) | instskip(NEXT) | instid1(VALU_DEP_2)
	v_cmp_ne_u32_e32 vcc_lo, 0x7f00000, v5
	v_cndmask_b32_e32 v3, 0x7e, v3, vcc_lo
; %bb.1882:
	s_and_not1_saveexec_b32 s2, s2
; %bb.1883:
	v_add_f32_e64 v3, 0x46800000, |v46|
; %bb.1884:
	s_or_b32 exec_lo, exec_lo, s2
                                        ; implicit-def: $vgpr5
.LBB23_1885:
	s_and_not1_saveexec_b32 s1, s1
; %bb.1886:
	v_mov_b32_e32 v3, 0x7f
	v_cmp_lt_u32_e32 vcc_lo, 0x7f800000, v5
	s_delay_alu instid0(VALU_DEP_2)
	v_cndmask_b32_e32 v3, 0x7e, v3, vcc_lo
; %bb.1887:
	s_or_b32 exec_lo, exec_lo, s1
	v_lshrrev_b32_e32 v5, 24, v46
	s_delay_alu instid0(VALU_DEP_1)
	v_and_or_b32 v3, 0x80, v5, v3
	global_store_b8 v[1:2], v3, off
.LBB23_1888:
	s_mov_b32 s1, 0
.LBB23_1889:
	s_delay_alu instid0(SALU_CYCLE_1)
	s_and_not1_b32 vcc_lo, exec_lo, s1
	s_cbranch_vccnz .LBB23_1899
; %bb.1890:
	v_and_b32_e32 v5, 0x7fffffff, v46
	s_mov_b32 s1, exec_lo
                                        ; implicit-def: $vgpr3
	s_delay_alu instid0(VALU_DEP_1)
	v_cmpx_gt_u32_e32 0x47800000, v5
	s_xor_b32 s1, exec_lo, s1
	s_cbranch_execz .LBB23_1896
; %bb.1891:
	s_mov_b32 s2, exec_lo
                                        ; implicit-def: $vgpr3
	v_cmpx_lt_u32_e32 0x387fffff, v5
	s_xor_b32 s2, exec_lo, s2
; %bb.1892:
	v_bfe_u32 v3, v46, 21, 1
	s_delay_alu instid0(VALU_DEP_1) | instskip(NEXT) | instid1(VALU_DEP_1)
	v_add3_u32 v3, v46, v3, 0x80fffff
	v_lshrrev_b32_e32 v3, 21, v3
; %bb.1893:
	s_and_not1_saveexec_b32 s2, s2
; %bb.1894:
	v_add_f32_e64 v3, 0x43000000, |v46|
; %bb.1895:
	s_or_b32 exec_lo, exec_lo, s2
                                        ; implicit-def: $vgpr5
.LBB23_1896:
	s_and_not1_saveexec_b32 s1, s1
; %bb.1897:
	v_mov_b32_e32 v3, 0x7f
	v_cmp_lt_u32_e32 vcc_lo, 0x7f800000, v5
	s_delay_alu instid0(VALU_DEP_2)
	v_cndmask_b32_e32 v3, 0x7c, v3, vcc_lo
; %bb.1898:
	s_or_b32 exec_lo, exec_lo, s1
	v_lshrrev_b32_e32 v5, 24, v46
	s_delay_alu instid0(VALU_DEP_1)
	v_and_or_b32 v3, 0x80, v5, v3
	global_store_b8 v[1:2], v3, off
.LBB23_1899:
	s_mov_b32 s1, 0
	s_mov_b32 s2, -1
.LBB23_1900:
	s_and_not1_b32 vcc_lo, exec_lo, s1
	s_mov_b32 s1, 0
	s_cbranch_vccnz .LBB23_1907
; %bb.1901:
	v_cmp_lt_i16_e32 vcc_lo, 14, v4
	s_mov_b32 s1, -1
	s_cbranch_vccz .LBB23_1905
; %bb.1902:
	v_cmp_eq_u16_e32 vcc_lo, 15, v4
	s_mov_b32 s0, -1
	s_cbranch_vccz .LBB23_1904
; %bb.1903:
	v_bfe_u32 v3, v46, 16, 1
	v_cmp_o_f32_e32 vcc_lo, v46, v46
	s_mov_b32 s0, 0
	s_mov_b32 s2, -1
	s_delay_alu instid0(VALU_DEP_2) | instskip(NEXT) | instid1(VALU_DEP_1)
	v_add3_u32 v3, v46, v3, 0x7fff
	v_lshrrev_b32_e32 v3, 16, v3
	s_delay_alu instid0(VALU_DEP_1)
	v_cndmask_b32_e32 v3, 0x7fc0, v3, vcc_lo
	global_store_b16 v[1:2], v3, off
.LBB23_1904:
	s_mov_b32 s1, 0
.LBB23_1905:
	s_delay_alu instid0(SALU_CYCLE_1)
	s_and_b32 vcc_lo, exec_lo, s1
	s_mov_b32 s1, 0
	s_cbranch_vccz .LBB23_1907
; %bb.1906:
	v_cmp_ne_u16_e64 s0, 11, v4
	s_mov_b32 s1, -1
.LBB23_1907:
	s_delay_alu instid0(VALU_DEP_1)
	s_and_b32 vcc_lo, exec_lo, s0
	s_cbranch_vccnz .LBB23_2270
; %bb.1908:
	s_and_not1_b32 vcc_lo, exec_lo, s1
	s_cbranch_vccnz .LBB23_1910
.LBB23_1909:
	v_cmp_neq_f32_e32 vcc_lo, 0, v46
	s_mov_b32 s2, -1
	v_cndmask_b32_e64 v3, 0, 1, vcc_lo
	global_store_b8 v[1:2], v3, off
.LBB23_1910:
	s_mov_b32 s0, 0
.LBB23_1911:
	s_delay_alu instid0(SALU_CYCLE_1)
	s_and_b32 vcc_lo, exec_lo, s0
	s_cbranch_vccz .LBB23_1950
; %bb.1912:
	v_cmp_gt_i16_e32 vcc_lo, 5, v4
	s_mov_b32 s0, -1
	s_cbranch_vccnz .LBB23_1933
; %bb.1913:
	v_cmp_gt_i16_e32 vcc_lo, 8, v4
	s_cbranch_vccnz .LBB23_1923
; %bb.1914:
	v_cmp_gt_i16_e32 vcc_lo, 9, v4
	s_cbranch_vccnz .LBB23_1920
; %bb.1915:
	v_cmp_lt_i16_e32 vcc_lo, 9, v4
	s_cbranch_vccz .LBB23_1917
; %bb.1916:
	v_cvt_f64_f32_e32 v[5:6], v46
	v_mov_b32_e32 v7, 0
	s_mov_b32 s0, 0
	s_delay_alu instid0(VALU_DEP_1)
	v_mov_b32_e32 v8, v7
	global_store_b128 v[1:2], v[5:8], off
.LBB23_1917:
	s_and_not1_b32 vcc_lo, exec_lo, s0
	s_cbranch_vccnz .LBB23_1919
; %bb.1918:
	v_mov_b32_e32 v47, 0
	global_store_b64 v[1:2], v[46:47], off
.LBB23_1919:
	s_mov_b32 s0, 0
.LBB23_1920:
	s_delay_alu instid0(SALU_CYCLE_1)
	s_and_not1_b32 vcc_lo, exec_lo, s0
	s_cbranch_vccnz .LBB23_1922
; %bb.1921:
	v_cvt_f16_f32_e32 v3, v46
	s_delay_alu instid0(VALU_DEP_1)
	v_and_b32_e32 v3, 0xffff, v3
	global_store_b32 v[1:2], v3, off
.LBB23_1922:
	s_mov_b32 s0, 0
.LBB23_1923:
	s_delay_alu instid0(SALU_CYCLE_1)
	s_and_not1_b32 vcc_lo, exec_lo, s0
	s_cbranch_vccnz .LBB23_1932
; %bb.1924:
	v_cmp_gt_i16_e32 vcc_lo, 6, v4
	s_mov_b32 s0, -1
	s_cbranch_vccnz .LBB23_1930
; %bb.1925:
	v_cmp_lt_i16_e32 vcc_lo, 6, v4
	s_cbranch_vccz .LBB23_1927
; %bb.1926:
	v_cvt_f64_f32_e32 v[5:6], v46
	s_mov_b32 s0, 0
	global_store_b64 v[1:2], v[5:6], off
.LBB23_1927:
	s_and_not1_b32 vcc_lo, exec_lo, s0
	s_cbranch_vccnz .LBB23_1929
; %bb.1928:
	global_store_b32 v[1:2], v46, off
.LBB23_1929:
	s_mov_b32 s0, 0
.LBB23_1930:
	s_delay_alu instid0(SALU_CYCLE_1)
	s_and_not1_b32 vcc_lo, exec_lo, s0
	s_cbranch_vccnz .LBB23_1932
; %bb.1931:
	v_cvt_f16_f32_e32 v3, v46
	global_store_b16 v[1:2], v3, off
.LBB23_1932:
	s_mov_b32 s0, 0
.LBB23_1933:
	s_delay_alu instid0(SALU_CYCLE_1)
	s_and_not1_b32 vcc_lo, exec_lo, s0
	s_cbranch_vccnz .LBB23_1949
; %bb.1934:
	v_cmp_gt_i16_e32 vcc_lo, 2, v4
	s_mov_b32 s0, -1
	s_cbranch_vccnz .LBB23_1944
; %bb.1935:
	v_cmp_gt_i16_e32 vcc_lo, 3, v4
	s_cbranch_vccnz .LBB23_1941
; %bb.1936:
	v_cmp_lt_i16_e32 vcc_lo, 3, v4
	s_cbranch_vccz .LBB23_1938
; %bb.1937:
	v_trunc_f32_e32 v3, v46
	s_mov_b32 s0, 0
	s_delay_alu instid0(VALU_DEP_1) | instskip(NEXT) | instid1(VALU_DEP_1)
	v_mul_f32_e64 v5, 0x2f800000, |v3|
	v_floor_f32_e32 v5, v5
	s_delay_alu instid0(VALU_DEP_1) | instskip(SKIP_2) | instid1(VALU_DEP_3)
	v_fma_f32 v6, 0xcf800000, v5, |v3|
	v_ashrrev_i32_e32 v3, 31, v3
	v_cvt_u32_f32_e32 v5, v5
	v_cvt_u32_f32_e32 v6, v6
	s_delay_alu instid0(VALU_DEP_2) | instskip(NEXT) | instid1(VALU_DEP_2)
	v_xor_b32_e32 v7, v5, v3
	v_xor_b32_e32 v6, v6, v3
	s_delay_alu instid0(VALU_DEP_1) | instskip(NEXT) | instid1(VALU_DEP_3)
	v_sub_co_u32 v5, vcc_lo, v6, v3
	v_sub_co_ci_u32_e32 v6, vcc_lo, v7, v3, vcc_lo
	global_store_b64 v[1:2], v[5:6], off
.LBB23_1938:
	s_and_not1_b32 vcc_lo, exec_lo, s0
	s_cbranch_vccnz .LBB23_1940
; %bb.1939:
	v_cvt_i32_f32_e32 v3, v46
	global_store_b32 v[1:2], v3, off
.LBB23_1940:
	s_mov_b32 s0, 0
.LBB23_1941:
	s_delay_alu instid0(SALU_CYCLE_1)
	s_and_not1_b32 vcc_lo, exec_lo, s0
	s_cbranch_vccnz .LBB23_1943
; %bb.1942:
	v_cvt_i32_f32_e32 v3, v46
	global_store_b16 v[1:2], v3, off
.LBB23_1943:
	s_mov_b32 s0, 0
.LBB23_1944:
	s_delay_alu instid0(SALU_CYCLE_1)
	s_and_not1_b32 vcc_lo, exec_lo, s0
	s_cbranch_vccnz .LBB23_1949
; %bb.1945:
	v_cmp_lt_i16_e32 vcc_lo, 0, v4
	s_mov_b32 s0, -1
	s_cbranch_vccz .LBB23_1947
; %bb.1946:
	v_cvt_i32_f32_e32 v3, v46
	s_mov_b32 s0, 0
	global_store_b8 v[1:2], v3, off
.LBB23_1947:
	s_and_not1_b32 vcc_lo, exec_lo, s0
	s_cbranch_vccnz .LBB23_1949
; %bb.1948:
	v_trunc_f32_e32 v3, v46
	s_delay_alu instid0(VALU_DEP_1) | instskip(NEXT) | instid1(VALU_DEP_1)
	v_mul_f32_e64 v5, 0x2f800000, |v3|
	v_floor_f32_e32 v5, v5
	s_delay_alu instid0(VALU_DEP_1) | instskip(SKIP_1) | instid1(VALU_DEP_2)
	v_fma_f32 v5, 0xcf800000, v5, |v3|
	v_ashrrev_i32_e32 v3, 31, v3
	v_cvt_u32_f32_e32 v5, v5
	s_delay_alu instid0(VALU_DEP_1) | instskip(NEXT) | instid1(VALU_DEP_1)
	v_xor_b32_e32 v5, v5, v3
	v_sub_nc_u32_e32 v3, v5, v3
	global_store_b8 v[1:2], v3, off
.LBB23_1949:
	s_mov_b32 s2, -1
.LBB23_1950:
	s_delay_alu instid0(SALU_CYCLE_1)
	s_and_not1_b32 vcc_lo, exec_lo, s2
	s_cbranch_vccnz .LBB23_2263
; %bb.1951:
	v_cmp_gt_i16_e32 vcc_lo, 11, v4
	v_add_co_u32 v1, s0, s36, v44
	s_delay_alu instid0(VALU_DEP_1)
	v_add_co_ci_u32_e64 v2, null, s37, 0, s0
	s_mov_b32 s2, 0
	s_mov_b32 s0, -1
	s_cbranch_vccnz .LBB23_2029
; %bb.1952:
	v_cmp_lt_i16_e32 vcc_lo, 25, v4
	s_mov_b32 s3, -1
	s_mov_b32 s1, 0
	s_mov_b32 s0, 0
	s_cbranch_vccz .LBB23_1985
; %bb.1953:
	v_cmp_lt_i16_e32 vcc_lo, 28, v4
	s_cbranch_vccz .LBB23_1968
; %bb.1954:
	v_cmp_lt_i16_e32 vcc_lo, 43, v4
	;; [unrolled: 3-line block ×3, first 2 shown]
	s_cbranch_vccz .LBB23_1958
; %bb.1956:
	v_cmp_eq_u16_e32 vcc_lo, 46, v4
	s_mov_b32 s0, -1
	s_mov_b32 s3, 0
	s_cbranch_vccz .LBB23_1958
; %bb.1957:
	v_bfe_u32 v3, v56, 16, 1
	v_cmp_o_f32_e32 vcc_lo, v56, v56
	s_mov_b32 s0, 0
	s_mov_b32 s2, -1
	s_delay_alu instid0(VALU_DEP_2) | instskip(NEXT) | instid1(VALU_DEP_1)
	v_add3_u32 v3, v56, v3, 0x7fff
	v_lshrrev_b32_e32 v3, 16, v3
	s_delay_alu instid0(VALU_DEP_1)
	v_cndmask_b32_e32 v3, 0x7fc0, v3, vcc_lo
	global_store_b32 v[1:2], v3, off
.LBB23_1958:
	s_and_b32 vcc_lo, exec_lo, s3
	s_cbranch_vccz .LBB23_1963
; %bb.1959:
	v_cmp_eq_u16_e32 vcc_lo, 44, v4
	s_mov_b32 s0, -1
	s_cbranch_vccz .LBB23_1963
; %bb.1960:
	v_bfe_u32 v5, v56, 23, 8
	v_mov_b32_e32 v3, 0xff
	s_mov_b32 s2, exec_lo
	s_delay_alu instid0(VALU_DEP_2)
	v_cmpx_ne_u32_e32 0xff, v5
; %bb.1961:
	v_and_b32_e32 v3, 0x400000, v56
	v_and_or_b32 v5, 0x3fffff, v56, v5
	s_delay_alu instid0(VALU_DEP_2) | instskip(NEXT) | instid1(VALU_DEP_2)
	v_cmp_ne_u32_e32 vcc_lo, 0, v3
	v_cmp_ne_u32_e64 s0, 0, v5
	v_lshrrev_b32_e32 v3, 23, v56
	s_delay_alu instid0(VALU_DEP_2) | instskip(NEXT) | instid1(SALU_CYCLE_1)
	s_and_b32 s0, vcc_lo, s0
	v_cndmask_b32_e64 v5, 0, 1, s0
	s_delay_alu instid0(VALU_DEP_1)
	v_add_nc_u32_e32 v3, v3, v5
; %bb.1962:
	s_or_b32 exec_lo, exec_lo, s2
	s_mov_b32 s0, 0
	s_mov_b32 s2, -1
	global_store_b8 v[1:2], v3, off
.LBB23_1963:
	s_mov_b32 s3, 0
.LBB23_1964:
	s_delay_alu instid0(SALU_CYCLE_1)
	s_and_b32 vcc_lo, exec_lo, s3
	s_cbranch_vccz .LBB23_1967
; %bb.1965:
	v_cmp_eq_u16_e32 vcc_lo, 29, v4
	s_mov_b32 s0, -1
	s_cbranch_vccz .LBB23_1967
; %bb.1966:
	v_trunc_f32_e32 v3, v56
	s_mov_b32 s0, 0
	s_mov_b32 s2, -1
	s_delay_alu instid0(VALU_DEP_1) | instskip(NEXT) | instid1(VALU_DEP_1)
	v_mul_f32_e32 v5, 0x2f800000, v3
	v_floor_f32_e32 v5, v5
	s_delay_alu instid0(VALU_DEP_1) | instskip(SKIP_1) | instid1(VALU_DEP_2)
	v_fmamk_f32 v3, v5, 0xcf800000, v3
	v_cvt_u32_f32_e32 v6, v5
	v_cvt_u32_f32_e32 v5, v3
	global_store_b64 v[1:2], v[5:6], off
.LBB23_1967:
	s_mov_b32 s3, 0
.LBB23_1968:
	s_delay_alu instid0(SALU_CYCLE_1)
	s_and_b32 vcc_lo, exec_lo, s3
	s_cbranch_vccz .LBB23_1984
; %bb.1969:
	v_cmp_gt_i16_e32 vcc_lo, 27, v4
	s_mov_b32 s2, -1
	s_cbranch_vccnz .LBB23_1975
; %bb.1970:
	v_cmp_lt_i16_e32 vcc_lo, 27, v4
	v_cvt_u32_f32_e32 v3, v56
	s_cbranch_vccz .LBB23_1972
; %bb.1971:
	s_mov_b32 s2, 0
	global_store_b32 v[1:2], v3, off
.LBB23_1972:
	s_and_not1_b32 vcc_lo, exec_lo, s2
	s_cbranch_vccnz .LBB23_1974
; %bb.1973:
	global_store_b16 v[1:2], v3, off
.LBB23_1974:
	s_mov_b32 s2, 0
.LBB23_1975:
	s_delay_alu instid0(SALU_CYCLE_1)
	s_and_not1_b32 vcc_lo, exec_lo, s2
	s_cbranch_vccnz .LBB23_1983
; %bb.1976:
	v_and_b32_e32 v3, 0x7fffffff, v56
	v_mov_b32_e32 v5, 0x80
	s_mov_b32 s2, exec_lo
	s_delay_alu instid0(VALU_DEP_2)
	v_cmpx_gt_u32_e32 0x43800000, v3
	s_cbranch_execz .LBB23_1982
; %bb.1977:
	v_cmp_lt_u32_e32 vcc_lo, 0x3bffffff, v3
	s_mov_b32 s3, 0
                                        ; implicit-def: $vgpr3
	s_and_saveexec_b32 s4, vcc_lo
	s_delay_alu instid0(SALU_CYCLE_1)
	s_xor_b32 s4, exec_lo, s4
	s_cbranch_execz .LBB23_2274
; %bb.1978:
	v_bfe_u32 v3, v56, 20, 1
	s_mov_b32 s3, exec_lo
	s_delay_alu instid0(VALU_DEP_1) | instskip(NEXT) | instid1(VALU_DEP_1)
	v_add3_u32 v3, v56, v3, 0x487ffff
	v_lshrrev_b32_e32 v3, 20, v3
	s_or_saveexec_b32 s4, s4
                                        ; implicit-def: $sgpr5
	s_delay_alu instid0(SALU_CYCLE_1)
	s_xor_b32 exec_lo, exec_lo, s4
	s_cbranch_execnz .LBB23_2275
.LBB23_1979:
	s_or_b32 exec_lo, exec_lo, s4
	v_mov_b32_e32 v5, s5
	s_and_saveexec_b32 s4, s3
.LBB23_1980:
	v_lshrrev_b32_e32 v5, 24, v56
	s_delay_alu instid0(VALU_DEP_1)
	v_and_or_b32 v5, 0x80, v5, v3
.LBB23_1981:
	s_or_b32 exec_lo, exec_lo, s4
.LBB23_1982:
	s_delay_alu instid0(SALU_CYCLE_1)
	s_or_b32 exec_lo, exec_lo, s2
	global_store_b8 v[1:2], v5, off
.LBB23_1983:
	s_mov_b32 s2, -1
.LBB23_1984:
	s_mov_b32 s3, 0
.LBB23_1985:
	s_delay_alu instid0(SALU_CYCLE_1)
	s_and_b32 vcc_lo, exec_lo, s3
	s_cbranch_vccz .LBB23_2025
; %bb.1986:
	v_cmp_lt_i16_e32 vcc_lo, 22, v4
	s_mov_b32 s1, -1
	s_cbranch_vccz .LBB23_2018
; %bb.1987:
	v_cmp_gt_i16_e32 vcc_lo, 24, v4
	s_cbranch_vccnz .LBB23_2007
; %bb.1988:
	v_cmp_lt_i16_e32 vcc_lo, 24, v4
	s_cbranch_vccz .LBB23_1996
; %bb.1989:
	v_and_b32_e32 v3, 0x7fffffff, v56
	v_mov_b32_e32 v5, 0x80
	s_mov_b32 s1, exec_lo
	s_delay_alu instid0(VALU_DEP_2)
	v_cmpx_gt_u32_e32 0x47800000, v3
	s_cbranch_execz .LBB23_1995
; %bb.1990:
	v_cmp_lt_u32_e32 vcc_lo, 0x37ffffff, v3
	s_mov_b32 s2, 0
                                        ; implicit-def: $vgpr3
	s_and_saveexec_b32 s3, vcc_lo
	s_delay_alu instid0(SALU_CYCLE_1)
	s_xor_b32 s3, exec_lo, s3
	s_cbranch_execz .LBB23_2280
; %bb.1991:
	v_bfe_u32 v3, v56, 21, 1
	s_mov_b32 s2, exec_lo
	s_delay_alu instid0(VALU_DEP_1) | instskip(NEXT) | instid1(VALU_DEP_1)
	v_add3_u32 v3, v56, v3, 0x88fffff
	v_lshrrev_b32_e32 v3, 21, v3
	s_or_saveexec_b32 s3, s3
                                        ; implicit-def: $sgpr4
	s_delay_alu instid0(SALU_CYCLE_1)
	s_xor_b32 exec_lo, exec_lo, s3
	s_cbranch_execnz .LBB23_2281
.LBB23_1992:
	s_or_b32 exec_lo, exec_lo, s3
	v_mov_b32_e32 v5, s4
	s_and_saveexec_b32 s3, s2
.LBB23_1993:
	v_lshrrev_b32_e32 v5, 24, v56
	s_delay_alu instid0(VALU_DEP_1)
	v_and_or_b32 v5, 0x80, v5, v3
.LBB23_1994:
	s_or_b32 exec_lo, exec_lo, s3
.LBB23_1995:
	s_delay_alu instid0(SALU_CYCLE_1)
	s_or_b32 exec_lo, exec_lo, s1
	s_mov_b32 s1, 0
	global_store_b8 v[1:2], v5, off
.LBB23_1996:
	s_and_b32 vcc_lo, exec_lo, s1
	s_cbranch_vccz .LBB23_2006
; %bb.1997:
	v_and_b32_e32 v5, 0x7fffffff, v56
	s_mov_b32 s1, exec_lo
                                        ; implicit-def: $vgpr3
	s_delay_alu instid0(VALU_DEP_1)
	v_cmpx_gt_u32_e32 0x43f00000, v5
	s_xor_b32 s1, exec_lo, s1
	s_cbranch_execz .LBB23_2003
; %bb.1998:
	s_mov_b32 s2, exec_lo
                                        ; implicit-def: $vgpr3
	v_cmpx_lt_u32_e32 0x3c7fffff, v5
	s_xor_b32 s2, exec_lo, s2
; %bb.1999:
	v_bfe_u32 v3, v56, 20, 1
	s_delay_alu instid0(VALU_DEP_1) | instskip(NEXT) | instid1(VALU_DEP_1)
	v_add3_u32 v3, v56, v3, 0x407ffff
	v_and_b32_e32 v5, 0xff00000, v3
	v_lshrrev_b32_e32 v3, 20, v3
	s_delay_alu instid0(VALU_DEP_2) | instskip(NEXT) | instid1(VALU_DEP_2)
	v_cmp_ne_u32_e32 vcc_lo, 0x7f00000, v5
	v_cndmask_b32_e32 v3, 0x7e, v3, vcc_lo
; %bb.2000:
	s_and_not1_saveexec_b32 s2, s2
; %bb.2001:
	v_add_f32_e64 v3, 0x46800000, |v56|
; %bb.2002:
	s_or_b32 exec_lo, exec_lo, s2
                                        ; implicit-def: $vgpr5
.LBB23_2003:
	s_and_not1_saveexec_b32 s1, s1
; %bb.2004:
	v_mov_b32_e32 v3, 0x7f
	v_cmp_lt_u32_e32 vcc_lo, 0x7f800000, v5
	s_delay_alu instid0(VALU_DEP_2)
	v_cndmask_b32_e32 v3, 0x7e, v3, vcc_lo
; %bb.2005:
	s_or_b32 exec_lo, exec_lo, s1
	v_lshrrev_b32_e32 v5, 24, v56
	s_delay_alu instid0(VALU_DEP_1)
	v_and_or_b32 v3, 0x80, v5, v3
	global_store_b8 v[1:2], v3, off
.LBB23_2006:
	s_mov_b32 s1, 0
.LBB23_2007:
	s_delay_alu instid0(SALU_CYCLE_1)
	s_and_not1_b32 vcc_lo, exec_lo, s1
	s_cbranch_vccnz .LBB23_2017
; %bb.2008:
	v_and_b32_e32 v5, 0x7fffffff, v56
	s_mov_b32 s1, exec_lo
                                        ; implicit-def: $vgpr3
	s_delay_alu instid0(VALU_DEP_1)
	v_cmpx_gt_u32_e32 0x47800000, v5
	s_xor_b32 s1, exec_lo, s1
	s_cbranch_execz .LBB23_2014
; %bb.2009:
	s_mov_b32 s2, exec_lo
                                        ; implicit-def: $vgpr3
	v_cmpx_lt_u32_e32 0x387fffff, v5
	s_xor_b32 s2, exec_lo, s2
; %bb.2010:
	v_bfe_u32 v3, v56, 21, 1
	s_delay_alu instid0(VALU_DEP_1) | instskip(NEXT) | instid1(VALU_DEP_1)
	v_add3_u32 v3, v56, v3, 0x80fffff
	v_lshrrev_b32_e32 v3, 21, v3
; %bb.2011:
	s_and_not1_saveexec_b32 s2, s2
; %bb.2012:
	v_add_f32_e64 v3, 0x43000000, |v56|
; %bb.2013:
	s_or_b32 exec_lo, exec_lo, s2
                                        ; implicit-def: $vgpr5
.LBB23_2014:
	s_and_not1_saveexec_b32 s1, s1
; %bb.2015:
	v_mov_b32_e32 v3, 0x7f
	v_cmp_lt_u32_e32 vcc_lo, 0x7f800000, v5
	s_delay_alu instid0(VALU_DEP_2)
	v_cndmask_b32_e32 v3, 0x7c, v3, vcc_lo
; %bb.2016:
	s_or_b32 exec_lo, exec_lo, s1
	v_lshrrev_b32_e32 v5, 24, v56
	s_delay_alu instid0(VALU_DEP_1)
	v_and_or_b32 v3, 0x80, v5, v3
	global_store_b8 v[1:2], v3, off
.LBB23_2017:
	s_mov_b32 s1, 0
	s_mov_b32 s2, -1
.LBB23_2018:
	s_and_not1_b32 vcc_lo, exec_lo, s1
	s_mov_b32 s1, 0
	s_cbranch_vccnz .LBB23_2025
; %bb.2019:
	v_cmp_lt_i16_e32 vcc_lo, 14, v4
	s_mov_b32 s1, -1
	s_cbranch_vccz .LBB23_2023
; %bb.2020:
	v_cmp_eq_u16_e32 vcc_lo, 15, v4
	s_mov_b32 s0, -1
	s_cbranch_vccz .LBB23_2022
; %bb.2021:
	v_bfe_u32 v3, v56, 16, 1
	v_cmp_o_f32_e32 vcc_lo, v56, v56
	s_mov_b32 s0, 0
	s_mov_b32 s2, -1
	s_delay_alu instid0(VALU_DEP_2) | instskip(NEXT) | instid1(VALU_DEP_1)
	v_add3_u32 v3, v56, v3, 0x7fff
	v_lshrrev_b32_e32 v3, 16, v3
	s_delay_alu instid0(VALU_DEP_1)
	v_cndmask_b32_e32 v3, 0x7fc0, v3, vcc_lo
	global_store_b16 v[1:2], v3, off
.LBB23_2022:
	s_mov_b32 s1, 0
.LBB23_2023:
	s_delay_alu instid0(SALU_CYCLE_1)
	s_and_b32 vcc_lo, exec_lo, s1
	s_mov_b32 s1, 0
	s_cbranch_vccz .LBB23_2025
; %bb.2024:
	v_cmp_ne_u16_e64 s0, 11, v4
	s_mov_b32 s1, -1
.LBB23_2025:
	s_delay_alu instid0(VALU_DEP_1)
	s_and_b32 vcc_lo, exec_lo, s0
	s_cbranch_vccnz .LBB23_2278
; %bb.2026:
	s_and_not1_b32 vcc_lo, exec_lo, s1
	s_cbranch_vccnz .LBB23_2028
.LBB23_2027:
	v_cmp_neq_f32_e32 vcc_lo, 0, v56
	s_mov_b32 s2, -1
	v_cndmask_b32_e64 v3, 0, 1, vcc_lo
	global_store_b8 v[1:2], v3, off
.LBB23_2028:
	s_mov_b32 s0, 0
.LBB23_2029:
	s_delay_alu instid0(SALU_CYCLE_1)
	s_and_b32 vcc_lo, exec_lo, s0
	s_cbranch_vccz .LBB23_2068
; %bb.2030:
	v_cmp_gt_i16_e32 vcc_lo, 5, v4
	s_mov_b32 s0, -1
	s_cbranch_vccnz .LBB23_2051
; %bb.2031:
	v_cmp_gt_i16_e32 vcc_lo, 8, v4
	s_cbranch_vccnz .LBB23_2041
; %bb.2032:
	v_cmp_gt_i16_e32 vcc_lo, 9, v4
	s_cbranch_vccnz .LBB23_2038
; %bb.2033:
	v_cmp_lt_i16_e32 vcc_lo, 9, v4
	s_cbranch_vccz .LBB23_2035
; %bb.2034:
	v_cvt_f64_f32_e32 v[5:6], v56
	v_mov_b32_e32 v7, 0
	s_mov_b32 s0, 0
	s_delay_alu instid0(VALU_DEP_1)
	v_mov_b32_e32 v8, v7
	global_store_b128 v[1:2], v[5:8], off
.LBB23_2035:
	s_and_not1_b32 vcc_lo, exec_lo, s0
	s_cbranch_vccnz .LBB23_2037
; %bb.2036:
	v_mov_b32_e32 v57, 0
	global_store_b64 v[1:2], v[56:57], off
.LBB23_2037:
	s_mov_b32 s0, 0
.LBB23_2038:
	s_delay_alu instid0(SALU_CYCLE_1)
	s_and_not1_b32 vcc_lo, exec_lo, s0
	s_cbranch_vccnz .LBB23_2040
; %bb.2039:
	v_cvt_f16_f32_e32 v3, v56
	s_delay_alu instid0(VALU_DEP_1)
	v_and_b32_e32 v3, 0xffff, v3
	global_store_b32 v[1:2], v3, off
.LBB23_2040:
	s_mov_b32 s0, 0
.LBB23_2041:
	s_delay_alu instid0(SALU_CYCLE_1)
	s_and_not1_b32 vcc_lo, exec_lo, s0
	s_cbranch_vccnz .LBB23_2050
; %bb.2042:
	v_cmp_gt_i16_e32 vcc_lo, 6, v4
	s_mov_b32 s0, -1
	s_cbranch_vccnz .LBB23_2048
; %bb.2043:
	v_cmp_lt_i16_e32 vcc_lo, 6, v4
	s_cbranch_vccz .LBB23_2045
; %bb.2044:
	v_cvt_f64_f32_e32 v[5:6], v56
	s_mov_b32 s0, 0
	global_store_b64 v[1:2], v[5:6], off
.LBB23_2045:
	s_and_not1_b32 vcc_lo, exec_lo, s0
	s_cbranch_vccnz .LBB23_2047
; %bb.2046:
	global_store_b32 v[1:2], v56, off
.LBB23_2047:
	s_mov_b32 s0, 0
.LBB23_2048:
	s_delay_alu instid0(SALU_CYCLE_1)
	s_and_not1_b32 vcc_lo, exec_lo, s0
	s_cbranch_vccnz .LBB23_2050
; %bb.2049:
	v_cvt_f16_f32_e32 v3, v56
	global_store_b16 v[1:2], v3, off
.LBB23_2050:
	s_mov_b32 s0, 0
.LBB23_2051:
	s_delay_alu instid0(SALU_CYCLE_1)
	s_and_not1_b32 vcc_lo, exec_lo, s0
	s_cbranch_vccnz .LBB23_2067
; %bb.2052:
	v_cmp_gt_i16_e32 vcc_lo, 2, v4
	s_mov_b32 s0, -1
	s_cbranch_vccnz .LBB23_2062
; %bb.2053:
	v_cmp_gt_i16_e32 vcc_lo, 3, v4
	s_cbranch_vccnz .LBB23_2059
; %bb.2054:
	v_cmp_lt_i16_e32 vcc_lo, 3, v4
	s_cbranch_vccz .LBB23_2056
; %bb.2055:
	v_trunc_f32_e32 v3, v56
	s_mov_b32 s0, 0
	s_delay_alu instid0(VALU_DEP_1) | instskip(NEXT) | instid1(VALU_DEP_1)
	v_mul_f32_e64 v5, 0x2f800000, |v3|
	v_floor_f32_e32 v5, v5
	s_delay_alu instid0(VALU_DEP_1) | instskip(SKIP_2) | instid1(VALU_DEP_3)
	v_fma_f32 v6, 0xcf800000, v5, |v3|
	v_ashrrev_i32_e32 v3, 31, v3
	v_cvt_u32_f32_e32 v5, v5
	v_cvt_u32_f32_e32 v6, v6
	s_delay_alu instid0(VALU_DEP_2) | instskip(NEXT) | instid1(VALU_DEP_2)
	v_xor_b32_e32 v7, v5, v3
	v_xor_b32_e32 v6, v6, v3
	s_delay_alu instid0(VALU_DEP_1) | instskip(NEXT) | instid1(VALU_DEP_3)
	v_sub_co_u32 v5, vcc_lo, v6, v3
	v_sub_co_ci_u32_e32 v6, vcc_lo, v7, v3, vcc_lo
	global_store_b64 v[1:2], v[5:6], off
.LBB23_2056:
	s_and_not1_b32 vcc_lo, exec_lo, s0
	s_cbranch_vccnz .LBB23_2058
; %bb.2057:
	v_cvt_i32_f32_e32 v3, v56
	global_store_b32 v[1:2], v3, off
.LBB23_2058:
	s_mov_b32 s0, 0
.LBB23_2059:
	s_delay_alu instid0(SALU_CYCLE_1)
	s_and_not1_b32 vcc_lo, exec_lo, s0
	s_cbranch_vccnz .LBB23_2061
; %bb.2060:
	v_cvt_i32_f32_e32 v3, v56
	global_store_b16 v[1:2], v3, off
.LBB23_2061:
	s_mov_b32 s0, 0
.LBB23_2062:
	s_delay_alu instid0(SALU_CYCLE_1)
	s_and_not1_b32 vcc_lo, exec_lo, s0
	s_cbranch_vccnz .LBB23_2067
; %bb.2063:
	v_cmp_lt_i16_e32 vcc_lo, 0, v4
	s_mov_b32 s0, -1
	s_cbranch_vccz .LBB23_2065
; %bb.2064:
	v_cvt_i32_f32_e32 v3, v56
	s_mov_b32 s0, 0
	global_store_b8 v[1:2], v3, off
.LBB23_2065:
	s_and_not1_b32 vcc_lo, exec_lo, s0
	s_cbranch_vccnz .LBB23_2067
; %bb.2066:
	v_trunc_f32_e32 v3, v56
	s_delay_alu instid0(VALU_DEP_1) | instskip(NEXT) | instid1(VALU_DEP_1)
	v_mul_f32_e64 v5, 0x2f800000, |v3|
	v_floor_f32_e32 v5, v5
	s_delay_alu instid0(VALU_DEP_1) | instskip(SKIP_1) | instid1(VALU_DEP_2)
	v_fma_f32 v5, 0xcf800000, v5, |v3|
	v_ashrrev_i32_e32 v3, 31, v3
	v_cvt_u32_f32_e32 v5, v5
	s_delay_alu instid0(VALU_DEP_1) | instskip(NEXT) | instid1(VALU_DEP_1)
	v_xor_b32_e32 v5, v5, v3
	v_sub_nc_u32_e32 v3, v5, v3
	global_store_b8 v[1:2], v3, off
.LBB23_2067:
	s_mov_b32 s2, -1
.LBB23_2068:
	s_delay_alu instid0(SALU_CYCLE_1)
	s_and_not1_b32 vcc_lo, exec_lo, s2
	s_cbranch_vccnz .LBB23_2263
; %bb.2069:
	v_cmp_gt_i16_e32 vcc_lo, 11, v4
	v_add_co_u32 v1, s0, s36, v43
	s_delay_alu instid0(VALU_DEP_1)
	v_add_co_ci_u32_e64 v2, null, s37, 0, s0
	s_mov_b32 s2, 0
	s_mov_b32 s0, -1
	s_cbranch_vccnz .LBB23_2147
; %bb.2070:
	v_cmp_lt_i16_e32 vcc_lo, 25, v4
	s_mov_b32 s3, -1
	s_mov_b32 s1, 0
	s_mov_b32 s0, 0
	s_cbranch_vccz .LBB23_2103
; %bb.2071:
	v_cmp_lt_i16_e32 vcc_lo, 28, v4
	s_cbranch_vccz .LBB23_2086
; %bb.2072:
	v_cmp_lt_i16_e32 vcc_lo, 43, v4
	;; [unrolled: 3-line block ×3, first 2 shown]
	s_cbranch_vccz .LBB23_2076
; %bb.2074:
	v_cmp_eq_u16_e32 vcc_lo, 46, v4
	s_mov_b32 s0, -1
	s_mov_b32 s3, 0
	s_cbranch_vccz .LBB23_2076
; %bb.2075:
	v_bfe_u32 v3, v58, 16, 1
	v_cmp_o_f32_e32 vcc_lo, v58, v58
	s_mov_b32 s0, 0
	s_mov_b32 s2, -1
	s_delay_alu instid0(VALU_DEP_2) | instskip(NEXT) | instid1(VALU_DEP_1)
	v_add3_u32 v3, v58, v3, 0x7fff
	v_lshrrev_b32_e32 v3, 16, v3
	s_delay_alu instid0(VALU_DEP_1)
	v_cndmask_b32_e32 v3, 0x7fc0, v3, vcc_lo
	global_store_b32 v[1:2], v3, off
.LBB23_2076:
	s_and_b32 vcc_lo, exec_lo, s3
	s_cbranch_vccz .LBB23_2081
; %bb.2077:
	v_cmp_eq_u16_e32 vcc_lo, 44, v4
	s_mov_b32 s0, -1
	s_cbranch_vccz .LBB23_2081
; %bb.2078:
	v_bfe_u32 v5, v58, 23, 8
	v_mov_b32_e32 v3, 0xff
	s_mov_b32 s2, exec_lo
	s_delay_alu instid0(VALU_DEP_2)
	v_cmpx_ne_u32_e32 0xff, v5
; %bb.2079:
	v_and_b32_e32 v3, 0x400000, v58
	v_and_or_b32 v5, 0x3fffff, v58, v5
	s_delay_alu instid0(VALU_DEP_2) | instskip(NEXT) | instid1(VALU_DEP_2)
	v_cmp_ne_u32_e32 vcc_lo, 0, v3
	v_cmp_ne_u32_e64 s0, 0, v5
	v_lshrrev_b32_e32 v3, 23, v58
	s_delay_alu instid0(VALU_DEP_2) | instskip(NEXT) | instid1(SALU_CYCLE_1)
	s_and_b32 s0, vcc_lo, s0
	v_cndmask_b32_e64 v5, 0, 1, s0
	s_delay_alu instid0(VALU_DEP_1)
	v_add_nc_u32_e32 v3, v3, v5
; %bb.2080:
	s_or_b32 exec_lo, exec_lo, s2
	s_mov_b32 s0, 0
	s_mov_b32 s2, -1
	global_store_b8 v[1:2], v3, off
.LBB23_2081:
	s_mov_b32 s3, 0
.LBB23_2082:
	s_delay_alu instid0(SALU_CYCLE_1)
	s_and_b32 vcc_lo, exec_lo, s3
	s_cbranch_vccz .LBB23_2085
; %bb.2083:
	v_cmp_eq_u16_e32 vcc_lo, 29, v4
	s_mov_b32 s0, -1
	s_cbranch_vccz .LBB23_2085
; %bb.2084:
	v_trunc_f32_e32 v3, v58
	s_mov_b32 s0, 0
	s_mov_b32 s2, -1
	s_delay_alu instid0(VALU_DEP_1) | instskip(NEXT) | instid1(VALU_DEP_1)
	v_mul_f32_e32 v5, 0x2f800000, v3
	v_floor_f32_e32 v5, v5
	s_delay_alu instid0(VALU_DEP_1) | instskip(SKIP_1) | instid1(VALU_DEP_2)
	v_fmamk_f32 v3, v5, 0xcf800000, v3
	v_cvt_u32_f32_e32 v6, v5
	v_cvt_u32_f32_e32 v5, v3
	global_store_b64 v[1:2], v[5:6], off
.LBB23_2085:
	s_mov_b32 s3, 0
.LBB23_2086:
	s_delay_alu instid0(SALU_CYCLE_1)
	s_and_b32 vcc_lo, exec_lo, s3
	s_cbranch_vccz .LBB23_2102
; %bb.2087:
	v_cmp_gt_i16_e32 vcc_lo, 27, v4
	s_mov_b32 s2, -1
	s_cbranch_vccnz .LBB23_2093
; %bb.2088:
	v_cmp_lt_i16_e32 vcc_lo, 27, v4
	v_cvt_u32_f32_e32 v3, v58
	s_cbranch_vccz .LBB23_2090
; %bb.2089:
	s_mov_b32 s2, 0
	global_store_b32 v[1:2], v3, off
.LBB23_2090:
	s_and_not1_b32 vcc_lo, exec_lo, s2
	s_cbranch_vccnz .LBB23_2092
; %bb.2091:
	global_store_b16 v[1:2], v3, off
.LBB23_2092:
	s_mov_b32 s2, 0
.LBB23_2093:
	s_delay_alu instid0(SALU_CYCLE_1)
	s_and_not1_b32 vcc_lo, exec_lo, s2
	s_cbranch_vccnz .LBB23_2101
; %bb.2094:
	v_and_b32_e32 v3, 0x7fffffff, v58
	v_mov_b32_e32 v5, 0x80
	s_mov_b32 s2, exec_lo
	s_delay_alu instid0(VALU_DEP_2)
	v_cmpx_gt_u32_e32 0x43800000, v3
	s_cbranch_execz .LBB23_2100
; %bb.2095:
	v_cmp_lt_u32_e32 vcc_lo, 0x3bffffff, v3
	s_mov_b32 s3, 0
                                        ; implicit-def: $vgpr3
	s_and_saveexec_b32 s4, vcc_lo
	s_delay_alu instid0(SALU_CYCLE_1)
	s_xor_b32 s4, exec_lo, s4
	s_cbranch_execz .LBB23_2282
; %bb.2096:
	v_bfe_u32 v3, v58, 20, 1
	s_mov_b32 s3, exec_lo
	s_delay_alu instid0(VALU_DEP_1) | instskip(NEXT) | instid1(VALU_DEP_1)
	v_add3_u32 v3, v58, v3, 0x487ffff
	v_lshrrev_b32_e32 v3, 20, v3
	s_or_saveexec_b32 s4, s4
                                        ; implicit-def: $sgpr5
	s_delay_alu instid0(SALU_CYCLE_1)
	s_xor_b32 exec_lo, exec_lo, s4
	s_cbranch_execnz .LBB23_2283
.LBB23_2097:
	s_or_b32 exec_lo, exec_lo, s4
	v_mov_b32_e32 v5, s5
	s_and_saveexec_b32 s4, s3
.LBB23_2098:
	v_lshrrev_b32_e32 v5, 24, v58
	s_delay_alu instid0(VALU_DEP_1)
	v_and_or_b32 v5, 0x80, v5, v3
.LBB23_2099:
	s_or_b32 exec_lo, exec_lo, s4
.LBB23_2100:
	s_delay_alu instid0(SALU_CYCLE_1)
	s_or_b32 exec_lo, exec_lo, s2
	global_store_b8 v[1:2], v5, off
.LBB23_2101:
	s_mov_b32 s2, -1
.LBB23_2102:
	s_mov_b32 s3, 0
.LBB23_2103:
	s_delay_alu instid0(SALU_CYCLE_1)
	s_and_b32 vcc_lo, exec_lo, s3
	s_cbranch_vccz .LBB23_2143
; %bb.2104:
	v_cmp_lt_i16_e32 vcc_lo, 22, v4
	s_mov_b32 s1, -1
	s_cbranch_vccz .LBB23_2136
; %bb.2105:
	v_cmp_gt_i16_e32 vcc_lo, 24, v4
	s_cbranch_vccnz .LBB23_2125
; %bb.2106:
	v_cmp_lt_i16_e32 vcc_lo, 24, v4
	s_cbranch_vccz .LBB23_2114
; %bb.2107:
	v_and_b32_e32 v3, 0x7fffffff, v58
	v_mov_b32_e32 v5, 0x80
	s_mov_b32 s1, exec_lo
	s_delay_alu instid0(VALU_DEP_2)
	v_cmpx_gt_u32_e32 0x47800000, v3
	s_cbranch_execz .LBB23_2113
; %bb.2108:
	v_cmp_lt_u32_e32 vcc_lo, 0x37ffffff, v3
	s_mov_b32 s2, 0
                                        ; implicit-def: $vgpr3
	s_and_saveexec_b32 s3, vcc_lo
	s_delay_alu instid0(SALU_CYCLE_1)
	s_xor_b32 s3, exec_lo, s3
	s_cbranch_execz .LBB23_2288
; %bb.2109:
	v_bfe_u32 v3, v58, 21, 1
	s_mov_b32 s2, exec_lo
	s_delay_alu instid0(VALU_DEP_1) | instskip(NEXT) | instid1(VALU_DEP_1)
	v_add3_u32 v3, v58, v3, 0x88fffff
	v_lshrrev_b32_e32 v3, 21, v3
	s_or_saveexec_b32 s3, s3
                                        ; implicit-def: $sgpr4
	s_delay_alu instid0(SALU_CYCLE_1)
	s_xor_b32 exec_lo, exec_lo, s3
	s_cbranch_execnz .LBB23_2289
.LBB23_2110:
	s_or_b32 exec_lo, exec_lo, s3
	v_mov_b32_e32 v5, s4
	s_and_saveexec_b32 s3, s2
.LBB23_2111:
	v_lshrrev_b32_e32 v5, 24, v58
	s_delay_alu instid0(VALU_DEP_1)
	v_and_or_b32 v5, 0x80, v5, v3
.LBB23_2112:
	s_or_b32 exec_lo, exec_lo, s3
.LBB23_2113:
	s_delay_alu instid0(SALU_CYCLE_1)
	s_or_b32 exec_lo, exec_lo, s1
	s_mov_b32 s1, 0
	global_store_b8 v[1:2], v5, off
.LBB23_2114:
	s_and_b32 vcc_lo, exec_lo, s1
	s_cbranch_vccz .LBB23_2124
; %bb.2115:
	v_and_b32_e32 v5, 0x7fffffff, v58
	s_mov_b32 s1, exec_lo
                                        ; implicit-def: $vgpr3
	s_delay_alu instid0(VALU_DEP_1)
	v_cmpx_gt_u32_e32 0x43f00000, v5
	s_xor_b32 s1, exec_lo, s1
	s_cbranch_execz .LBB23_2121
; %bb.2116:
	s_mov_b32 s2, exec_lo
                                        ; implicit-def: $vgpr3
	v_cmpx_lt_u32_e32 0x3c7fffff, v5
	s_xor_b32 s2, exec_lo, s2
; %bb.2117:
	v_bfe_u32 v3, v58, 20, 1
	s_delay_alu instid0(VALU_DEP_1) | instskip(NEXT) | instid1(VALU_DEP_1)
	v_add3_u32 v3, v58, v3, 0x407ffff
	v_and_b32_e32 v5, 0xff00000, v3
	v_lshrrev_b32_e32 v3, 20, v3
	s_delay_alu instid0(VALU_DEP_2) | instskip(NEXT) | instid1(VALU_DEP_2)
	v_cmp_ne_u32_e32 vcc_lo, 0x7f00000, v5
	v_cndmask_b32_e32 v3, 0x7e, v3, vcc_lo
; %bb.2118:
	s_and_not1_saveexec_b32 s2, s2
; %bb.2119:
	v_add_f32_e64 v3, 0x46800000, |v58|
; %bb.2120:
	s_or_b32 exec_lo, exec_lo, s2
                                        ; implicit-def: $vgpr5
.LBB23_2121:
	s_and_not1_saveexec_b32 s1, s1
; %bb.2122:
	v_mov_b32_e32 v3, 0x7f
	v_cmp_lt_u32_e32 vcc_lo, 0x7f800000, v5
	s_delay_alu instid0(VALU_DEP_2)
	v_cndmask_b32_e32 v3, 0x7e, v3, vcc_lo
; %bb.2123:
	s_or_b32 exec_lo, exec_lo, s1
	v_lshrrev_b32_e32 v5, 24, v58
	s_delay_alu instid0(VALU_DEP_1)
	v_and_or_b32 v3, 0x80, v5, v3
	global_store_b8 v[1:2], v3, off
.LBB23_2124:
	s_mov_b32 s1, 0
.LBB23_2125:
	s_delay_alu instid0(SALU_CYCLE_1)
	s_and_not1_b32 vcc_lo, exec_lo, s1
	s_cbranch_vccnz .LBB23_2135
; %bb.2126:
	v_and_b32_e32 v5, 0x7fffffff, v58
	s_mov_b32 s1, exec_lo
                                        ; implicit-def: $vgpr3
	s_delay_alu instid0(VALU_DEP_1)
	v_cmpx_gt_u32_e32 0x47800000, v5
	s_xor_b32 s1, exec_lo, s1
	s_cbranch_execz .LBB23_2132
; %bb.2127:
	s_mov_b32 s2, exec_lo
                                        ; implicit-def: $vgpr3
	v_cmpx_lt_u32_e32 0x387fffff, v5
	s_xor_b32 s2, exec_lo, s2
; %bb.2128:
	v_bfe_u32 v3, v58, 21, 1
	s_delay_alu instid0(VALU_DEP_1) | instskip(NEXT) | instid1(VALU_DEP_1)
	v_add3_u32 v3, v58, v3, 0x80fffff
	v_lshrrev_b32_e32 v3, 21, v3
; %bb.2129:
	s_and_not1_saveexec_b32 s2, s2
; %bb.2130:
	v_add_f32_e64 v3, 0x43000000, |v58|
; %bb.2131:
	s_or_b32 exec_lo, exec_lo, s2
                                        ; implicit-def: $vgpr5
.LBB23_2132:
	s_and_not1_saveexec_b32 s1, s1
; %bb.2133:
	v_mov_b32_e32 v3, 0x7f
	v_cmp_lt_u32_e32 vcc_lo, 0x7f800000, v5
	s_delay_alu instid0(VALU_DEP_2)
	v_cndmask_b32_e32 v3, 0x7c, v3, vcc_lo
; %bb.2134:
	s_or_b32 exec_lo, exec_lo, s1
	v_lshrrev_b32_e32 v5, 24, v58
	s_delay_alu instid0(VALU_DEP_1)
	v_and_or_b32 v3, 0x80, v5, v3
	global_store_b8 v[1:2], v3, off
.LBB23_2135:
	s_mov_b32 s1, 0
	s_mov_b32 s2, -1
.LBB23_2136:
	s_and_not1_b32 vcc_lo, exec_lo, s1
	s_mov_b32 s1, 0
	s_cbranch_vccnz .LBB23_2143
; %bb.2137:
	v_cmp_lt_i16_e32 vcc_lo, 14, v4
	s_mov_b32 s1, -1
	s_cbranch_vccz .LBB23_2141
; %bb.2138:
	v_cmp_eq_u16_e32 vcc_lo, 15, v4
	s_mov_b32 s0, -1
	s_cbranch_vccz .LBB23_2140
; %bb.2139:
	v_bfe_u32 v3, v58, 16, 1
	v_cmp_o_f32_e32 vcc_lo, v58, v58
	s_mov_b32 s0, 0
	s_mov_b32 s2, -1
	s_delay_alu instid0(VALU_DEP_2) | instskip(NEXT) | instid1(VALU_DEP_1)
	v_add3_u32 v3, v58, v3, 0x7fff
	v_lshrrev_b32_e32 v3, 16, v3
	s_delay_alu instid0(VALU_DEP_1)
	v_cndmask_b32_e32 v3, 0x7fc0, v3, vcc_lo
	global_store_b16 v[1:2], v3, off
.LBB23_2140:
	s_mov_b32 s1, 0
.LBB23_2141:
	s_delay_alu instid0(SALU_CYCLE_1)
	s_and_b32 vcc_lo, exec_lo, s1
	s_mov_b32 s1, 0
	s_cbranch_vccz .LBB23_2143
; %bb.2142:
	v_cmp_ne_u16_e64 s0, 11, v4
	s_mov_b32 s1, -1
.LBB23_2143:
	s_delay_alu instid0(VALU_DEP_1)
	s_and_b32 vcc_lo, exec_lo, s0
	s_cbranch_vccnz .LBB23_2286
; %bb.2144:
	s_and_not1_b32 vcc_lo, exec_lo, s1
	s_cbranch_vccnz .LBB23_2146
.LBB23_2145:
	v_cmp_neq_f32_e32 vcc_lo, 0, v58
	s_mov_b32 s2, -1
	v_cndmask_b32_e64 v3, 0, 1, vcc_lo
	global_store_b8 v[1:2], v3, off
.LBB23_2146:
	s_mov_b32 s0, 0
.LBB23_2147:
	s_delay_alu instid0(SALU_CYCLE_1)
	s_and_b32 vcc_lo, exec_lo, s0
	s_cbranch_vccz .LBB23_2186
; %bb.2148:
	v_cmp_gt_i16_e32 vcc_lo, 5, v4
	s_mov_b32 s0, -1
	s_cbranch_vccnz .LBB23_2169
; %bb.2149:
	v_cmp_gt_i16_e32 vcc_lo, 8, v4
	s_cbranch_vccnz .LBB23_2159
; %bb.2150:
	v_cmp_gt_i16_e32 vcc_lo, 9, v4
	s_cbranch_vccnz .LBB23_2156
; %bb.2151:
	v_cmp_lt_i16_e32 vcc_lo, 9, v4
	s_cbranch_vccz .LBB23_2153
; %bb.2152:
	v_cvt_f64_f32_e32 v[5:6], v58
	v_mov_b32_e32 v7, 0
	s_mov_b32 s0, 0
	s_delay_alu instid0(VALU_DEP_1)
	v_mov_b32_e32 v8, v7
	global_store_b128 v[1:2], v[5:8], off
.LBB23_2153:
	s_and_not1_b32 vcc_lo, exec_lo, s0
	s_cbranch_vccnz .LBB23_2155
; %bb.2154:
	v_mov_b32_e32 v59, 0
	global_store_b64 v[1:2], v[58:59], off
.LBB23_2155:
	s_mov_b32 s0, 0
.LBB23_2156:
	s_delay_alu instid0(SALU_CYCLE_1)
	s_and_not1_b32 vcc_lo, exec_lo, s0
	s_cbranch_vccnz .LBB23_2158
; %bb.2157:
	v_cvt_f16_f32_e32 v3, v58
	s_delay_alu instid0(VALU_DEP_1)
	v_and_b32_e32 v3, 0xffff, v3
	global_store_b32 v[1:2], v3, off
.LBB23_2158:
	s_mov_b32 s0, 0
.LBB23_2159:
	s_delay_alu instid0(SALU_CYCLE_1)
	s_and_not1_b32 vcc_lo, exec_lo, s0
	s_cbranch_vccnz .LBB23_2168
; %bb.2160:
	v_cmp_gt_i16_e32 vcc_lo, 6, v4
	s_mov_b32 s0, -1
	s_cbranch_vccnz .LBB23_2166
; %bb.2161:
	v_cmp_lt_i16_e32 vcc_lo, 6, v4
	s_cbranch_vccz .LBB23_2163
; %bb.2162:
	v_cvt_f64_f32_e32 v[5:6], v58
	s_mov_b32 s0, 0
	global_store_b64 v[1:2], v[5:6], off
.LBB23_2163:
	s_and_not1_b32 vcc_lo, exec_lo, s0
	s_cbranch_vccnz .LBB23_2165
; %bb.2164:
	global_store_b32 v[1:2], v58, off
.LBB23_2165:
	s_mov_b32 s0, 0
.LBB23_2166:
	s_delay_alu instid0(SALU_CYCLE_1)
	s_and_not1_b32 vcc_lo, exec_lo, s0
	s_cbranch_vccnz .LBB23_2168
; %bb.2167:
	v_cvt_f16_f32_e32 v3, v58
	global_store_b16 v[1:2], v3, off
.LBB23_2168:
	s_mov_b32 s0, 0
.LBB23_2169:
	s_delay_alu instid0(SALU_CYCLE_1)
	s_and_not1_b32 vcc_lo, exec_lo, s0
	s_cbranch_vccnz .LBB23_2185
; %bb.2170:
	v_cmp_gt_i16_e32 vcc_lo, 2, v4
	s_mov_b32 s0, -1
	s_cbranch_vccnz .LBB23_2180
; %bb.2171:
	v_cmp_gt_i16_e32 vcc_lo, 3, v4
	s_cbranch_vccnz .LBB23_2177
; %bb.2172:
	v_cmp_lt_i16_e32 vcc_lo, 3, v4
	s_cbranch_vccz .LBB23_2174
; %bb.2173:
	v_trunc_f32_e32 v3, v58
	s_mov_b32 s0, 0
	s_delay_alu instid0(VALU_DEP_1) | instskip(NEXT) | instid1(VALU_DEP_1)
	v_mul_f32_e64 v5, 0x2f800000, |v3|
	v_floor_f32_e32 v5, v5
	s_delay_alu instid0(VALU_DEP_1) | instskip(SKIP_2) | instid1(VALU_DEP_3)
	v_fma_f32 v6, 0xcf800000, v5, |v3|
	v_ashrrev_i32_e32 v3, 31, v3
	v_cvt_u32_f32_e32 v5, v5
	v_cvt_u32_f32_e32 v6, v6
	s_delay_alu instid0(VALU_DEP_2) | instskip(NEXT) | instid1(VALU_DEP_2)
	v_xor_b32_e32 v7, v5, v3
	v_xor_b32_e32 v6, v6, v3
	s_delay_alu instid0(VALU_DEP_1) | instskip(NEXT) | instid1(VALU_DEP_3)
	v_sub_co_u32 v5, vcc_lo, v6, v3
	v_sub_co_ci_u32_e32 v6, vcc_lo, v7, v3, vcc_lo
	global_store_b64 v[1:2], v[5:6], off
.LBB23_2174:
	s_and_not1_b32 vcc_lo, exec_lo, s0
	s_cbranch_vccnz .LBB23_2176
; %bb.2175:
	v_cvt_i32_f32_e32 v3, v58
	global_store_b32 v[1:2], v3, off
.LBB23_2176:
	s_mov_b32 s0, 0
.LBB23_2177:
	s_delay_alu instid0(SALU_CYCLE_1)
	s_and_not1_b32 vcc_lo, exec_lo, s0
	s_cbranch_vccnz .LBB23_2179
; %bb.2178:
	v_cvt_i32_f32_e32 v3, v58
	global_store_b16 v[1:2], v3, off
.LBB23_2179:
	s_mov_b32 s0, 0
.LBB23_2180:
	s_delay_alu instid0(SALU_CYCLE_1)
	s_and_not1_b32 vcc_lo, exec_lo, s0
	s_cbranch_vccnz .LBB23_2185
; %bb.2181:
	v_cmp_lt_i16_e32 vcc_lo, 0, v4
	s_mov_b32 s0, -1
	s_cbranch_vccz .LBB23_2183
; %bb.2182:
	v_cvt_i32_f32_e32 v3, v58
	s_mov_b32 s0, 0
	global_store_b8 v[1:2], v3, off
.LBB23_2183:
	s_and_not1_b32 vcc_lo, exec_lo, s0
	s_cbranch_vccnz .LBB23_2185
; %bb.2184:
	v_trunc_f32_e32 v3, v58
	s_delay_alu instid0(VALU_DEP_1) | instskip(NEXT) | instid1(VALU_DEP_1)
	v_mul_f32_e64 v5, 0x2f800000, |v3|
	v_floor_f32_e32 v5, v5
	s_delay_alu instid0(VALU_DEP_1) | instskip(SKIP_1) | instid1(VALU_DEP_2)
	v_fma_f32 v5, 0xcf800000, v5, |v3|
	v_ashrrev_i32_e32 v3, 31, v3
	v_cvt_u32_f32_e32 v5, v5
	s_delay_alu instid0(VALU_DEP_1) | instskip(NEXT) | instid1(VALU_DEP_1)
	v_xor_b32_e32 v5, v5, v3
	v_sub_nc_u32_e32 v3, v5, v3
	global_store_b8 v[1:2], v3, off
.LBB23_2185:
	s_mov_b32 s2, -1
.LBB23_2186:
	s_delay_alu instid0(SALU_CYCLE_1)
	s_and_not1_b32 vcc_lo, exec_lo, s2
	s_cbranch_vccnz .LBB23_2263
; %bb.2187:
	v_cmp_gt_i16_e32 vcc_lo, 11, v4
	v_add_co_u32 v2, s0, s36, v42
	s_delay_alu instid0(VALU_DEP_1)
	v_add_co_ci_u32_e64 v3, null, s37, 0, s0
	s_mov_b32 s1, 0
	s_mov_b32 s0, -1
	s_cbranch_vccnz .LBB23_1782
; %bb.2188:
	v_cmp_lt_i16_e32 vcc_lo, 25, v4
	s_mov_b32 s2, -1
	s_mov_b32 s0, 0
	s_cbranch_vccz .LBB23_2221
; %bb.2189:
	v_cmp_lt_i16_e32 vcc_lo, 28, v4
	s_cbranch_vccz .LBB23_2205
; %bb.2190:
	v_cmp_lt_i16_e32 vcc_lo, 43, v4
	;; [unrolled: 3-line block ×3, first 2 shown]
	s_cbranch_vccz .LBB23_2195
; %bb.2192:
	v_cmp_eq_u16_e32 vcc_lo, 46, v4
	s_mov_b32 s0, -1
	s_cbranch_vccz .LBB23_2194
; %bb.2193:
	v_bfe_u32 v1, v0, 16, 1
	v_cmp_o_f32_e32 vcc_lo, v0, v0
	s_mov_b32 s0, 0
	s_delay_alu instid0(VALU_DEP_2) | instskip(NEXT) | instid1(VALU_DEP_1)
	v_add3_u32 v1, v0, v1, 0x7fff
	v_lshrrev_b32_e32 v1, 16, v1
	s_delay_alu instid0(VALU_DEP_1)
	v_cndmask_b32_e32 v1, 0x7fc0, v1, vcc_lo
	global_store_b32 v[2:3], v1, off
.LBB23_2194:
	s_mov_b32 s2, 0
.LBB23_2195:
	s_delay_alu instid0(SALU_CYCLE_1)
	s_and_b32 vcc_lo, exec_lo, s2
	s_cbranch_vccz .LBB23_2200
; %bb.2196:
	v_cmp_eq_u16_e32 vcc_lo, 44, v4
	s_mov_b32 s0, -1
	s_cbranch_vccz .LBB23_2200
; %bb.2197:
	v_bfe_u32 v5, v0, 23, 8
	v_mov_b32_e32 v1, 0xff
	s_mov_b32 s2, exec_lo
	s_delay_alu instid0(VALU_DEP_2)
	v_cmpx_ne_u32_e32 0xff, v5
; %bb.2198:
	v_and_b32_e32 v1, 0x400000, v0
	v_and_or_b32 v5, 0x3fffff, v0, v5
	s_delay_alu instid0(VALU_DEP_2) | instskip(NEXT) | instid1(VALU_DEP_2)
	v_cmp_ne_u32_e32 vcc_lo, 0, v1
	v_cmp_ne_u32_e64 s0, 0, v5
	v_lshrrev_b32_e32 v1, 23, v0
	s_delay_alu instid0(VALU_DEP_2) | instskip(NEXT) | instid1(SALU_CYCLE_1)
	s_and_b32 s0, vcc_lo, s0
	v_cndmask_b32_e64 v5, 0, 1, s0
	s_delay_alu instid0(VALU_DEP_1)
	v_add_nc_u32_e32 v1, v1, v5
; %bb.2199:
	s_or_b32 exec_lo, exec_lo, s2
	s_mov_b32 s0, 0
	global_store_b8 v[2:3], v1, off
.LBB23_2200:
	s_mov_b32 s2, 0
.LBB23_2201:
	s_delay_alu instid0(SALU_CYCLE_1)
	s_and_b32 vcc_lo, exec_lo, s2
	s_cbranch_vccz .LBB23_2204
; %bb.2202:
	v_cmp_eq_u16_e32 vcc_lo, 29, v4
	s_mov_b32 s0, -1
	s_cbranch_vccz .LBB23_2204
; %bb.2203:
	v_trunc_f32_e32 v1, v0
	s_mov_b32 s0, 0
	s_delay_alu instid0(VALU_DEP_1) | instskip(NEXT) | instid1(VALU_DEP_1)
	v_mul_f32_e32 v5, 0x2f800000, v1
	v_floor_f32_e32 v5, v5
	s_delay_alu instid0(VALU_DEP_1) | instskip(SKIP_1) | instid1(VALU_DEP_2)
	v_fmamk_f32 v1, v5, 0xcf800000, v1
	v_cvt_u32_f32_e32 v6, v5
	v_cvt_u32_f32_e32 v5, v1
	global_store_b64 v[2:3], v[5:6], off
.LBB23_2204:
	s_mov_b32 s2, 0
.LBB23_2205:
	s_delay_alu instid0(SALU_CYCLE_1)
	s_and_b32 vcc_lo, exec_lo, s2
	s_cbranch_vccz .LBB23_2220
; %bb.2206:
	v_cmp_gt_i16_e32 vcc_lo, 27, v4
	s_mov_b32 s2, -1
	s_cbranch_vccnz .LBB23_2212
; %bb.2207:
	v_cmp_lt_i16_e32 vcc_lo, 27, v4
	v_cvt_u32_f32_e32 v1, v0
	s_cbranch_vccz .LBB23_2209
; %bb.2208:
	s_mov_b32 s2, 0
	global_store_b32 v[2:3], v1, off
.LBB23_2209:
	s_and_not1_b32 vcc_lo, exec_lo, s2
	s_cbranch_vccnz .LBB23_2211
; %bb.2210:
	global_store_b16 v[2:3], v1, off
.LBB23_2211:
	s_mov_b32 s2, 0
.LBB23_2212:
	s_delay_alu instid0(SALU_CYCLE_1)
	s_and_not1_b32 vcc_lo, exec_lo, s2
	s_cbranch_vccnz .LBB23_2220
; %bb.2213:
	v_and_b32_e32 v1, 0x7fffffff, v0
	v_mov_b32_e32 v5, 0x80
	s_mov_b32 s2, exec_lo
	s_delay_alu instid0(VALU_DEP_2)
	v_cmpx_gt_u32_e32 0x43800000, v1
	s_cbranch_execz .LBB23_2219
; %bb.2214:
	v_cmp_lt_u32_e32 vcc_lo, 0x3bffffff, v1
	s_mov_b32 s3, 0
                                        ; implicit-def: $vgpr1
	s_and_saveexec_b32 s4, vcc_lo
	s_delay_alu instid0(SALU_CYCLE_1)
	s_xor_b32 s4, exec_lo, s4
	s_cbranch_execz .LBB23_2290
; %bb.2215:
	v_bfe_u32 v1, v0, 20, 1
	s_mov_b32 s3, exec_lo
	s_delay_alu instid0(VALU_DEP_1) | instskip(NEXT) | instid1(VALU_DEP_1)
	v_add3_u32 v1, v0, v1, 0x487ffff
	v_lshrrev_b32_e32 v1, 20, v1
	s_or_saveexec_b32 s4, s4
                                        ; implicit-def: $sgpr5
	s_delay_alu instid0(SALU_CYCLE_1)
	s_xor_b32 exec_lo, exec_lo, s4
	s_cbranch_execnz .LBB23_2291
.LBB23_2216:
	s_or_b32 exec_lo, exec_lo, s4
	v_mov_b32_e32 v5, s5
	s_and_saveexec_b32 s4, s3
.LBB23_2217:
	v_lshrrev_b32_e32 v5, 24, v0
	s_delay_alu instid0(VALU_DEP_1)
	v_and_or_b32 v5, 0x80, v5, v1
.LBB23_2218:
	s_or_b32 exec_lo, exec_lo, s4
.LBB23_2219:
	s_delay_alu instid0(SALU_CYCLE_1)
	s_or_b32 exec_lo, exec_lo, s2
	global_store_b8 v[2:3], v5, off
.LBB23_2220:
	s_mov_b32 s2, 0
.LBB23_2221:
	s_delay_alu instid0(SALU_CYCLE_1)
	s_and_b32 vcc_lo, exec_lo, s2
	s_cbranch_vccz .LBB23_2261
; %bb.2222:
	v_cmp_lt_i16_e32 vcc_lo, 22, v4
	s_mov_b32 s1, -1
	s_cbranch_vccz .LBB23_2254
; %bb.2223:
	v_cmp_gt_i16_e32 vcc_lo, 24, v4
	s_cbranch_vccnz .LBB23_2243
; %bb.2224:
	v_cmp_lt_i16_e32 vcc_lo, 24, v4
	s_cbranch_vccz .LBB23_2232
; %bb.2225:
	v_and_b32_e32 v1, 0x7fffffff, v0
	v_mov_b32_e32 v5, 0x80
	s_mov_b32 s1, exec_lo
	s_delay_alu instid0(VALU_DEP_2)
	v_cmpx_gt_u32_e32 0x47800000, v1
	s_cbranch_execz .LBB23_2231
; %bb.2226:
	v_cmp_lt_u32_e32 vcc_lo, 0x37ffffff, v1
	s_mov_b32 s2, 0
                                        ; implicit-def: $vgpr1
	s_and_saveexec_b32 s3, vcc_lo
	s_delay_alu instid0(SALU_CYCLE_1)
	s_xor_b32 s3, exec_lo, s3
	s_cbranch_execz .LBB23_2296
; %bb.2227:
	v_bfe_u32 v1, v0, 21, 1
	s_mov_b32 s2, exec_lo
	s_delay_alu instid0(VALU_DEP_1) | instskip(NEXT) | instid1(VALU_DEP_1)
	v_add3_u32 v1, v0, v1, 0x88fffff
	v_lshrrev_b32_e32 v1, 21, v1
	s_or_saveexec_b32 s3, s3
                                        ; implicit-def: $sgpr4
	s_delay_alu instid0(SALU_CYCLE_1)
	s_xor_b32 exec_lo, exec_lo, s3
	s_cbranch_execnz .LBB23_2297
.LBB23_2228:
	s_or_b32 exec_lo, exec_lo, s3
	v_mov_b32_e32 v5, s4
	s_and_saveexec_b32 s3, s2
.LBB23_2229:
	v_lshrrev_b32_e32 v5, 24, v0
	s_delay_alu instid0(VALU_DEP_1)
	v_and_or_b32 v5, 0x80, v5, v1
.LBB23_2230:
	s_or_b32 exec_lo, exec_lo, s3
.LBB23_2231:
	s_delay_alu instid0(SALU_CYCLE_1)
	s_or_b32 exec_lo, exec_lo, s1
	s_mov_b32 s1, 0
	global_store_b8 v[2:3], v5, off
.LBB23_2232:
	s_and_b32 vcc_lo, exec_lo, s1
	s_cbranch_vccz .LBB23_2242
; %bb.2233:
	v_and_b32_e32 v5, 0x7fffffff, v0
	s_mov_b32 s1, exec_lo
                                        ; implicit-def: $vgpr1
	s_delay_alu instid0(VALU_DEP_1)
	v_cmpx_gt_u32_e32 0x43f00000, v5
	s_xor_b32 s1, exec_lo, s1
	s_cbranch_execz .LBB23_2239
; %bb.2234:
	s_mov_b32 s2, exec_lo
                                        ; implicit-def: $vgpr1
	v_cmpx_lt_u32_e32 0x3c7fffff, v5
	s_xor_b32 s2, exec_lo, s2
; %bb.2235:
	v_bfe_u32 v1, v0, 20, 1
	s_delay_alu instid0(VALU_DEP_1) | instskip(NEXT) | instid1(VALU_DEP_1)
	v_add3_u32 v1, v0, v1, 0x407ffff
	v_and_b32_e32 v5, 0xff00000, v1
	v_lshrrev_b32_e32 v1, 20, v1
	s_delay_alu instid0(VALU_DEP_2) | instskip(NEXT) | instid1(VALU_DEP_2)
	v_cmp_ne_u32_e32 vcc_lo, 0x7f00000, v5
	v_cndmask_b32_e32 v1, 0x7e, v1, vcc_lo
; %bb.2236:
	s_and_not1_saveexec_b32 s2, s2
; %bb.2237:
	v_add_f32_e64 v1, 0x46800000, |v0|
; %bb.2238:
	s_or_b32 exec_lo, exec_lo, s2
                                        ; implicit-def: $vgpr5
.LBB23_2239:
	s_and_not1_saveexec_b32 s1, s1
; %bb.2240:
	v_mov_b32_e32 v1, 0x7f
	v_cmp_lt_u32_e32 vcc_lo, 0x7f800000, v5
	s_delay_alu instid0(VALU_DEP_2)
	v_cndmask_b32_e32 v1, 0x7e, v1, vcc_lo
; %bb.2241:
	s_or_b32 exec_lo, exec_lo, s1
	v_lshrrev_b32_e32 v5, 24, v0
	s_delay_alu instid0(VALU_DEP_1)
	v_and_or_b32 v1, 0x80, v5, v1
	global_store_b8 v[2:3], v1, off
.LBB23_2242:
	s_mov_b32 s1, 0
.LBB23_2243:
	s_delay_alu instid0(SALU_CYCLE_1)
	s_and_not1_b32 vcc_lo, exec_lo, s1
	s_cbranch_vccnz .LBB23_2253
; %bb.2244:
	v_and_b32_e32 v5, 0x7fffffff, v0
	s_mov_b32 s1, exec_lo
                                        ; implicit-def: $vgpr1
	s_delay_alu instid0(VALU_DEP_1)
	v_cmpx_gt_u32_e32 0x47800000, v5
	s_xor_b32 s1, exec_lo, s1
	s_cbranch_execz .LBB23_2250
; %bb.2245:
	s_mov_b32 s2, exec_lo
                                        ; implicit-def: $vgpr1
	v_cmpx_lt_u32_e32 0x387fffff, v5
	s_xor_b32 s2, exec_lo, s2
; %bb.2246:
	v_bfe_u32 v1, v0, 21, 1
	s_delay_alu instid0(VALU_DEP_1) | instskip(NEXT) | instid1(VALU_DEP_1)
	v_add3_u32 v1, v0, v1, 0x80fffff
	v_lshrrev_b32_e32 v1, 21, v1
; %bb.2247:
	s_and_not1_saveexec_b32 s2, s2
; %bb.2248:
	v_add_f32_e64 v1, 0x43000000, |v0|
; %bb.2249:
	s_or_b32 exec_lo, exec_lo, s2
                                        ; implicit-def: $vgpr5
.LBB23_2250:
	s_and_not1_saveexec_b32 s1, s1
; %bb.2251:
	v_mov_b32_e32 v1, 0x7f
	v_cmp_lt_u32_e32 vcc_lo, 0x7f800000, v5
	s_delay_alu instid0(VALU_DEP_2)
	v_cndmask_b32_e32 v1, 0x7c, v1, vcc_lo
; %bb.2252:
	s_or_b32 exec_lo, exec_lo, s1
	v_lshrrev_b32_e32 v5, 24, v0
	s_delay_alu instid0(VALU_DEP_1)
	v_and_or_b32 v1, 0x80, v5, v1
	global_store_b8 v[2:3], v1, off
.LBB23_2253:
	s_mov_b32 s1, 0
.LBB23_2254:
	s_delay_alu instid0(SALU_CYCLE_1)
	s_and_not1_b32 vcc_lo, exec_lo, s1
	s_mov_b32 s1, 0
	s_cbranch_vccnz .LBB23_2261
; %bb.2255:
	v_cmp_lt_i16_e32 vcc_lo, 14, v4
	s_mov_b32 s1, -1
	s_cbranch_vccz .LBB23_2259
; %bb.2256:
	v_cmp_eq_u16_e32 vcc_lo, 15, v4
	s_mov_b32 s0, -1
	s_cbranch_vccz .LBB23_2258
; %bb.2257:
	v_bfe_u32 v1, v0, 16, 1
	v_cmp_o_f32_e32 vcc_lo, v0, v0
	s_mov_b32 s0, 0
	s_delay_alu instid0(VALU_DEP_2) | instskip(NEXT) | instid1(VALU_DEP_1)
	v_add3_u32 v1, v0, v1, 0x7fff
	v_lshrrev_b32_e32 v1, 16, v1
	s_delay_alu instid0(VALU_DEP_1)
	v_cndmask_b32_e32 v1, 0x7fc0, v1, vcc_lo
	global_store_b16 v[2:3], v1, off
.LBB23_2258:
	s_mov_b32 s1, 0
.LBB23_2259:
	s_delay_alu instid0(SALU_CYCLE_1)
	s_and_b32 vcc_lo, exec_lo, s1
	s_mov_b32 s1, 0
	s_cbranch_vccz .LBB23_2261
; %bb.2260:
	v_cmp_ne_u16_e64 s0, 11, v4
	s_mov_b32 s1, -1
.LBB23_2261:
	s_delay_alu instid0(VALU_DEP_1)
	s_and_b32 vcc_lo, exec_lo, s0
	s_cbranch_vccnz .LBB23_2294
.LBB23_2262:
	s_mov_b32 s0, 0
	s_branch .LBB23_1782
.LBB23_2263:
	s_mov_b32 s0, 0
	s_mov_b32 s1, 0
                                        ; implicit-def: $vgpr2_vgpr3
                                        ; implicit-def: $vgpr4
	s_branch .LBB23_1782
.LBB23_2264:
	s_cbranch_execnz .LBB23_2268
; %bb.2265:
	s_or_b32 s35, s35, exec_lo
                                        ; implicit-def: $vgpr41
	s_cbranch_execz .LBB23_1720
	s_branch .LBB23_1721
.LBB23_2266:
	s_or_saveexec_b32 s4, s4
                                        ; implicit-def: $sgpr5
	s_delay_alu instid0(SALU_CYCLE_1)
	s_xor_b32 exec_lo, exec_lo, s4
	s_cbranch_execz .LBB23_1861
.LBB23_2267:
	v_add_f32_e64 v3, 0x46000000, |v46|
	s_and_not1_b32 s3, s3, exec_lo
	s_mov_b32 s5, 0
	s_delay_alu instid0(VALU_DEP_1) | instskip(NEXT) | instid1(VALU_DEP_1)
	v_and_b32_e32 v3, 0xff, v3
	v_cmp_ne_u32_e32 vcc_lo, 0, v3
	s_and_b32 s6, vcc_lo, exec_lo
	s_delay_alu instid0(SALU_CYCLE_1)
	s_or_b32 s3, s3, s6
	s_or_b32 exec_lo, exec_lo, s4
	v_mov_b32_e32 v5, s5
	s_and_saveexec_b32 s4, s3
	s_cbranch_execnz .LBB23_1862
	s_branch .LBB23_1863
.LBB23_2268:
	s_trap 2
	s_sendmsg_rtn_b32 s0, sendmsg(MSG_RTN_GET_DOORBELL)
	s_mov_b32 ttmp2, m0
	s_waitcnt lgkmcnt(0)
	s_and_b32 s0, s0, 0x3ff
	s_delay_alu instid0(SALU_CYCLE_1) | instskip(NEXT) | instid1(SALU_CYCLE_1)
	s_bitset1_b32 s0, 10
	s_mov_b32 m0, s0
	s_sendmsg sendmsg(MSG_INTERRUPT)
	s_mov_b32 m0, ttmp2
.LBB23_2269:                            ; =>This Inner Loop Header: Depth=1
	s_sethalt 5
	s_branch .LBB23_2269
.LBB23_2270:
	s_cbranch_execnz .LBB23_2276
; %bb.2271:
	s_or_b32 s35, s35, exec_lo
	s_cbranch_execz .LBB23_1909
	s_branch .LBB23_1910
.LBB23_2272:
	s_or_saveexec_b32 s3, s3
                                        ; implicit-def: $sgpr4
	s_delay_alu instid0(SALU_CYCLE_1)
	s_xor_b32 exec_lo, exec_lo, s3
	s_cbranch_execz .LBB23_1874
.LBB23_2273:
	v_add_f32_e64 v3, 0x42800000, |v46|
	s_and_not1_b32 s2, s2, exec_lo
	s_mov_b32 s4, 0
	s_delay_alu instid0(VALU_DEP_1) | instskip(NEXT) | instid1(VALU_DEP_1)
	v_and_b32_e32 v3, 0xff, v3
	v_cmp_ne_u32_e32 vcc_lo, 0, v3
	s_and_b32 s5, vcc_lo, exec_lo
	s_delay_alu instid0(SALU_CYCLE_1)
	s_or_b32 s2, s2, s5
	s_or_b32 exec_lo, exec_lo, s3
	v_mov_b32_e32 v5, s4
	s_and_saveexec_b32 s3, s2
	s_cbranch_execnz .LBB23_1875
	s_branch .LBB23_1876
.LBB23_2274:
	s_or_saveexec_b32 s4, s4
                                        ; implicit-def: $sgpr5
	s_delay_alu instid0(SALU_CYCLE_1)
	s_xor_b32 exec_lo, exec_lo, s4
	s_cbranch_execz .LBB23_1979
.LBB23_2275:
	v_add_f32_e64 v3, 0x46000000, |v56|
	s_and_not1_b32 s3, s3, exec_lo
	s_mov_b32 s5, 0
	s_delay_alu instid0(VALU_DEP_1) | instskip(NEXT) | instid1(VALU_DEP_1)
	v_and_b32_e32 v3, 0xff, v3
	v_cmp_ne_u32_e32 vcc_lo, 0, v3
	s_and_b32 s6, vcc_lo, exec_lo
	s_delay_alu instid0(SALU_CYCLE_1)
	s_or_b32 s3, s3, s6
	s_or_b32 exec_lo, exec_lo, s4
	v_mov_b32_e32 v5, s5
	s_and_saveexec_b32 s4, s3
	s_cbranch_execnz .LBB23_1980
	s_branch .LBB23_1981
.LBB23_2276:
	s_trap 2
	s_sendmsg_rtn_b32 s0, sendmsg(MSG_RTN_GET_DOORBELL)
	s_mov_b32 ttmp2, m0
	s_waitcnt lgkmcnt(0)
	s_and_b32 s0, s0, 0x3ff
	s_delay_alu instid0(SALU_CYCLE_1) | instskip(NEXT) | instid1(SALU_CYCLE_1)
	s_bitset1_b32 s0, 10
	s_mov_b32 m0, s0
	s_sendmsg sendmsg(MSG_INTERRUPT)
	s_mov_b32 m0, ttmp2
.LBB23_2277:                            ; =>This Inner Loop Header: Depth=1
	s_sethalt 5
	s_branch .LBB23_2277
.LBB23_2278:
	s_cbranch_execnz .LBB23_2284
; %bb.2279:
	s_or_b32 s35, s35, exec_lo
	s_cbranch_execz .LBB23_2027
	s_branch .LBB23_2028
.LBB23_2280:
	s_or_saveexec_b32 s3, s3
                                        ; implicit-def: $sgpr4
	s_delay_alu instid0(SALU_CYCLE_1)
	s_xor_b32 exec_lo, exec_lo, s3
	s_cbranch_execz .LBB23_1992
.LBB23_2281:
	v_add_f32_e64 v3, 0x42800000, |v56|
	s_and_not1_b32 s2, s2, exec_lo
	s_mov_b32 s4, 0
	s_delay_alu instid0(VALU_DEP_1) | instskip(NEXT) | instid1(VALU_DEP_1)
	v_and_b32_e32 v3, 0xff, v3
	v_cmp_ne_u32_e32 vcc_lo, 0, v3
	s_and_b32 s5, vcc_lo, exec_lo
	s_delay_alu instid0(SALU_CYCLE_1)
	s_or_b32 s2, s2, s5
	s_or_b32 exec_lo, exec_lo, s3
	v_mov_b32_e32 v5, s4
	s_and_saveexec_b32 s3, s2
	s_cbranch_execnz .LBB23_1993
	s_branch .LBB23_1994
.LBB23_2282:
	s_or_saveexec_b32 s4, s4
                                        ; implicit-def: $sgpr5
	s_delay_alu instid0(SALU_CYCLE_1)
	s_xor_b32 exec_lo, exec_lo, s4
	s_cbranch_execz .LBB23_2097
.LBB23_2283:
	v_add_f32_e64 v3, 0x46000000, |v58|
	s_and_not1_b32 s3, s3, exec_lo
	s_mov_b32 s5, 0
	s_delay_alu instid0(VALU_DEP_1) | instskip(NEXT) | instid1(VALU_DEP_1)
	v_and_b32_e32 v3, 0xff, v3
	v_cmp_ne_u32_e32 vcc_lo, 0, v3
	s_and_b32 s6, vcc_lo, exec_lo
	s_delay_alu instid0(SALU_CYCLE_1)
	s_or_b32 s3, s3, s6
	s_or_b32 exec_lo, exec_lo, s4
	v_mov_b32_e32 v5, s5
	s_and_saveexec_b32 s4, s3
	s_cbranch_execnz .LBB23_2098
	s_branch .LBB23_2099
.LBB23_2284:
	s_trap 2
	s_sendmsg_rtn_b32 s0, sendmsg(MSG_RTN_GET_DOORBELL)
	s_mov_b32 ttmp2, m0
	s_waitcnt lgkmcnt(0)
	s_and_b32 s0, s0, 0x3ff
	s_delay_alu instid0(SALU_CYCLE_1) | instskip(NEXT) | instid1(SALU_CYCLE_1)
	s_bitset1_b32 s0, 10
	s_mov_b32 m0, s0
	s_sendmsg sendmsg(MSG_INTERRUPT)
	s_mov_b32 m0, ttmp2
.LBB23_2285:                            ; =>This Inner Loop Header: Depth=1
	s_sethalt 5
	s_branch .LBB23_2285
.LBB23_2286:
	s_cbranch_execnz .LBB23_2292
; %bb.2287:
	s_or_b32 s35, s35, exec_lo
	s_cbranch_execz .LBB23_2145
	s_branch .LBB23_2146
.LBB23_2288:
	s_or_saveexec_b32 s3, s3
                                        ; implicit-def: $sgpr4
	s_delay_alu instid0(SALU_CYCLE_1)
	s_xor_b32 exec_lo, exec_lo, s3
	s_cbranch_execz .LBB23_2110
.LBB23_2289:
	v_add_f32_e64 v3, 0x42800000, |v58|
	s_and_not1_b32 s2, s2, exec_lo
	s_mov_b32 s4, 0
	s_delay_alu instid0(VALU_DEP_1) | instskip(NEXT) | instid1(VALU_DEP_1)
	v_and_b32_e32 v3, 0xff, v3
	v_cmp_ne_u32_e32 vcc_lo, 0, v3
	s_and_b32 s5, vcc_lo, exec_lo
	s_delay_alu instid0(SALU_CYCLE_1)
	s_or_b32 s2, s2, s5
	s_or_b32 exec_lo, exec_lo, s3
	v_mov_b32_e32 v5, s4
	s_and_saveexec_b32 s3, s2
	s_cbranch_execnz .LBB23_2111
	s_branch .LBB23_2112
.LBB23_2290:
	s_or_saveexec_b32 s4, s4
                                        ; implicit-def: $sgpr5
	s_delay_alu instid0(SALU_CYCLE_1)
	s_xor_b32 exec_lo, exec_lo, s4
	s_cbranch_execz .LBB23_2216
.LBB23_2291:
	v_add_f32_e64 v1, 0x46000000, |v0|
	s_and_not1_b32 s3, s3, exec_lo
	s_mov_b32 s5, 0
	s_delay_alu instid0(VALU_DEP_1) | instskip(NEXT) | instid1(VALU_DEP_1)
	v_and_b32_e32 v1, 0xff, v1
	v_cmp_ne_u32_e32 vcc_lo, 0, v1
	s_and_b32 s6, vcc_lo, exec_lo
	s_delay_alu instid0(SALU_CYCLE_1)
	s_or_b32 s3, s3, s6
	s_or_b32 exec_lo, exec_lo, s4
	v_mov_b32_e32 v5, s5
	s_and_saveexec_b32 s4, s3
	s_cbranch_execnz .LBB23_2217
	s_branch .LBB23_2218
.LBB23_2292:
	s_trap 2
	s_sendmsg_rtn_b32 s0, sendmsg(MSG_RTN_GET_DOORBELL)
	s_mov_b32 ttmp2, m0
	s_waitcnt lgkmcnt(0)
	s_and_b32 s0, s0, 0x3ff
	s_delay_alu instid0(SALU_CYCLE_1) | instskip(NEXT) | instid1(SALU_CYCLE_1)
	s_bitset1_b32 s0, 10
	s_mov_b32 m0, s0
	s_sendmsg sendmsg(MSG_INTERRUPT)
	s_mov_b32 m0, ttmp2
.LBB23_2293:                            ; =>This Inner Loop Header: Depth=1
	s_sethalt 5
	s_branch .LBB23_2293
.LBB23_2294:
	s_cbranch_execnz .LBB23_2298
; %bb.2295:
	s_mov_b32 s1, 0
	s_or_b32 s35, s35, exec_lo
	s_branch .LBB23_2262
.LBB23_2296:
	s_or_saveexec_b32 s3, s3
                                        ; implicit-def: $sgpr4
	s_delay_alu instid0(SALU_CYCLE_1)
	s_xor_b32 exec_lo, exec_lo, s3
	s_cbranch_execz .LBB23_2228
.LBB23_2297:
	v_add_f32_e64 v1, 0x42800000, |v0|
	s_and_not1_b32 s2, s2, exec_lo
	s_mov_b32 s4, 0
	s_delay_alu instid0(VALU_DEP_1) | instskip(NEXT) | instid1(VALU_DEP_1)
	v_and_b32_e32 v1, 0xff, v1
	v_cmp_ne_u32_e32 vcc_lo, 0, v1
	s_and_b32 s5, vcc_lo, exec_lo
	s_delay_alu instid0(SALU_CYCLE_1)
	s_or_b32 s2, s2, s5
	s_or_b32 exec_lo, exec_lo, s3
	v_mov_b32_e32 v5, s4
	s_and_saveexec_b32 s3, s2
	s_cbranch_execnz .LBB23_2229
	s_branch .LBB23_2230
.LBB23_2298:
	s_trap 2
	s_sendmsg_rtn_b32 s0, sendmsg(MSG_RTN_GET_DOORBELL)
	s_mov_b32 ttmp2, m0
	s_waitcnt lgkmcnt(0)
	s_and_b32 s0, s0, 0x3ff
	s_delay_alu instid0(SALU_CYCLE_1) | instskip(NEXT) | instid1(SALU_CYCLE_1)
	s_bitset1_b32 s0, 10
	s_mov_b32 m0, s0
	s_sendmsg sendmsg(MSG_INTERRUPT)
	s_mov_b32 m0, ttmp2
.LBB23_2299:                            ; =>This Inner Loop Header: Depth=1
	s_sethalt 5
	s_branch .LBB23_2299
	.section	.rodata,"a",@progbits
	.p2align	6, 0x0
	.amdhsa_kernel _ZN2at6native32elementwise_kernel_manual_unrollILi128ELi4EZNS0_15gpu_kernel_implIZZZNS0_12_GLOBAL__N_121bessel_y1_kernel_cudaERNS_18TensorIteratorBaseEENKUlvE_clEvENKUlvE0_clEvEUlfE_EEvS5_RKT_EUlibE0_EEviT1_
		.amdhsa_group_segment_fixed_size 0
		.amdhsa_private_segment_fixed_size 16
		.amdhsa_kernarg_size 360
		.amdhsa_user_sgpr_count 15
		.amdhsa_user_sgpr_dispatch_ptr 0
		.amdhsa_user_sgpr_queue_ptr 0
		.amdhsa_user_sgpr_kernarg_segment_ptr 1
		.amdhsa_user_sgpr_dispatch_id 0
		.amdhsa_user_sgpr_private_segment_size 0
		.amdhsa_wavefront_size32 1
		.amdhsa_uses_dynamic_stack 1
		.amdhsa_enable_private_segment 1
		.amdhsa_system_sgpr_workgroup_id_x 1
		.amdhsa_system_sgpr_workgroup_id_y 0
		.amdhsa_system_sgpr_workgroup_id_z 0
		.amdhsa_system_sgpr_workgroup_info 0
		.amdhsa_system_vgpr_workitem_id 0
		.amdhsa_next_free_vgpr 60
		.amdhsa_next_free_sgpr 75
		.amdhsa_reserve_vcc 1
		.amdhsa_float_round_mode_32 0
		.amdhsa_float_round_mode_16_64 0
		.amdhsa_float_denorm_mode_32 3
		.amdhsa_float_denorm_mode_16_64 3
		.amdhsa_dx10_clamp 1
		.amdhsa_ieee_mode 1
		.amdhsa_fp16_overflow 0
		.amdhsa_workgroup_processor_mode 1
		.amdhsa_memory_ordered 1
		.amdhsa_forward_progress 0
		.amdhsa_shared_vgpr_count 0
		.amdhsa_exception_fp_ieee_invalid_op 0
		.amdhsa_exception_fp_denorm_src 0
		.amdhsa_exception_fp_ieee_div_zero 0
		.amdhsa_exception_fp_ieee_overflow 0
		.amdhsa_exception_fp_ieee_underflow 0
		.amdhsa_exception_fp_ieee_inexact 0
		.amdhsa_exception_int_div_zero 0
	.end_amdhsa_kernel
	.section	.text._ZN2at6native32elementwise_kernel_manual_unrollILi128ELi4EZNS0_15gpu_kernel_implIZZZNS0_12_GLOBAL__N_121bessel_y1_kernel_cudaERNS_18TensorIteratorBaseEENKUlvE_clEvENKUlvE0_clEvEUlfE_EEvS5_RKT_EUlibE0_EEviT1_,"axG",@progbits,_ZN2at6native32elementwise_kernel_manual_unrollILi128ELi4EZNS0_15gpu_kernel_implIZZZNS0_12_GLOBAL__N_121bessel_y1_kernel_cudaERNS_18TensorIteratorBaseEENKUlvE_clEvENKUlvE0_clEvEUlfE_EEvS5_RKT_EUlibE0_EEviT1_,comdat
.Lfunc_end23:
	.size	_ZN2at6native32elementwise_kernel_manual_unrollILi128ELi4EZNS0_15gpu_kernel_implIZZZNS0_12_GLOBAL__N_121bessel_y1_kernel_cudaERNS_18TensorIteratorBaseEENKUlvE_clEvENKUlvE0_clEvEUlfE_EEvS5_RKT_EUlibE0_EEviT1_, .Lfunc_end23-_ZN2at6native32elementwise_kernel_manual_unrollILi128ELi4EZNS0_15gpu_kernel_implIZZZNS0_12_GLOBAL__N_121bessel_y1_kernel_cudaERNS_18TensorIteratorBaseEENKUlvE_clEvENKUlvE0_clEvEUlfE_EEvS5_RKT_EUlibE0_EEviT1_
                                        ; -- End function
	.section	.AMDGPU.csdata,"",@progbits
; Kernel info:
; codeLenInByte = 67104
; NumSgprs: 77
; NumVgprs: 60
; ScratchSize: 16
; MemoryBound: 1
; FloatMode: 240
; IeeeMode: 1
; LDSByteSize: 0 bytes/workgroup (compile time only)
; SGPRBlocks: 9
; VGPRBlocks: 7
; NumSGPRsForWavesPerEU: 77
; NumVGPRsForWavesPerEU: 60
; Occupancy: 16
; WaveLimiterHint : 1
; COMPUTE_PGM_RSRC2:SCRATCH_EN: 1
; COMPUTE_PGM_RSRC2:USER_SGPR: 15
; COMPUTE_PGM_RSRC2:TRAP_HANDLER: 0
; COMPUTE_PGM_RSRC2:TGID_X_EN: 1
; COMPUTE_PGM_RSRC2:TGID_Y_EN: 0
; COMPUTE_PGM_RSRC2:TGID_Z_EN: 0
; COMPUTE_PGM_RSRC2:TIDIG_COMP_CNT: 0
	.text
	.p2alignl 7, 3214868480
	.fill 96, 4, 3214868480
	.type	__hip_cuid_681812cccf1705bc,@object ; @__hip_cuid_681812cccf1705bc
	.section	.bss,"aw",@nobits
	.globl	__hip_cuid_681812cccf1705bc
__hip_cuid_681812cccf1705bc:
	.byte	0                               ; 0x0
	.size	__hip_cuid_681812cccf1705bc, 1

	.ident	"AMD clang version 19.0.0git (https://github.com/RadeonOpenCompute/llvm-project roc-6.4.0 25133 c7fe45cf4b819c5991fe208aaa96edf142730f1d)"
	.section	".note.GNU-stack","",@progbits
	.addrsig
	.addrsig_sym __hip_cuid_681812cccf1705bc
	.amdgpu_metadata
---
amdhsa.kernels:
  - .args:
      - .offset:         0
        .size:           4
        .value_kind:     by_value
      - .offset:         4
        .size:           1
        .value_kind:     by_value
      - .offset:         8
        .size:           16
        .value_kind:     by_value
    .group_segment_fixed_size: 0
    .kernarg_segment_align: 8
    .kernarg_segment_size: 24
    .language:       OpenCL C
    .language_version:
      - 2
      - 0
    .max_flat_workgroup_size: 256
    .name:           _ZN2at6native29vectorized_elementwise_kernelILi16EZZZNS0_12_GLOBAL__N_121bessel_y1_kernel_cudaERNS_18TensorIteratorBaseEENKUlvE_clEvENKUlvE_clEvEUldE_St5arrayIPcLm2EEEEviT0_T1_
    .private_segment_fixed_size: 128
    .sgpr_count:     50
    .sgpr_spill_count: 0
    .symbol:         _ZN2at6native29vectorized_elementwise_kernelILi16EZZZNS0_12_GLOBAL__N_121bessel_y1_kernel_cudaERNS_18TensorIteratorBaseEENKUlvE_clEvENKUlvE_clEvEUldE_St5arrayIPcLm2EEEEviT0_T1_.kd
    .uniform_work_group_size: 1
    .uses_dynamic_stack: true
    .vgpr_count:     116
    .vgpr_spill_count: 0
    .wavefront_size: 32
    .workgroup_processor_mode: 1
  - .args:
      - .offset:         0
        .size:           4
        .value_kind:     by_value
      - .offset:         4
        .size:           1
        .value_kind:     by_value
      - .offset:         8
        .size:           16
        .value_kind:     by_value
    .group_segment_fixed_size: 0
    .kernarg_segment_align: 8
    .kernarg_segment_size: 24
    .language:       OpenCL C
    .language_version:
      - 2
      - 0
    .max_flat_workgroup_size: 256
    .name:           _ZN2at6native29vectorized_elementwise_kernelILi8EZZZNS0_12_GLOBAL__N_121bessel_y1_kernel_cudaERNS_18TensorIteratorBaseEENKUlvE_clEvENKUlvE_clEvEUldE_St5arrayIPcLm2EEEEviT0_T1_
    .private_segment_fixed_size: 128
    .sgpr_count:     50
    .sgpr_spill_count: 0
    .symbol:         _ZN2at6native29vectorized_elementwise_kernelILi8EZZZNS0_12_GLOBAL__N_121bessel_y1_kernel_cudaERNS_18TensorIteratorBaseEENKUlvE_clEvENKUlvE_clEvEUldE_St5arrayIPcLm2EEEEviT0_T1_.kd
    .uniform_work_group_size: 1
    .uses_dynamic_stack: true
    .vgpr_count:     116
    .vgpr_spill_count: 0
    .wavefront_size: 32
    .workgroup_processor_mode: 1
  - .args:
      - .offset:         0
        .size:           4
        .value_kind:     by_value
      - .offset:         4
        .size:           1
        .value_kind:     by_value
      - .offset:         8
        .size:           16
        .value_kind:     by_value
    .group_segment_fixed_size: 0
    .kernarg_segment_align: 8
    .kernarg_segment_size: 24
    .language:       OpenCL C
    .language_version:
      - 2
      - 0
    .max_flat_workgroup_size: 256
    .name:           _ZN2at6native29vectorized_elementwise_kernelILi4EZZZNS0_12_GLOBAL__N_121bessel_y1_kernel_cudaERNS_18TensorIteratorBaseEENKUlvE_clEvENKUlvE_clEvEUldE_St5arrayIPcLm2EEEEviT0_T1_
    .private_segment_fixed_size: 128
    .sgpr_count:     50
    .sgpr_spill_count: 0
    .symbol:         _ZN2at6native29vectorized_elementwise_kernelILi4EZZZNS0_12_GLOBAL__N_121bessel_y1_kernel_cudaERNS_18TensorIteratorBaseEENKUlvE_clEvENKUlvE_clEvEUldE_St5arrayIPcLm2EEEEviT0_T1_.kd
    .uniform_work_group_size: 1
    .uses_dynamic_stack: true
    .vgpr_count:     116
    .vgpr_spill_count: 0
    .wavefront_size: 32
    .workgroup_processor_mode: 1
  - .args:
      - .offset:         0
        .size:           4
        .value_kind:     by_value
      - .offset:         4
        .size:           1
        .value_kind:     by_value
      - .offset:         8
        .size:           16
        .value_kind:     by_value
    .group_segment_fixed_size: 0
    .kernarg_segment_align: 8
    .kernarg_segment_size: 24
    .language:       OpenCL C
    .language_version:
      - 2
      - 0
    .max_flat_workgroup_size: 256
    .name:           _ZN2at6native29vectorized_elementwise_kernelILi2EZZZNS0_12_GLOBAL__N_121bessel_y1_kernel_cudaERNS_18TensorIteratorBaseEENKUlvE_clEvENKUlvE_clEvEUldE_St5arrayIPcLm2EEEEviT0_T1_
    .private_segment_fixed_size: 128
    .sgpr_count:     48
    .sgpr_spill_count: 0
    .symbol:         _ZN2at6native29vectorized_elementwise_kernelILi2EZZZNS0_12_GLOBAL__N_121bessel_y1_kernel_cudaERNS_18TensorIteratorBaseEENKUlvE_clEvENKUlvE_clEvEUldE_St5arrayIPcLm2EEEEviT0_T1_.kd
    .uniform_work_group_size: 1
    .uses_dynamic_stack: true
    .vgpr_count:     116
    .vgpr_spill_count: 0
    .wavefront_size: 32
    .workgroup_processor_mode: 1
  - .args:
      - .offset:         0
        .size:           4
        .value_kind:     by_value
      - .offset:         4
        .size:           1
        .value_kind:     by_value
      - .offset:         8
        .size:           16
        .value_kind:     by_value
      - .offset:         24
        .size:           1
        .value_kind:     by_value
      - .offset:         25
        .size:           1
        .value_kind:     by_value
      - .offset:         26
        .size:           1
        .value_kind:     by_value
      - .offset:         27
        .size:           1
        .value_kind:     by_value
    .group_segment_fixed_size: 0
    .kernarg_segment_align: 8
    .kernarg_segment_size: 28
    .language:       OpenCL C
    .language_version:
      - 2
      - 0
    .max_flat_workgroup_size: 256
    .name:           _ZN2at6native27unrolled_elementwise_kernelIZZZNS0_12_GLOBAL__N_121bessel_y1_kernel_cudaERNS_18TensorIteratorBaseEENKUlvE_clEvENKUlvE_clEvEUldE_St5arrayIPcLm2EELi4E23TrivialOffsetCalculatorILi1EjESC_NS0_6memory15LoadWithoutCastENSD_16StoreWithoutCastEEEviT_T0_T2_T3_T4_T5_
    .private_segment_fixed_size: 128
    .sgpr_count:     43
    .sgpr_spill_count: 0
    .symbol:         _ZN2at6native27unrolled_elementwise_kernelIZZZNS0_12_GLOBAL__N_121bessel_y1_kernel_cudaERNS_18TensorIteratorBaseEENKUlvE_clEvENKUlvE_clEvEUldE_St5arrayIPcLm2EELi4E23TrivialOffsetCalculatorILi1EjESC_NS0_6memory15LoadWithoutCastENSD_16StoreWithoutCastEEEviT_T0_T2_T3_T4_T5_.kd
    .uniform_work_group_size: 1
    .uses_dynamic_stack: true
    .vgpr_count:     116
    .vgpr_spill_count: 0
    .wavefront_size: 32
    .workgroup_processor_mode: 1
  - .args:
      - .offset:         0
        .size:           4
        .value_kind:     by_value
      - .offset:         8
        .size:           352
        .value_kind:     by_value
    .group_segment_fixed_size: 0
    .kernarg_segment_align: 8
    .kernarg_segment_size: 360
    .language:       OpenCL C
    .language_version:
      - 2
      - 0
    .max_flat_workgroup_size: 128
    .name:           _ZN2at6native32elementwise_kernel_manual_unrollILi128ELi4EZNS0_22gpu_kernel_impl_nocastIZZZNS0_12_GLOBAL__N_121bessel_y1_kernel_cudaERNS_18TensorIteratorBaseEENKUlvE_clEvENKUlvE_clEvEUldE_EEvS5_RKT_EUlibE_EEviT1_
    .private_segment_fixed_size: 16
    .sgpr_count:     67
    .sgpr_spill_count: 0
    .symbol:         _ZN2at6native32elementwise_kernel_manual_unrollILi128ELi4EZNS0_22gpu_kernel_impl_nocastIZZZNS0_12_GLOBAL__N_121bessel_y1_kernel_cudaERNS_18TensorIteratorBaseEENKUlvE_clEvENKUlvE_clEvEUldE_EEvS5_RKT_EUlibE_EEviT1_.kd
    .uniform_work_group_size: 1
    .uses_dynamic_stack: true
    .vgpr_count:     104
    .vgpr_spill_count: 0
    .wavefront_size: 32
    .workgroup_processor_mode: 1
  - .args:
      - .offset:         0
        .size:           4
        .value_kind:     by_value
      - .offset:         8
        .size:           32
        .value_kind:     by_value
    .group_segment_fixed_size: 0
    .kernarg_segment_align: 8
    .kernarg_segment_size: 40
    .language:       OpenCL C
    .language_version:
      - 2
      - 0
    .max_flat_workgroup_size: 128
    .name:           _ZN2at6native32elementwise_kernel_manual_unrollILi128ELi4EZNS0_15gpu_kernel_implIZZZNS0_12_GLOBAL__N_121bessel_y1_kernel_cudaERNS_18TensorIteratorBaseEENKUlvE_clEvENKUlvE_clEvEUldE_EEvS5_RKT_EUlibE_EEviT1_
    .private_segment_fixed_size: 48
    .sgpr_count:     56
    .sgpr_spill_count: 0
    .symbol:         _ZN2at6native32elementwise_kernel_manual_unrollILi128ELi4EZNS0_15gpu_kernel_implIZZZNS0_12_GLOBAL__N_121bessel_y1_kernel_cudaERNS_18TensorIteratorBaseEENKUlvE_clEvENKUlvE_clEvEUldE_EEvS5_RKT_EUlibE_EEviT1_.kd
    .uniform_work_group_size: 1
    .uses_dynamic_stack: true
    .vgpr_count:     104
    .vgpr_spill_count: 0
    .wavefront_size: 32
    .workgroup_processor_mode: 1
  - .args:
      - .offset:         0
        .size:           4
        .value_kind:     by_value
      - .offset:         8
        .size:           352
        .value_kind:     by_value
    .group_segment_fixed_size: 0
    .kernarg_segment_align: 8
    .kernarg_segment_size: 360
    .language:       OpenCL C
    .language_version:
      - 2
      - 0
    .max_flat_workgroup_size: 128
    .name:           _ZN2at6native32elementwise_kernel_manual_unrollILi128ELi4EZNS0_15gpu_kernel_implIZZZNS0_12_GLOBAL__N_121bessel_y1_kernel_cudaERNS_18TensorIteratorBaseEENKUlvE_clEvENKUlvE_clEvEUldE_EEvS5_RKT_EUlibE0_EEviT1_
    .private_segment_fixed_size: 48
    .sgpr_count:     76
    .sgpr_spill_count: 0
    .symbol:         _ZN2at6native32elementwise_kernel_manual_unrollILi128ELi4EZNS0_15gpu_kernel_implIZZZNS0_12_GLOBAL__N_121bessel_y1_kernel_cudaERNS_18TensorIteratorBaseEENKUlvE_clEvENKUlvE_clEvEUldE_EEvS5_RKT_EUlibE0_EEviT1_.kd
    .uniform_work_group_size: 1
    .uses_dynamic_stack: true
    .vgpr_count:     104
    .vgpr_spill_count: 0
    .wavefront_size: 32
    .workgroup_processor_mode: 1
  - .args:
      - .offset:         0
        .size:           4
        .value_kind:     by_value
      - .offset:         4
        .size:           1
        .value_kind:     by_value
      - .offset:         8
        .size:           16
        .value_kind:     by_value
    .group_segment_fixed_size: 0
    .kernarg_segment_align: 8
    .kernarg_segment_size: 24
    .language:       OpenCL C
    .language_version:
      - 2
      - 0
    .max_flat_workgroup_size: 256
    .name:           _ZN2at6native29vectorized_elementwise_kernelILi16EZZZNS0_12_GLOBAL__N_121bessel_y1_kernel_cudaERNS_18TensorIteratorBaseEENKUlvE_clEvENKUlvE0_clEvEUlfE_St5arrayIPcLm2EEEEviT0_T1_
    .private_segment_fixed_size: 80
    .sgpr_count:     50
    .sgpr_spill_count: 0
    .symbol:         _ZN2at6native29vectorized_elementwise_kernelILi16EZZZNS0_12_GLOBAL__N_121bessel_y1_kernel_cudaERNS_18TensorIteratorBaseEENKUlvE_clEvENKUlvE0_clEvEUlfE_St5arrayIPcLm2EEEEviT0_T1_.kd
    .uniform_work_group_size: 1
    .uses_dynamic_stack: true
    .vgpr_count:     63
    .vgpr_spill_count: 0
    .wavefront_size: 32
    .workgroup_processor_mode: 1
  - .args:
      - .offset:         0
        .size:           4
        .value_kind:     by_value
      - .offset:         4
        .size:           1
        .value_kind:     by_value
      - .offset:         8
        .size:           16
        .value_kind:     by_value
    .group_segment_fixed_size: 0
    .kernarg_segment_align: 8
    .kernarg_segment_size: 24
    .language:       OpenCL C
    .language_version:
      - 2
      - 0
    .max_flat_workgroup_size: 256
    .name:           _ZN2at6native29vectorized_elementwise_kernelILi8EZZZNS0_12_GLOBAL__N_121bessel_y1_kernel_cudaERNS_18TensorIteratorBaseEENKUlvE_clEvENKUlvE0_clEvEUlfE_St5arrayIPcLm2EEEEviT0_T1_
    .private_segment_fixed_size: 80
    .sgpr_count:     50
    .sgpr_spill_count: 0
    .symbol:         _ZN2at6native29vectorized_elementwise_kernelILi8EZZZNS0_12_GLOBAL__N_121bessel_y1_kernel_cudaERNS_18TensorIteratorBaseEENKUlvE_clEvENKUlvE0_clEvEUlfE_St5arrayIPcLm2EEEEviT0_T1_.kd
    .uniform_work_group_size: 1
    .uses_dynamic_stack: true
    .vgpr_count:     63
    .vgpr_spill_count: 0
    .wavefront_size: 32
    .workgroup_processor_mode: 1
  - .args:
      - .offset:         0
        .size:           4
        .value_kind:     by_value
      - .offset:         4
        .size:           1
        .value_kind:     by_value
      - .offset:         8
        .size:           16
        .value_kind:     by_value
    .group_segment_fixed_size: 0
    .kernarg_segment_align: 8
    .kernarg_segment_size: 24
    .language:       OpenCL C
    .language_version:
      - 2
      - 0
    .max_flat_workgroup_size: 256
    .name:           _ZN2at6native29vectorized_elementwise_kernelILi4EZZZNS0_12_GLOBAL__N_121bessel_y1_kernel_cudaERNS_18TensorIteratorBaseEENKUlvE_clEvENKUlvE0_clEvEUlfE_St5arrayIPcLm2EEEEviT0_T1_
    .private_segment_fixed_size: 80
    .sgpr_count:     50
    .sgpr_spill_count: 0
    .symbol:         _ZN2at6native29vectorized_elementwise_kernelILi4EZZZNS0_12_GLOBAL__N_121bessel_y1_kernel_cudaERNS_18TensorIteratorBaseEENKUlvE_clEvENKUlvE0_clEvEUlfE_St5arrayIPcLm2EEEEviT0_T1_.kd
    .uniform_work_group_size: 1
    .uses_dynamic_stack: true
    .vgpr_count:     63
    .vgpr_spill_count: 0
    .wavefront_size: 32
    .workgroup_processor_mode: 1
  - .args:
      - .offset:         0
        .size:           4
        .value_kind:     by_value
      - .offset:         4
        .size:           1
        .value_kind:     by_value
      - .offset:         8
        .size:           16
        .value_kind:     by_value
    .group_segment_fixed_size: 0
    .kernarg_segment_align: 8
    .kernarg_segment_size: 24
    .language:       OpenCL C
    .language_version:
      - 2
      - 0
    .max_flat_workgroup_size: 256
    .name:           _ZN2at6native29vectorized_elementwise_kernelILi2EZZZNS0_12_GLOBAL__N_121bessel_y1_kernel_cudaERNS_18TensorIteratorBaseEENKUlvE_clEvENKUlvE0_clEvEUlfE_St5arrayIPcLm2EEEEviT0_T1_
    .private_segment_fixed_size: 80
    .sgpr_count:     48
    .sgpr_spill_count: 0
    .symbol:         _ZN2at6native29vectorized_elementwise_kernelILi2EZZZNS0_12_GLOBAL__N_121bessel_y1_kernel_cudaERNS_18TensorIteratorBaseEENKUlvE_clEvENKUlvE0_clEvEUlfE_St5arrayIPcLm2EEEEviT0_T1_.kd
    .uniform_work_group_size: 1
    .uses_dynamic_stack: true
    .vgpr_count:     63
    .vgpr_spill_count: 0
    .wavefront_size: 32
    .workgroup_processor_mode: 1
  - .args:
      - .offset:         0
        .size:           4
        .value_kind:     by_value
      - .offset:         4
        .size:           1
        .value_kind:     by_value
      - .offset:         8
        .size:           16
        .value_kind:     by_value
      - .offset:         24
        .size:           1
        .value_kind:     by_value
      - .offset:         25
        .size:           1
        .value_kind:     by_value
      - .offset:         26
        .size:           1
        .value_kind:     by_value
      - .offset:         27
        .size:           1
        .value_kind:     by_value
    .group_segment_fixed_size: 0
    .kernarg_segment_align: 8
    .kernarg_segment_size: 28
    .language:       OpenCL C
    .language_version:
      - 2
      - 0
    .max_flat_workgroup_size: 256
    .name:           _ZN2at6native27unrolled_elementwise_kernelIZZZNS0_12_GLOBAL__N_121bessel_y1_kernel_cudaERNS_18TensorIteratorBaseEENKUlvE_clEvENKUlvE0_clEvEUlfE_St5arrayIPcLm2EELi4E23TrivialOffsetCalculatorILi1EjESC_NS0_6memory15LoadWithoutCastENSD_16StoreWithoutCastEEEviT_T0_T2_T3_T4_T5_
    .private_segment_fixed_size: 80
    .sgpr_count:     43
    .sgpr_spill_count: 0
    .symbol:         _ZN2at6native27unrolled_elementwise_kernelIZZZNS0_12_GLOBAL__N_121bessel_y1_kernel_cudaERNS_18TensorIteratorBaseEENKUlvE_clEvENKUlvE0_clEvEUlfE_St5arrayIPcLm2EELi4E23TrivialOffsetCalculatorILi1EjESC_NS0_6memory15LoadWithoutCastENSD_16StoreWithoutCastEEEviT_T0_T2_T3_T4_T5_.kd
    .uniform_work_group_size: 1
    .uses_dynamic_stack: true
    .vgpr_count:     63
    .vgpr_spill_count: 0
    .wavefront_size: 32
    .workgroup_processor_mode: 1
  - .args:
      - .offset:         0
        .size:           4
        .value_kind:     by_value
      - .offset:         8
        .size:           352
        .value_kind:     by_value
    .group_segment_fixed_size: 0
    .kernarg_segment_align: 8
    .kernarg_segment_size: 360
    .language:       OpenCL C
    .language_version:
      - 2
      - 0
    .max_flat_workgroup_size: 128
    .name:           _ZN2at6native32elementwise_kernel_manual_unrollILi128ELi4EZNS0_22gpu_kernel_impl_nocastIZZZNS0_12_GLOBAL__N_121bessel_y1_kernel_cudaERNS_18TensorIteratorBaseEENKUlvE_clEvENKUlvE0_clEvEUlfE_EEvS5_RKT_EUlibE_EEviT1_
    .private_segment_fixed_size: 16
    .sgpr_count:     67
    .sgpr_spill_count: 0
    .symbol:         _ZN2at6native32elementwise_kernel_manual_unrollILi128ELi4EZNS0_22gpu_kernel_impl_nocastIZZZNS0_12_GLOBAL__N_121bessel_y1_kernel_cudaERNS_18TensorIteratorBaseEENKUlvE_clEvENKUlvE0_clEvEUlfE_EEvS5_RKT_EUlibE_EEviT1_.kd
    .uniform_work_group_size: 1
    .uses_dynamic_stack: true
    .vgpr_count:     59
    .vgpr_spill_count: 0
    .wavefront_size: 32
    .workgroup_processor_mode: 1
  - .args:
      - .offset:         0
        .size:           4
        .value_kind:     by_value
      - .offset:         8
        .size:           32
        .value_kind:     by_value
    .group_segment_fixed_size: 0
    .kernarg_segment_align: 8
    .kernarg_segment_size: 40
    .language:       OpenCL C
    .language_version:
      - 2
      - 0
    .max_flat_workgroup_size: 128
    .name:           _ZN2at6native32elementwise_kernel_manual_unrollILi128ELi4EZNS0_15gpu_kernel_implIZZZNS0_12_GLOBAL__N_121bessel_y1_kernel_cudaERNS_18TensorIteratorBaseEENKUlvE_clEvENKUlvE0_clEvEUlfE_EEvS5_RKT_EUlibE_EEviT1_
    .private_segment_fixed_size: 16
    .sgpr_count:     57
    .sgpr_spill_count: 0
    .symbol:         _ZN2at6native32elementwise_kernel_manual_unrollILi128ELi4EZNS0_15gpu_kernel_implIZZZNS0_12_GLOBAL__N_121bessel_y1_kernel_cudaERNS_18TensorIteratorBaseEENKUlvE_clEvENKUlvE0_clEvEUlfE_EEvS5_RKT_EUlibE_EEviT1_.kd
    .uniform_work_group_size: 1
    .uses_dynamic_stack: true
    .vgpr_count:     58
    .vgpr_spill_count: 0
    .wavefront_size: 32
    .workgroup_processor_mode: 1
  - .args:
      - .offset:         0
        .size:           4
        .value_kind:     by_value
      - .offset:         8
        .size:           352
        .value_kind:     by_value
    .group_segment_fixed_size: 0
    .kernarg_segment_align: 8
    .kernarg_segment_size: 360
    .language:       OpenCL C
    .language_version:
      - 2
      - 0
    .max_flat_workgroup_size: 128
    .name:           _ZN2at6native32elementwise_kernel_manual_unrollILi128ELi4EZNS0_15gpu_kernel_implIZZZNS0_12_GLOBAL__N_121bessel_y1_kernel_cudaERNS_18TensorIteratorBaseEENKUlvE_clEvENKUlvE0_clEvEUlfE_EEvS5_RKT_EUlibE0_EEviT1_
    .private_segment_fixed_size: 16
    .sgpr_count:     77
    .sgpr_spill_count: 0
    .symbol:         _ZN2at6native32elementwise_kernel_manual_unrollILi128ELi4EZNS0_15gpu_kernel_implIZZZNS0_12_GLOBAL__N_121bessel_y1_kernel_cudaERNS_18TensorIteratorBaseEENKUlvE_clEvENKUlvE0_clEvEUlfE_EEvS5_RKT_EUlibE0_EEviT1_.kd
    .uniform_work_group_size: 1
    .uses_dynamic_stack: true
    .vgpr_count:     60
    .vgpr_spill_count: 0
    .wavefront_size: 32
    .workgroup_processor_mode: 1
amdhsa.target:   amdgcn-amd-amdhsa--gfx1100
amdhsa.version:
  - 1
  - 2
...

	.end_amdgpu_metadata
